;; amdgpu-corpus repo=ROCm/rccl kind=compiled arch=gfx906 opt=O3
	.amdgcn_target "amdgcn-amd-amdhsa--gfx906"
	.amdhsa_code_object_version 6
	.text
	.p2align	2                               ; -- Begin function __ockl_fprintf_append_string_n
	.type	__ockl_fprintf_append_string_n,@function
__ockl_fprintf_append_string_n:         ; @__ockl_fprintf_append_string_n
; %bb.0:
	s_waitcnt vmcnt(0) expcnt(0) lgkmcnt(0)
	v_or_b32_e32 v2, 2, v0
	v_cmp_eq_u32_e32 vcc, 0, v6
	s_getpc_b64 s[4:5]
	s_add_u32 s4, s4, .str.3@rel32@lo+4
	s_addc_u32 s5, s5, .str.3@rel32@hi+12
	s_mov_b32 s20, 0
	v_cndmask_b32_e32 v36, v2, v0, vcc
	s_mov_b64 s[6:7], 0
	s_cmp_lg_u64 s[4:5], 0
	v_mbcnt_lo_u32_b32 v37, -1, 0
	s_cbranch_scc0 .LBB0_112
; %bb.1:
	s_load_dwordx2 s[10:11], s[8:9], 0x50
	s_getpc_b64 s[4:5]
	s_add_u32 s4, s4, .str.3@rel32@lo+4
	s_addc_u32 s5, s5, .str.3@rel32@hi+12
	v_and_b32_e32 v0, -3, v36
	v_mov_b32_e32 v31, s5
	v_mov_b32_e32 v11, v1
	v_and_b32_e32 v38, 2, v36
	v_mov_b32_e32 v3, 0
	v_mbcnt_hi_u32_b32 v39, -1, v37
	v_mov_b32_e32 v30, s4
	s_movk_i32 s21, 0x1e0
	v_mov_b32_e32 v8, 2
	v_mov_b32_e32 v9, 1
	;; [unrolled: 1-line block ×3, first 2 shown]
	s_branch .LBB0_3
.LBB0_2:                                ;   in Loop: Header=BB0_3 Depth=1
	s_or_b64 exec, exec, s[14:15]
	v_sub_co_u32_e32 v4, vcc, v4, v32
	v_subb_co_u32_e32 v5, vcc, v5, v33, vcc
	v_cmp_eq_u64_e32 vcc, 0, v[4:5]
	s_or_b64 s[6:7], vcc, s[6:7]
	v_add_co_u32_e32 v30, vcc, v30, v32
	v_addc_co_u32_e32 v31, vcc, v31, v33, vcc
	s_andn2_b64 exec, exec, s[6:7]
	s_cbranch_execz .LBB0_85
.LBB0_3:                                ; =>This Loop Header: Depth=1
                                        ;     Child Loop BB0_6 Depth 2
                                        ;     Child Loop BB0_14 Depth 2
	;; [unrolled: 1-line block ×11, first 2 shown]
	v_cmp_gt_u64_e32 vcc, 56, v[4:5]
	v_add_co_u32_e64 v16, s[4:5], 8, v30
	v_cndmask_b32_e32 v33, 0, v5, vcc
	v_cndmask_b32_e32 v32, 56, v4, vcc
	v_cmp_gt_u64_e32 vcc, 8, v[4:5]
	v_addc_co_u32_e64 v17, s[4:5], 0, v31, s[4:5]
	s_and_saveexec_b64 s[4:5], vcc
	s_xor_b64 s[4:5], exec, s[4:5]
	s_cbranch_execz .LBB0_9
; %bb.4:                                ;   in Loop: Header=BB0_3 Depth=1
	s_waitcnt vmcnt(0)
	v_mov_b32_e32 v12, 0
	v_cmp_ne_u64_e32 vcc, 0, v[4:5]
	v_mov_b32_e32 v13, 0
	s_and_saveexec_b64 s[12:13], vcc
	s_cbranch_execz .LBB0_8
; %bb.5:                                ;   in Loop: Header=BB0_3 Depth=1
	v_lshlrev_b64 v[6:7], 3, v[32:33]
	v_mov_b32_e32 v12, 0
	v_mov_b32_e32 v14, v30
	s_mov_b64 s[14:15], 0
	v_mov_b32_e32 v13, 0
	v_mov_b32_e32 v15, v31
	s_mov_b64 s[16:17], 0
.LBB0_6:                                ;   Parent Loop BB0_3 Depth=1
                                        ; =>  This Inner Loop Header: Depth=2
	global_load_ubyte v0, v[14:15], off
	v_mov_b32_e32 v17, s20
	v_add_co_u32_e32 v14, vcc, 1, v14
	v_addc_co_u32_e32 v15, vcc, 0, v15, vcc
	s_waitcnt vmcnt(0)
	v_and_b32_e32 v16, 0xffff, v0
	v_lshlrev_b64 v[16:17], s16, v[16:17]
	s_add_u32 s16, s16, 8
	s_addc_u32 s17, s17, 0
	v_cmp_eq_u32_e32 vcc, s16, v6
	v_or_b32_e32 v13, v17, v13
	s_or_b64 s[14:15], vcc, s[14:15]
	v_or_b32_e32 v12, v16, v12
	s_andn2_b64 exec, exec, s[14:15]
	s_cbranch_execnz .LBB0_6
; %bb.7:                                ;   in Loop: Header=BB0_3 Depth=1
	s_or_b64 exec, exec, s[14:15]
.LBB0_8:                                ;   in Loop: Header=BB0_3 Depth=1
	s_or_b64 exec, exec, s[12:13]
	v_mov_b32_e32 v16, v30
	v_mov_b32_e32 v17, v31
.LBB0_9:                                ;   in Loop: Header=BB0_3 Depth=1
	s_or_saveexec_b64 s[4:5], s[4:5]
	v_mov_b32_e32 v0, 0
	s_xor_b64 exec, exec, s[4:5]
	s_cbranch_execz .LBB0_11
; %bb.10:                               ;   in Loop: Header=BB0_3 Depth=1
	global_load_dwordx2 v[12:13], v[30:31], off
	v_add_u32_e32 v0, -8, v32
.LBB0_11:                               ;   in Loop: Header=BB0_3 Depth=1
	s_or_b64 exec, exec, s[4:5]
	v_add_co_u32_e64 v6, s[4:5], 8, v16
	v_cmp_gt_u32_e32 vcc, 8, v0
	v_addc_co_u32_e64 v7, s[4:5], 0, v17, s[4:5]
                                        ; implicit-def: $vgpr14_vgpr15
	s_and_saveexec_b64 s[4:5], vcc
	s_xor_b64 s[4:5], exec, s[4:5]
	s_cbranch_execz .LBB0_17
; %bb.12:                               ;   in Loop: Header=BB0_3 Depth=1
	v_mov_b32_e32 v14, 0
	v_mov_b32_e32 v15, 0
	v_cmp_ne_u32_e32 vcc, 0, v0
	s_and_saveexec_b64 s[12:13], vcc
	s_cbranch_execz .LBB0_16
; %bb.13:                               ;   in Loop: Header=BB0_3 Depth=1
	v_mov_b32_e32 v14, 0
	s_mov_b64 s[14:15], 0
	v_mov_b32_e32 v15, 0
	s_mov_b64 s[16:17], 0
	s_mov_b64 s[18:19], 0
.LBB0_14:                               ;   Parent Loop BB0_3 Depth=1
                                        ; =>  This Inner Loop Header: Depth=2
	v_mov_b32_e32 v2, s19
	v_add_co_u32_e32 v6, vcc, s18, v16
	v_addc_co_u32_e32 v7, vcc, v17, v2, vcc
	global_load_ubyte v2, v[6:7], off
	s_add_u32 s18, s18, 1
	v_mov_b32_e32 v7, s20
	s_addc_u32 s19, s19, 0
	v_cmp_eq_u32_e32 vcc, s18, v0
	s_waitcnt vmcnt(0)
	v_and_b32_e32 v6, 0xffff, v2
	v_lshlrev_b64 v[6:7], s16, v[6:7]
	s_add_u32 s16, s16, 8
	s_addc_u32 s17, s17, 0
	v_or_b32_e32 v15, v7, v15
	s_or_b64 s[14:15], vcc, s[14:15]
	v_or_b32_e32 v14, v6, v14
	s_andn2_b64 exec, exec, s[14:15]
	s_cbranch_execnz .LBB0_14
; %bb.15:                               ;   in Loop: Header=BB0_3 Depth=1
	s_or_b64 exec, exec, s[14:15]
.LBB0_16:                               ;   in Loop: Header=BB0_3 Depth=1
	s_or_b64 exec, exec, s[12:13]
	v_mov_b32_e32 v6, v16
	v_mov_b32_e32 v7, v17
                                        ; implicit-def: $vgpr0
.LBB0_17:                               ;   in Loop: Header=BB0_3 Depth=1
	s_or_saveexec_b64 s[4:5], s[4:5]
	v_mov_b32_e32 v2, 0
	s_xor_b64 exec, exec, s[4:5]
	s_cbranch_execz .LBB0_19
; %bb.18:                               ;   in Loop: Header=BB0_3 Depth=1
	global_load_dwordx2 v[14:15], v[16:17], off
	v_add_u32_e32 v2, -8, v0
.LBB0_19:                               ;   in Loop: Header=BB0_3 Depth=1
	s_or_b64 exec, exec, s[4:5]
	v_add_co_u32_e64 v20, s[4:5], 8, v6
	v_cmp_gt_u32_e32 vcc, 8, v2
	v_addc_co_u32_e64 v21, s[4:5], 0, v7, s[4:5]
	s_and_saveexec_b64 s[4:5], vcc
	s_xor_b64 s[4:5], exec, s[4:5]
	s_cbranch_execz .LBB0_25
; %bb.20:                               ;   in Loop: Header=BB0_3 Depth=1
	v_mov_b32_e32 v16, 0
	v_mov_b32_e32 v17, 0
	v_cmp_ne_u32_e32 vcc, 0, v2
	s_and_saveexec_b64 s[12:13], vcc
	s_cbranch_execz .LBB0_24
; %bb.21:                               ;   in Loop: Header=BB0_3 Depth=1
	v_mov_b32_e32 v16, 0
	s_mov_b64 s[14:15], 0
	v_mov_b32_e32 v17, 0
	s_mov_b64 s[16:17], 0
	s_mov_b64 s[18:19], 0
.LBB0_22:                               ;   Parent Loop BB0_3 Depth=1
                                        ; =>  This Inner Loop Header: Depth=2
	v_mov_b32_e32 v0, s19
	v_add_co_u32_e32 v18, vcc, s18, v6
	v_addc_co_u32_e32 v19, vcc, v7, v0, vcc
	global_load_ubyte v0, v[18:19], off
	s_add_u32 s18, s18, 1
	v_mov_b32_e32 v19, s20
	s_addc_u32 s19, s19, 0
	v_cmp_eq_u32_e32 vcc, s18, v2
	s_waitcnt vmcnt(0)
	v_and_b32_e32 v18, 0xffff, v0
	v_lshlrev_b64 v[18:19], s16, v[18:19]
	s_add_u32 s16, s16, 8
	s_addc_u32 s17, s17, 0
	v_or_b32_e32 v17, v19, v17
	s_or_b64 s[14:15], vcc, s[14:15]
	v_or_b32_e32 v16, v18, v16
	s_andn2_b64 exec, exec, s[14:15]
	s_cbranch_execnz .LBB0_22
; %bb.23:                               ;   in Loop: Header=BB0_3 Depth=1
	s_or_b64 exec, exec, s[14:15]
.LBB0_24:                               ;   in Loop: Header=BB0_3 Depth=1
	s_or_b64 exec, exec, s[12:13]
	v_mov_b32_e32 v21, v7
	v_mov_b32_e32 v20, v6
                                        ; implicit-def: $vgpr2
.LBB0_25:                               ;   in Loop: Header=BB0_3 Depth=1
	s_or_saveexec_b64 s[4:5], s[4:5]
	v_mov_b32_e32 v0, 0
	s_xor_b64 exec, exec, s[4:5]
	s_cbranch_execz .LBB0_27
; %bb.26:                               ;   in Loop: Header=BB0_3 Depth=1
	global_load_dwordx2 v[16:17], v[6:7], off
	v_add_u32_e32 v0, -8, v2
.LBB0_27:                               ;   in Loop: Header=BB0_3 Depth=1
	s_or_b64 exec, exec, s[4:5]
	v_add_co_u32_e64 v6, s[4:5], 8, v20
	v_cmp_gt_u32_e32 vcc, 8, v0
	v_addc_co_u32_e64 v7, s[4:5], 0, v21, s[4:5]
                                        ; implicit-def: $vgpr18_vgpr19
	s_and_saveexec_b64 s[4:5], vcc
	s_xor_b64 s[4:5], exec, s[4:5]
	s_cbranch_execz .LBB0_33
; %bb.28:                               ;   in Loop: Header=BB0_3 Depth=1
	v_mov_b32_e32 v18, 0
	v_mov_b32_e32 v19, 0
	v_cmp_ne_u32_e32 vcc, 0, v0
	s_and_saveexec_b64 s[12:13], vcc
	s_cbranch_execz .LBB0_32
; %bb.29:                               ;   in Loop: Header=BB0_3 Depth=1
	v_mov_b32_e32 v18, 0
	s_mov_b64 s[14:15], 0
	v_mov_b32_e32 v19, 0
	s_mov_b64 s[16:17], 0
	s_mov_b64 s[18:19], 0
.LBB0_30:                               ;   Parent Loop BB0_3 Depth=1
                                        ; =>  This Inner Loop Header: Depth=2
	v_mov_b32_e32 v2, s19
	v_add_co_u32_e32 v6, vcc, s18, v20
	v_addc_co_u32_e32 v7, vcc, v21, v2, vcc
	global_load_ubyte v2, v[6:7], off
	s_add_u32 s18, s18, 1
	v_mov_b32_e32 v7, s20
	s_addc_u32 s19, s19, 0
	v_cmp_eq_u32_e32 vcc, s18, v0
	s_waitcnt vmcnt(0)
	v_and_b32_e32 v6, 0xffff, v2
	v_lshlrev_b64 v[6:7], s16, v[6:7]
	s_add_u32 s16, s16, 8
	s_addc_u32 s17, s17, 0
	v_or_b32_e32 v19, v7, v19
	s_or_b64 s[14:15], vcc, s[14:15]
	v_or_b32_e32 v18, v6, v18
	s_andn2_b64 exec, exec, s[14:15]
	s_cbranch_execnz .LBB0_30
; %bb.31:                               ;   in Loop: Header=BB0_3 Depth=1
	s_or_b64 exec, exec, s[14:15]
.LBB0_32:                               ;   in Loop: Header=BB0_3 Depth=1
	s_or_b64 exec, exec, s[12:13]
	v_mov_b32_e32 v6, v20
	v_mov_b32_e32 v7, v21
                                        ; implicit-def: $vgpr0
.LBB0_33:                               ;   in Loop: Header=BB0_3 Depth=1
	s_or_saveexec_b64 s[4:5], s[4:5]
	v_mov_b32_e32 v2, 0
	s_xor_b64 exec, exec, s[4:5]
	s_cbranch_execz .LBB0_35
; %bb.34:                               ;   in Loop: Header=BB0_3 Depth=1
	global_load_dwordx2 v[18:19], v[20:21], off
	v_add_u32_e32 v2, -8, v0
.LBB0_35:                               ;   in Loop: Header=BB0_3 Depth=1
	s_or_b64 exec, exec, s[4:5]
	v_add_co_u32_e64 v24, s[4:5], 8, v6
	v_cmp_gt_u32_e32 vcc, 8, v2
	v_addc_co_u32_e64 v25, s[4:5], 0, v7, s[4:5]
	s_and_saveexec_b64 s[4:5], vcc
	s_xor_b64 s[4:5], exec, s[4:5]
	s_cbranch_execz .LBB0_41
; %bb.36:                               ;   in Loop: Header=BB0_3 Depth=1
	v_mov_b32_e32 v20, 0
	v_mov_b32_e32 v21, 0
	v_cmp_ne_u32_e32 vcc, 0, v2
	s_and_saveexec_b64 s[12:13], vcc
	s_cbranch_execz .LBB0_40
; %bb.37:                               ;   in Loop: Header=BB0_3 Depth=1
	v_mov_b32_e32 v20, 0
	s_mov_b64 s[14:15], 0
	v_mov_b32_e32 v21, 0
	s_mov_b64 s[16:17], 0
	s_mov_b64 s[18:19], 0
.LBB0_38:                               ;   Parent Loop BB0_3 Depth=1
                                        ; =>  This Inner Loop Header: Depth=2
	v_mov_b32_e32 v0, s19
	v_add_co_u32_e32 v22, vcc, s18, v6
	v_addc_co_u32_e32 v23, vcc, v7, v0, vcc
	global_load_ubyte v0, v[22:23], off
	s_add_u32 s18, s18, 1
	v_mov_b32_e32 v23, s20
	s_addc_u32 s19, s19, 0
	v_cmp_eq_u32_e32 vcc, s18, v2
	s_waitcnt vmcnt(0)
	v_and_b32_e32 v22, 0xffff, v0
	v_lshlrev_b64 v[22:23], s16, v[22:23]
	s_add_u32 s16, s16, 8
	s_addc_u32 s17, s17, 0
	v_or_b32_e32 v21, v23, v21
	s_or_b64 s[14:15], vcc, s[14:15]
	v_or_b32_e32 v20, v22, v20
	s_andn2_b64 exec, exec, s[14:15]
	s_cbranch_execnz .LBB0_38
; %bb.39:                               ;   in Loop: Header=BB0_3 Depth=1
	s_or_b64 exec, exec, s[14:15]
.LBB0_40:                               ;   in Loop: Header=BB0_3 Depth=1
	s_or_b64 exec, exec, s[12:13]
	v_mov_b32_e32 v25, v7
	v_mov_b32_e32 v24, v6
                                        ; implicit-def: $vgpr2
.LBB0_41:                               ;   in Loop: Header=BB0_3 Depth=1
	s_or_saveexec_b64 s[4:5], s[4:5]
	v_mov_b32_e32 v0, 0
	s_xor_b64 exec, exec, s[4:5]
	s_cbranch_execz .LBB0_43
; %bb.42:                               ;   in Loop: Header=BB0_3 Depth=1
	global_load_dwordx2 v[20:21], v[6:7], off
	v_add_u32_e32 v0, -8, v2
.LBB0_43:                               ;   in Loop: Header=BB0_3 Depth=1
	s_or_b64 exec, exec, s[4:5]
	v_add_co_u32_e64 v6, s[4:5], 8, v24
	v_cmp_gt_u32_e32 vcc, 8, v0
	v_addc_co_u32_e64 v7, s[4:5], 0, v25, s[4:5]
                                        ; implicit-def: $vgpr22_vgpr23
	s_and_saveexec_b64 s[4:5], vcc
	s_xor_b64 s[4:5], exec, s[4:5]
	s_cbranch_execz .LBB0_49
; %bb.44:                               ;   in Loop: Header=BB0_3 Depth=1
	v_mov_b32_e32 v22, 0
	v_mov_b32_e32 v23, 0
	v_cmp_ne_u32_e32 vcc, 0, v0
	s_and_saveexec_b64 s[12:13], vcc
	s_cbranch_execz .LBB0_48
; %bb.45:                               ;   in Loop: Header=BB0_3 Depth=1
	v_mov_b32_e32 v22, 0
	s_mov_b64 s[14:15], 0
	v_mov_b32_e32 v23, 0
	s_mov_b64 s[16:17], 0
	s_mov_b64 s[18:19], 0
.LBB0_46:                               ;   Parent Loop BB0_3 Depth=1
                                        ; =>  This Inner Loop Header: Depth=2
	v_mov_b32_e32 v2, s19
	v_add_co_u32_e32 v6, vcc, s18, v24
	v_addc_co_u32_e32 v7, vcc, v25, v2, vcc
	global_load_ubyte v2, v[6:7], off
	s_add_u32 s18, s18, 1
	v_mov_b32_e32 v7, s20
	s_addc_u32 s19, s19, 0
	v_cmp_eq_u32_e32 vcc, s18, v0
	s_waitcnt vmcnt(0)
	v_and_b32_e32 v6, 0xffff, v2
	v_lshlrev_b64 v[6:7], s16, v[6:7]
	s_add_u32 s16, s16, 8
	s_addc_u32 s17, s17, 0
	v_or_b32_e32 v23, v7, v23
	s_or_b64 s[14:15], vcc, s[14:15]
	v_or_b32_e32 v22, v6, v22
	s_andn2_b64 exec, exec, s[14:15]
	s_cbranch_execnz .LBB0_46
; %bb.47:                               ;   in Loop: Header=BB0_3 Depth=1
	s_or_b64 exec, exec, s[14:15]
.LBB0_48:                               ;   in Loop: Header=BB0_3 Depth=1
	s_or_b64 exec, exec, s[12:13]
	v_mov_b32_e32 v6, v24
	v_mov_b32_e32 v7, v25
                                        ; implicit-def: $vgpr0
.LBB0_49:                               ;   in Loop: Header=BB0_3 Depth=1
	s_or_saveexec_b64 s[4:5], s[4:5]
	v_mov_b32_e32 v2, 0
	s_xor_b64 exec, exec, s[4:5]
	s_cbranch_execz .LBB0_51
; %bb.50:                               ;   in Loop: Header=BB0_3 Depth=1
	global_load_dwordx2 v[22:23], v[24:25], off
	v_add_u32_e32 v2, -8, v0
.LBB0_51:                               ;   in Loop: Header=BB0_3 Depth=1
	s_or_b64 exec, exec, s[4:5]
	v_cmp_gt_u32_e32 vcc, 8, v2
	s_and_saveexec_b64 s[4:5], vcc
	s_xor_b64 s[4:5], exec, s[4:5]
	s_cbranch_execz .LBB0_57
; %bb.52:                               ;   in Loop: Header=BB0_3 Depth=1
	v_mov_b32_e32 v24, 0
	v_mov_b32_e32 v25, 0
	v_cmp_ne_u32_e32 vcc, 0, v2
	s_and_saveexec_b64 s[12:13], vcc
	s_cbranch_execz .LBB0_56
; %bb.53:                               ;   in Loop: Header=BB0_3 Depth=1
	v_mov_b32_e32 v24, 0
	s_mov_b64 s[14:15], 0
	v_mov_b32_e32 v25, 0
	s_mov_b64 s[16:17], 0
.LBB0_54:                               ;   Parent Loop BB0_3 Depth=1
                                        ; =>  This Inner Loop Header: Depth=2
	global_load_ubyte v0, v[6:7], off
	v_mov_b32_e32 v27, s20
	v_add_co_u32_e32 v6, vcc, 1, v6
	v_add_u32_e32 v2, -1, v2
	v_addc_co_u32_e32 v7, vcc, 0, v7, vcc
	v_cmp_eq_u32_e32 vcc, 0, v2
	s_waitcnt vmcnt(0)
	v_and_b32_e32 v26, 0xffff, v0
	v_lshlrev_b64 v[26:27], s16, v[26:27]
	s_add_u32 s16, s16, 8
	s_addc_u32 s17, s17, 0
	v_or_b32_e32 v25, v27, v25
	s_or_b64 s[14:15], vcc, s[14:15]
	v_or_b32_e32 v24, v26, v24
	s_andn2_b64 exec, exec, s[14:15]
	s_cbranch_execnz .LBB0_54
; %bb.55:                               ;   in Loop: Header=BB0_3 Depth=1
	s_or_b64 exec, exec, s[14:15]
.LBB0_56:                               ;   in Loop: Header=BB0_3 Depth=1
	s_or_b64 exec, exec, s[12:13]
                                        ; implicit-def: $vgpr6_vgpr7
.LBB0_57:                               ;   in Loop: Header=BB0_3 Depth=1
	s_andn2_saveexec_b64 s[4:5], s[4:5]
	s_cbranch_execz .LBB0_59
; %bb.58:                               ;   in Loop: Header=BB0_3 Depth=1
	global_load_dwordx2 v[24:25], v[6:7], off
.LBB0_59:                               ;   in Loop: Header=BB0_3 Depth=1
	s_or_b64 exec, exec, s[4:5]
	v_readfirstlane_b32 s4, v39
	v_mov_b32_e32 v6, 0
	v_mov_b32_e32 v7, 0
	v_cmp_eq_u32_e64 s[4:5], s4, v39
	s_and_saveexec_b64 s[12:13], s[4:5]
	s_cbranch_execz .LBB0_65
; %bb.60:                               ;   in Loop: Header=BB0_3 Depth=1
	s_waitcnt lgkmcnt(0)
	global_load_dwordx2 v[28:29], v3, s[10:11] offset:24 glc
	s_waitcnt vmcnt(0)
	buffer_wbinvl1_vol
	global_load_dwordx2 v[6:7], v3, s[10:11] offset:40
	global_load_dwordx2 v[26:27], v3, s[10:11]
	s_waitcnt vmcnt(1)
	v_and_b32_e32 v0, v6, v28
	v_and_b32_e32 v2, v7, v29
	v_mul_lo_u32 v2, v2, 24
	v_mul_hi_u32 v6, v0, 24
	v_mul_lo_u32 v0, v0, 24
	v_add_u32_e32 v2, v6, v2
	s_waitcnt vmcnt(0)
	v_add_co_u32_e32 v6, vcc, v26, v0
	v_addc_co_u32_e32 v7, vcc, v27, v2, vcc
	global_load_dwordx2 v[26:27], v[6:7], off glc
	s_waitcnt vmcnt(0)
	global_atomic_cmpswap_x2 v[6:7], v3, v[26:29], s[10:11] offset:24 glc
	s_waitcnt vmcnt(0)
	buffer_wbinvl1_vol
	v_cmp_ne_u64_e32 vcc, v[6:7], v[28:29]
	s_and_saveexec_b64 s[14:15], vcc
	s_cbranch_execz .LBB0_64
; %bb.61:                               ;   in Loop: Header=BB0_3 Depth=1
	s_mov_b64 s[16:17], 0
.LBB0_62:                               ;   Parent Loop BB0_3 Depth=1
                                        ; =>  This Inner Loop Header: Depth=2
	s_sleep 1
	global_load_dwordx2 v[26:27], v3, s[10:11] offset:40
	global_load_dwordx2 v[34:35], v3, s[10:11]
	v_mov_b32_e32 v29, v7
	v_mov_b32_e32 v28, v6
	s_waitcnt vmcnt(1)
	v_and_b32_e32 v0, v26, v28
	s_waitcnt vmcnt(0)
	v_mad_u64_u32 v[6:7], s[18:19], v0, 24, v[34:35]
	v_and_b32_e32 v2, v27, v29
	v_mov_b32_e32 v0, v7
	v_mad_u64_u32 v[26:27], s[18:19], v2, 24, v[0:1]
	v_mov_b32_e32 v7, v26
	global_load_dwordx2 v[26:27], v[6:7], off glc
	s_waitcnt vmcnt(0)
	global_atomic_cmpswap_x2 v[6:7], v3, v[26:29], s[10:11] offset:24 glc
	s_waitcnt vmcnt(0)
	buffer_wbinvl1_vol
	v_cmp_eq_u64_e32 vcc, v[6:7], v[28:29]
	s_or_b64 s[16:17], vcc, s[16:17]
	s_andn2_b64 exec, exec, s[16:17]
	s_cbranch_execnz .LBB0_62
; %bb.63:                               ;   in Loop: Header=BB0_3 Depth=1
	s_or_b64 exec, exec, s[16:17]
.LBB0_64:                               ;   in Loop: Header=BB0_3 Depth=1
	s_or_b64 exec, exec, s[14:15]
.LBB0_65:                               ;   in Loop: Header=BB0_3 Depth=1
	s_or_b64 exec, exec, s[12:13]
	s_waitcnt lgkmcnt(0)
	global_load_dwordx2 v[34:35], v3, s[10:11] offset:40
	global_load_dwordx4 v[26:29], v3, s[10:11]
	v_readfirstlane_b32 s13, v7
	v_readfirstlane_b32 s12, v6
	s_mov_b64 s[14:15], exec
	s_waitcnt vmcnt(1)
	v_readfirstlane_b32 s16, v34
	v_readfirstlane_b32 s17, v35
	s_and_b64 s[16:17], s[16:17], s[12:13]
	s_mul_i32 s18, s17, 24
	s_mul_hi_u32 s19, s16, 24
	s_mul_i32 s22, s16, 24
	s_add_i32 s18, s19, s18
	v_mov_b32_e32 v0, s18
	s_waitcnt vmcnt(0)
	v_add_co_u32_e32 v34, vcc, s22, v26
	v_addc_co_u32_e32 v35, vcc, v27, v0, vcc
	s_and_saveexec_b64 s[18:19], s[4:5]
	s_cbranch_execz .LBB0_67
; %bb.66:                               ;   in Loop: Header=BB0_3 Depth=1
	v_mov_b32_e32 v6, s14
	v_mov_b32_e32 v7, s15
	global_store_dwordx4 v[34:35], v[6:9], off offset:8
.LBB0_67:                               ;   in Loop: Header=BB0_3 Depth=1
	s_or_b64 exec, exec, s[18:19]
	s_lshl_b64 s[14:15], s[16:17], 12
	v_mov_b32_e32 v2, s15
	v_add_co_u32_e32 v0, vcc, s14, v28
	v_addc_co_u32_e32 v28, vcc, v29, v2, vcc
	v_cmp_gt_u64_e32 vcc, 57, v[4:5]
	v_and_b32_e32 v7, 0xffffff1f, v10
	v_cndmask_b32_e32 v2, 0, v38, vcc
	v_lshl_add_u32 v6, v32, 2, 28
	v_or_b32_e32 v2, v7, v2
	v_and_or_b32 v10, v6, s21, v2
	v_lshlrev_b32_e32 v29, 6, v39
	v_readfirstlane_b32 s14, v0
	v_readfirstlane_b32 s15, v28
	s_nop 4
	global_store_dwordx4 v29, v[10:13], s[14:15]
	global_store_dwordx4 v29, v[14:17], s[14:15] offset:16
	global_store_dwordx4 v29, v[18:21], s[14:15] offset:32
	;; [unrolled: 1-line block ×3, first 2 shown]
	s_and_saveexec_b64 s[14:15], s[4:5]
	s_cbranch_execz .LBB0_75
; %bb.68:                               ;   in Loop: Header=BB0_3 Depth=1
	global_load_dwordx2 v[14:15], v3, s[10:11] offset:32 glc
	global_load_dwordx2 v[6:7], v3, s[10:11] offset:40
	v_mov_b32_e32 v12, s12
	v_mov_b32_e32 v13, s13
	s_waitcnt vmcnt(0)
	v_readfirstlane_b32 s16, v6
	v_readfirstlane_b32 s17, v7
	s_and_b64 s[16:17], s[16:17], s[12:13]
	s_mul_i32 s17, s17, 24
	s_mul_hi_u32 s18, s16, 24
	s_mul_i32 s16, s16, 24
	s_add_i32 s17, s18, s17
	v_mov_b32_e32 v2, s17
	v_add_co_u32_e32 v6, vcc, s16, v26
	v_addc_co_u32_e32 v7, vcc, v27, v2, vcc
	global_store_dwordx2 v[6:7], v[14:15], off
	s_waitcnt vmcnt(0)
	global_atomic_cmpswap_x2 v[12:13], v3, v[12:15], s[10:11] offset:32 glc
	s_waitcnt vmcnt(0)
	v_cmp_ne_u64_e32 vcc, v[12:13], v[14:15]
	s_and_saveexec_b64 s[16:17], vcc
	s_cbranch_execz .LBB0_71
; %bb.69:                               ;   in Loop: Header=BB0_3 Depth=1
	s_mov_b64 s[18:19], 0
.LBB0_70:                               ;   Parent Loop BB0_3 Depth=1
                                        ; =>  This Inner Loop Header: Depth=2
	s_sleep 1
	global_store_dwordx2 v[6:7], v[12:13], off
	v_mov_b32_e32 v10, s12
	v_mov_b32_e32 v11, s13
	s_waitcnt vmcnt(0)
	global_atomic_cmpswap_x2 v[10:11], v3, v[10:13], s[10:11] offset:32 glc
	s_waitcnt vmcnt(0)
	v_cmp_eq_u64_e32 vcc, v[10:11], v[12:13]
	v_mov_b32_e32 v13, v11
	s_or_b64 s[18:19], vcc, s[18:19]
	v_mov_b32_e32 v12, v10
	s_andn2_b64 exec, exec, s[18:19]
	s_cbranch_execnz .LBB0_70
.LBB0_71:                               ;   in Loop: Header=BB0_3 Depth=1
	s_or_b64 exec, exec, s[16:17]
	global_load_dwordx2 v[6:7], v3, s[10:11] offset:16
	s_mov_b64 s[18:19], exec
	v_mbcnt_lo_u32_b32 v2, s18, 0
	v_mbcnt_hi_u32_b32 v2, s19, v2
	v_cmp_eq_u32_e32 vcc, 0, v2
	s_and_saveexec_b64 s[16:17], vcc
	s_cbranch_execz .LBB0_73
; %bb.72:                               ;   in Loop: Header=BB0_3 Depth=1
	s_bcnt1_i32_b64 s18, s[18:19]
	v_mov_b32_e32 v2, s18
	s_waitcnt vmcnt(0)
	global_atomic_add_x2 v[6:7], v[2:3], off offset:8
.LBB0_73:                               ;   in Loop: Header=BB0_3 Depth=1
	s_or_b64 exec, exec, s[16:17]
	s_waitcnt vmcnt(0)
	global_load_dwordx2 v[10:11], v[6:7], off offset:16
	s_waitcnt vmcnt(0)
	v_cmp_eq_u64_e32 vcc, 0, v[10:11]
	s_cbranch_vccnz .LBB0_75
; %bb.74:                               ;   in Loop: Header=BB0_3 Depth=1
	global_load_dword v2, v[6:7], off offset:24
	s_waitcnt vmcnt(0)
	v_readfirstlane_b32 s16, v2
	s_and_b32 m0, s16, 0xffffff
	global_store_dwordx2 v[10:11], v[2:3], off
	s_sendmsg sendmsg(MSG_INTERRUPT)
.LBB0_75:                               ;   in Loop: Header=BB0_3 Depth=1
	s_or_b64 exec, exec, s[14:15]
	v_add_co_u32_e32 v6, vcc, v0, v29
	v_addc_co_u32_e32 v7, vcc, 0, v28, vcc
	s_branch .LBB0_79
.LBB0_76:                               ;   in Loop: Header=BB0_79 Depth=2
	s_or_b64 exec, exec, s[14:15]
	v_readfirstlane_b32 s14, v0
	s_cmp_eq_u32 s14, 0
	s_cbranch_scc1 .LBB0_78
; %bb.77:                               ;   in Loop: Header=BB0_79 Depth=2
	s_sleep 1
	s_cbranch_execnz .LBB0_79
	s_branch .LBB0_81
.LBB0_78:                               ;   in Loop: Header=BB0_3 Depth=1
	s_branch .LBB0_81
.LBB0_79:                               ;   Parent Loop BB0_3 Depth=1
                                        ; =>  This Inner Loop Header: Depth=2
	v_mov_b32_e32 v0, 1
	s_and_saveexec_b64 s[14:15], s[4:5]
	s_cbranch_execz .LBB0_76
; %bb.80:                               ;   in Loop: Header=BB0_79 Depth=2
	global_load_dword v0, v[34:35], off offset:20 glc
	s_waitcnt vmcnt(0)
	buffer_wbinvl1_vol
	v_and_b32_e32 v0, 1, v0
	s_branch .LBB0_76
.LBB0_81:                               ;   in Loop: Header=BB0_3 Depth=1
	global_load_dwordx4 v[10:13], v[6:7], off
	s_and_saveexec_b64 s[14:15], s[4:5]
	s_cbranch_execz .LBB0_2
; %bb.82:                               ;   in Loop: Header=BB0_3 Depth=1
	global_load_dwordx2 v[6:7], v3, s[10:11] offset:40
	global_load_dwordx2 v[16:17], v3, s[10:11] offset:24 glc
	global_load_dwordx2 v[12:13], v3, s[10:11]
	s_waitcnt vmcnt(2)
	v_readfirstlane_b32 s16, v6
	v_readfirstlane_b32 s17, v7
	s_add_u32 s18, s16, 1
	s_addc_u32 s19, s17, 0
	s_add_u32 s4, s18, s12
	s_addc_u32 s5, s19, s13
	s_cmp_eq_u64 s[4:5], 0
	s_cselect_b32 s5, s19, s5
	s_cselect_b32 s4, s18, s4
	s_and_b64 s[12:13], s[4:5], s[16:17]
	s_mul_i32 s13, s13, 24
	s_mul_hi_u32 s16, s12, 24
	s_mul_i32 s12, s12, 24
	s_add_i32 s13, s16, s13
	v_mov_b32_e32 v0, s13
	s_waitcnt vmcnt(0)
	v_add_co_u32_e32 v6, vcc, s12, v12
	v_addc_co_u32_e32 v7, vcc, v13, v0, vcc
	v_mov_b32_e32 v14, s4
	global_store_dwordx2 v[6:7], v[16:17], off
	v_mov_b32_e32 v15, s5
	s_waitcnt vmcnt(0)
	global_atomic_cmpswap_x2 v[14:15], v3, v[14:17], s[10:11] offset:24 glc
	s_waitcnt vmcnt(0)
	v_cmp_ne_u64_e32 vcc, v[14:15], v[16:17]
	s_and_b64 exec, exec, vcc
	s_cbranch_execz .LBB0_2
; %bb.83:                               ;   in Loop: Header=BB0_3 Depth=1
	s_mov_b64 s[12:13], 0
.LBB0_84:                               ;   Parent Loop BB0_3 Depth=1
                                        ; =>  This Inner Loop Header: Depth=2
	s_sleep 1
	global_store_dwordx2 v[6:7], v[14:15], off
	v_mov_b32_e32 v12, s4
	v_mov_b32_e32 v13, s5
	s_waitcnt vmcnt(0)
	global_atomic_cmpswap_x2 v[12:13], v3, v[12:15], s[10:11] offset:24 glc
	s_waitcnt vmcnt(0)
	v_cmp_eq_u64_e32 vcc, v[12:13], v[14:15]
	v_mov_b32_e32 v15, v13
	s_or_b64 s[12:13], vcc, s[12:13]
	v_mov_b32_e32 v14, v12
	s_andn2_b64 exec, exec, s[12:13]
	s_cbranch_execnz .LBB0_84
	s_branch .LBB0_2
.LBB0_85:
	s_or_b64 exec, exec, s[6:7]
	s_branch .LBB0_113
.LBB0_86:
	s_load_dwordx2 s[6:7], s[8:9], 0x50
	v_mbcnt_hi_u32_b32 v3, -1, v37
	v_readfirstlane_b32 s4, v3
	v_mov_b32_e32 v8, 0
	v_mov_b32_e32 v9, 0
	v_cmp_eq_u32_e64 s[4:5], s4, v3
	s_and_saveexec_b64 s[8:9], s[4:5]
	s_cbranch_execz .LBB0_92
; %bb.87:
	v_mov_b32_e32 v0, 0
	s_waitcnt lgkmcnt(0)
	global_load_dwordx2 v[6:7], v0, s[6:7] offset:24 glc
	s_waitcnt vmcnt(0)
	buffer_wbinvl1_vol
	global_load_dwordx2 v[4:5], v0, s[6:7] offset:40
	global_load_dwordx2 v[8:9], v0, s[6:7]
	s_waitcnt vmcnt(1)
	v_and_b32_e32 v2, v4, v6
	v_and_b32_e32 v4, v5, v7
	v_mul_lo_u32 v4, v4, 24
	v_mul_hi_u32 v5, v2, 24
	v_mul_lo_u32 v2, v2, 24
	v_add_u32_e32 v5, v5, v4
	s_waitcnt vmcnt(0)
	v_add_co_u32_e32 v4, vcc, v8, v2
	v_addc_co_u32_e32 v5, vcc, v9, v5, vcc
	global_load_dwordx2 v[4:5], v[4:5], off glc
	s_waitcnt vmcnt(0)
	global_atomic_cmpswap_x2 v[8:9], v0, v[4:7], s[6:7] offset:24 glc
	s_waitcnt vmcnt(0)
	buffer_wbinvl1_vol
	v_cmp_ne_u64_e32 vcc, v[8:9], v[6:7]
	s_and_saveexec_b64 s[10:11], vcc
	s_cbranch_execz .LBB0_91
; %bb.88:
	s_mov_b64 s[12:13], 0
.LBB0_89:                               ; =>This Inner Loop Header: Depth=1
	s_sleep 1
	global_load_dwordx2 v[4:5], v0, s[6:7] offset:40
	global_load_dwordx2 v[10:11], v0, s[6:7]
	v_mov_b32_e32 v6, v8
	v_mov_b32_e32 v7, v9
	s_waitcnt vmcnt(1)
	v_and_b32_e32 v2, v4, v6
	s_waitcnt vmcnt(0)
	v_mad_u64_u32 v[8:9], s[14:15], v2, 24, v[10:11]
	v_and_b32_e32 v4, v5, v7
	v_mov_b32_e32 v2, v9
	v_mad_u64_u32 v[4:5], s[14:15], v4, 24, v[2:3]
	v_mov_b32_e32 v9, v4
	global_load_dwordx2 v[4:5], v[8:9], off glc
	s_waitcnt vmcnt(0)
	global_atomic_cmpswap_x2 v[8:9], v0, v[4:7], s[6:7] offset:24 glc
	s_waitcnt vmcnt(0)
	buffer_wbinvl1_vol
	v_cmp_eq_u64_e32 vcc, v[8:9], v[6:7]
	s_or_b64 s[12:13], vcc, s[12:13]
	s_andn2_b64 exec, exec, s[12:13]
	s_cbranch_execnz .LBB0_89
; %bb.90:
	s_or_b64 exec, exec, s[12:13]
.LBB0_91:
	s_or_b64 exec, exec, s[10:11]
.LBB0_92:
	s_or_b64 exec, exec, s[8:9]
	v_mov_b32_e32 v2, 0
	s_waitcnt lgkmcnt(0)
	global_load_dwordx2 v[10:11], v2, s[6:7] offset:40
	global_load_dwordx4 v[4:7], v2, s[6:7]
	v_readfirstlane_b32 s9, v9
	v_readfirstlane_b32 s8, v8
	s_mov_b64 s[10:11], exec
	s_waitcnt vmcnt(1)
	v_readfirstlane_b32 s12, v10
	v_readfirstlane_b32 s13, v11
	s_and_b64 s[12:13], s[12:13], s[8:9]
	s_mul_i32 s14, s13, 24
	s_mul_hi_u32 s15, s12, 24
	s_mul_i32 s16, s12, 24
	s_add_i32 s14, s15, s14
	v_mov_b32_e32 v0, s14
	s_waitcnt vmcnt(0)
	v_add_co_u32_e32 v8, vcc, s16, v4
	v_addc_co_u32_e32 v9, vcc, v5, v0, vcc
	s_and_saveexec_b64 s[14:15], s[4:5]
	s_cbranch_execz .LBB0_94
; %bb.93:
	v_mov_b32_e32 v10, s10
	v_mov_b32_e32 v11, s11
	;; [unrolled: 1-line block ×4, first 2 shown]
	global_store_dwordx4 v[8:9], v[10:13], off offset:8
.LBB0_94:
	s_or_b64 exec, exec, s[14:15]
	s_lshl_b64 s[10:11], s[12:13], 12
	v_mov_b32_e32 v0, s11
	v_add_co_u32_e32 v6, vcc, s10, v6
	v_addc_co_u32_e32 v7, vcc, v7, v0, vcc
	s_movk_i32 s10, 0xff1f
	v_and_or_b32 v0, v36, s10, 32
	v_lshlrev_b32_e32 v10, 6, v3
	s_mov_b32 s12, 0
	v_mov_b32_e32 v3, v2
	v_readfirstlane_b32 s10, v6
	v_readfirstlane_b32 s11, v7
	s_mov_b32 s13, s12
	s_mov_b32 s14, s12
	;; [unrolled: 1-line block ×3, first 2 shown]
	s_nop 1
	global_store_dwordx4 v10, v[0:3], s[10:11]
	s_nop 0
	v_mov_b32_e32 v0, s12
	v_mov_b32_e32 v1, s13
	;; [unrolled: 1-line block ×4, first 2 shown]
	global_store_dwordx4 v10, v[0:3], s[10:11] offset:16
	global_store_dwordx4 v10, v[0:3], s[10:11] offset:32
	;; [unrolled: 1-line block ×3, first 2 shown]
	s_and_saveexec_b64 s[10:11], s[4:5]
	s_cbranch_execz .LBB0_102
; %bb.95:
	v_mov_b32_e32 v6, 0
	global_load_dwordx2 v[12:13], v6, s[6:7] offset:32 glc
	global_load_dwordx2 v[0:1], v6, s[6:7] offset:40
	v_mov_b32_e32 v10, s8
	v_mov_b32_e32 v11, s9
	s_waitcnt vmcnt(0)
	v_and_b32_e32 v0, s8, v0
	v_and_b32_e32 v1, s9, v1
	v_mul_lo_u32 v1, v1, 24
	v_mul_hi_u32 v2, v0, 24
	v_mul_lo_u32 v0, v0, 24
	v_add_u32_e32 v1, v2, v1
	v_add_co_u32_e32 v4, vcc, v4, v0
	v_addc_co_u32_e32 v5, vcc, v5, v1, vcc
	global_store_dwordx2 v[4:5], v[12:13], off
	s_waitcnt vmcnt(0)
	global_atomic_cmpswap_x2 v[2:3], v6, v[10:13], s[6:7] offset:32 glc
	s_waitcnt vmcnt(0)
	v_cmp_ne_u64_e32 vcc, v[2:3], v[12:13]
	s_and_saveexec_b64 s[12:13], vcc
	s_cbranch_execz .LBB0_98
; %bb.96:
	s_mov_b64 s[14:15], 0
.LBB0_97:                               ; =>This Inner Loop Header: Depth=1
	s_sleep 1
	global_store_dwordx2 v[4:5], v[2:3], off
	v_mov_b32_e32 v0, s8
	v_mov_b32_e32 v1, s9
	s_waitcnt vmcnt(0)
	global_atomic_cmpswap_x2 v[0:1], v6, v[0:3], s[6:7] offset:32 glc
	s_waitcnt vmcnt(0)
	v_cmp_eq_u64_e32 vcc, v[0:1], v[2:3]
	v_mov_b32_e32 v3, v1
	s_or_b64 s[14:15], vcc, s[14:15]
	v_mov_b32_e32 v2, v0
	s_andn2_b64 exec, exec, s[14:15]
	s_cbranch_execnz .LBB0_97
.LBB0_98:
	s_or_b64 exec, exec, s[12:13]
	v_mov_b32_e32 v3, 0
	global_load_dwordx2 v[0:1], v3, s[6:7] offset:16
	s_mov_b64 s[12:13], exec
	v_mbcnt_lo_u32_b32 v2, s12, 0
	v_mbcnt_hi_u32_b32 v2, s13, v2
	v_cmp_eq_u32_e32 vcc, 0, v2
	s_and_saveexec_b64 s[14:15], vcc
	s_cbranch_execz .LBB0_100
; %bb.99:
	s_bcnt1_i32_b64 s12, s[12:13]
	v_mov_b32_e32 v2, s12
	s_waitcnt vmcnt(0)
	global_atomic_add_x2 v[0:1], v[2:3], off offset:8
.LBB0_100:
	s_or_b64 exec, exec, s[14:15]
	s_waitcnt vmcnt(0)
	global_load_dwordx2 v[2:3], v[0:1], off offset:16
	s_waitcnt vmcnt(0)
	v_cmp_eq_u64_e32 vcc, 0, v[2:3]
	s_cbranch_vccnz .LBB0_102
; %bb.101:
	global_load_dword v0, v[0:1], off offset:24
	v_mov_b32_e32 v1, 0
	s_waitcnt vmcnt(0)
	v_readfirstlane_b32 s12, v0
	s_and_b32 m0, s12, 0xffffff
	global_store_dwordx2 v[2:3], v[0:1], off
	s_sendmsg sendmsg(MSG_INTERRUPT)
.LBB0_102:
	s_or_b64 exec, exec, s[10:11]
	s_branch .LBB0_106
.LBB0_103:                              ;   in Loop: Header=BB0_106 Depth=1
	s_or_b64 exec, exec, s[10:11]
	v_readfirstlane_b32 s10, v0
	s_cmp_eq_u32 s10, 0
	s_cbranch_scc1 .LBB0_105
; %bb.104:                              ;   in Loop: Header=BB0_106 Depth=1
	s_sleep 1
	s_cbranch_execnz .LBB0_106
	s_branch .LBB0_108
.LBB0_105:
	s_branch .LBB0_108
.LBB0_106:                              ; =>This Inner Loop Header: Depth=1
	v_mov_b32_e32 v0, 1
	s_and_saveexec_b64 s[10:11], s[4:5]
	s_cbranch_execz .LBB0_103
; %bb.107:                              ;   in Loop: Header=BB0_106 Depth=1
	global_load_dword v0, v[8:9], off offset:20 glc
	s_waitcnt vmcnt(0)
	buffer_wbinvl1_vol
	v_and_b32_e32 v0, 1, v0
	s_branch .LBB0_103
.LBB0_108:
	s_and_saveexec_b64 s[10:11], s[4:5]
	s_cbranch_execz .LBB0_111
; %bb.109:
	v_mov_b32_e32 v6, 0
	global_load_dwordx2 v[0:1], v6, s[6:7] offset:40
	global_load_dwordx2 v[9:10], v6, s[6:7] offset:24 glc
	global_load_dwordx2 v[2:3], v6, s[6:7]
	s_waitcnt vmcnt(2)
	v_readfirstlane_b32 s12, v0
	v_readfirstlane_b32 s13, v1
	s_add_u32 s14, s12, 1
	s_addc_u32 s15, s13, 0
	s_add_u32 s4, s14, s8
	s_addc_u32 s5, s15, s9
	s_cmp_eq_u64 s[4:5], 0
	s_cselect_b32 s5, s15, s5
	s_cselect_b32 s4, s14, s4
	s_and_b64 s[8:9], s[4:5], s[12:13]
	s_mul_i32 s9, s9, 24
	s_mul_hi_u32 s12, s8, 24
	s_mul_i32 s8, s8, 24
	s_add_i32 s9, s12, s9
	v_mov_b32_e32 v0, s9
	s_waitcnt vmcnt(0)
	v_add_co_u32_e32 v4, vcc, s8, v2
	v_addc_co_u32_e32 v5, vcc, v3, v0, vcc
	v_mov_b32_e32 v7, s4
	global_store_dwordx2 v[4:5], v[9:10], off
	v_mov_b32_e32 v8, s5
	s_waitcnt vmcnt(0)
	global_atomic_cmpswap_x2 v[2:3], v6, v[7:10], s[6:7] offset:24 glc
	s_mov_b64 s[8:9], 0
	s_waitcnt vmcnt(0)
	v_cmp_ne_u64_e32 vcc, v[2:3], v[9:10]
	s_and_b64 exec, exec, vcc
	s_cbranch_execz .LBB0_111
.LBB0_110:                              ; =>This Inner Loop Header: Depth=1
	s_sleep 1
	global_store_dwordx2 v[4:5], v[2:3], off
	v_mov_b32_e32 v0, s4
	v_mov_b32_e32 v1, s5
	s_waitcnt vmcnt(0)
	global_atomic_cmpswap_x2 v[0:1], v6, v[0:3], s[6:7] offset:24 glc
	s_waitcnt vmcnt(0)
	v_cmp_eq_u64_e32 vcc, v[0:1], v[2:3]
	v_mov_b32_e32 v3, v1
	s_or_b64 s[8:9], vcc, s[8:9]
	v_mov_b32_e32 v2, v0
	s_andn2_b64 exec, exec, s[8:9]
	s_cbranch_execnz .LBB0_110
.LBB0_111:
	s_or_b64 exec, exec, s[10:11]
	s_waitcnt vmcnt(0) lgkmcnt(0)
	s_setpc_b64 s[30:31]
.LBB0_112:
	s_cbranch_execnz .LBB0_86
.LBB0_113:
	s_waitcnt vmcnt(0) lgkmcnt(0)
	s_setpc_b64 s[30:31]
.Lfunc_end0:
	.size	__ockl_fprintf_append_string_n, .Lfunc_end0-__ockl_fprintf_append_string_n
                                        ; -- End function
	.set .L__ockl_fprintf_append_string_n.num_vgpr, 40
	.set .L__ockl_fprintf_append_string_n.num_agpr, 0
	.set .L__ockl_fprintf_append_string_n.numbered_sgpr, 32
	.set .L__ockl_fprintf_append_string_n.num_named_barrier, 0
	.set .L__ockl_fprintf_append_string_n.private_seg_size, 0
	.set .L__ockl_fprintf_append_string_n.uses_vcc, 1
	.set .L__ockl_fprintf_append_string_n.uses_flat_scratch, 0
	.set .L__ockl_fprintf_append_string_n.has_dyn_sized_stack, 0
	.set .L__ockl_fprintf_append_string_n.has_recursion, 0
	.set .L__ockl_fprintf_append_string_n.has_indirect_call, 0
	.section	.AMDGPU.csdata,"",@progbits
; Function info:
; codeLenInByte = 3900
; TotalNumSgprs: 36
; NumVgprs: 40
; ScratchSize: 0
; MemoryBound: 0
	.text
	.p2align	2                               ; -- Begin function __assert_fail
	.type	__assert_fail,@function
__assert_fail:                          ; @__assert_fail
; %bb.0:
	s_waitcnt vmcnt(0) expcnt(0) lgkmcnt(0)
	s_mov_b32 s25, s33
	s_mov_b32 s33, s32
	s_or_saveexec_b64 s[4:5], -1
	buffer_store_dword v40, off, s[0:3], s33 offset:48 ; 4-byte Folded Spill
	s_mov_b64 exec, s[4:5]
	v_writelane_b32 v40, s30, 0
	s_addk_i32 s32, 0x1000
	v_writelane_b32 v40, s31, 1
	v_mov_b32_e32 v8, 0
	s_getpc_b64 s[4:5]
	s_add_u32 s4, s4, __const.__assert_fail.fmt@rel32@lo+35
	s_addc_u32 s5, s5, __const.__assert_fail.fmt@rel32@hi+43
	v_mov_b32_e32 v5, v1
	v_mov_b32_e32 v4, v0
	global_load_dwordx4 v[0:3], v8, s[4:5]
	s_getpc_b64 s[16:17]
	s_add_u32 s16, s16, __const.__assert_fail.fmt@rel32@lo+4
	s_addc_u32 s17, s17, __const.__assert_fail.fmt@rel32@hi+12
	s_getpc_b64 s[18:19]
	s_add_u32 s18, s18, __const.__assert_fail.fmt@rel32@lo+20
	s_addc_u32 s19, s19, __const.__assert_fail.fmt@rel32@hi+28
	v_mbcnt_lo_u32_b32 v9, -1, 0
	s_load_dwordx4 s[4:7], s[16:17], 0x0
	s_load_dwordx4 s[12:15], s[18:19], 0x0
	s_load_dwordx2 s[10:11], s[8:9], 0x50
	v_mbcnt_hi_u32_b32 v34, -1, v9
	v_mov_b32_e32 v6, 0
	v_readfirstlane_b32 s16, v34
	v_mov_b32_e32 v7, 0
	s_waitcnt lgkmcnt(0)
	v_mov_b32_e32 v9, s7
	v_mov_b32_e32 v11, s5
	;; [unrolled: 1-line block ×3, first 2 shown]
	v_cmp_eq_u32_e64 s[4:5], s16, v34
	v_mov_b32_e32 v10, s6
	v_mov_b32_e32 v13, s15
	;; [unrolled: 1-line block ×5, first 2 shown]
	buffer_store_dword v9, off, s[0:3], s33 offset:12
	buffer_store_dword v10, off, s[0:3], s33 offset:8
	buffer_store_dword v11, off, s[0:3], s33 offset:4
	buffer_store_dword v12, off, s[0:3], s33
	buffer_store_dword v13, off, s[0:3], s33 offset:28
	buffer_store_dword v14, off, s[0:3], s33 offset:24
	;; [unrolled: 1-line block ×4, first 2 shown]
	s_waitcnt vmcnt(8)
	buffer_store_dword v3, off, s[0:3], s33 offset:43
	buffer_store_dword v2, off, s[0:3], s33 offset:39
	;; [unrolled: 1-line block ×4, first 2 shown]
	s_and_saveexec_b64 s[6:7], s[4:5]
	s_cbranch_execz .LBB1_6
; %bb.1:
	global_load_dwordx2 v[2:3], v8, s[10:11] offset:24 glc
	s_waitcnt vmcnt(0)
	buffer_wbinvl1_vol
	global_load_dwordx2 v[0:1], v8, s[10:11] offset:40
	global_load_dwordx2 v[6:7], v8, s[10:11]
	s_waitcnt vmcnt(1)
	v_and_b32_e32 v0, v0, v2
	v_and_b32_e32 v1, v1, v3
	v_mul_lo_u32 v1, v1, 24
	v_mul_hi_u32 v9, v0, 24
	v_mul_lo_u32 v0, v0, 24
	v_add_u32_e32 v1, v9, v1
	s_waitcnt vmcnt(0)
	v_add_co_u32_e32 v0, vcc, v6, v0
	v_addc_co_u32_e32 v1, vcc, v7, v1, vcc
	global_load_dwordx2 v[0:1], v[0:1], off glc
	s_waitcnt vmcnt(0)
	global_atomic_cmpswap_x2 v[6:7], v8, v[0:3], s[10:11] offset:24 glc
	s_waitcnt vmcnt(0)
	buffer_wbinvl1_vol
	v_cmp_ne_u64_e32 vcc, v[6:7], v[2:3]
	s_and_saveexec_b64 s[12:13], vcc
	s_cbranch_execz .LBB1_5
; %bb.2:
	s_mov_b64 s[14:15], 0
	v_mov_b32_e32 v0, 0
.LBB1_3:                                ; =>This Inner Loop Header: Depth=1
	s_sleep 1
	global_load_dwordx2 v[1:2], v0, s[10:11] offset:40
	global_load_dwordx2 v[9:10], v0, s[10:11]
	v_mov_b32_e32 v12, v7
	v_mov_b32_e32 v11, v6
	s_waitcnt vmcnt(1)
	v_and_b32_e32 v1, v1, v11
	s_waitcnt vmcnt(0)
	v_mad_u64_u32 v[6:7], s[16:17], v1, 24, v[9:10]
	v_and_b32_e32 v2, v2, v12
	v_mov_b32_e32 v1, v7
	v_mad_u64_u32 v[1:2], s[16:17], v2, 24, v[1:2]
	v_mov_b32_e32 v7, v1
	global_load_dwordx2 v[9:10], v[6:7], off glc
	s_waitcnt vmcnt(0)
	global_atomic_cmpswap_x2 v[6:7], v0, v[9:12], s[10:11] offset:24 glc
	s_waitcnt vmcnt(0)
	buffer_wbinvl1_vol
	v_cmp_eq_u64_e32 vcc, v[6:7], v[11:12]
	s_or_b64 s[14:15], vcc, s[14:15]
	s_andn2_b64 exec, exec, s[14:15]
	s_cbranch_execnz .LBB1_3
; %bb.4:
	s_or_b64 exec, exec, s[14:15]
.LBB1_5:
	s_or_b64 exec, exec, s[12:13]
.LBB1_6:
	s_or_b64 exec, exec, s[6:7]
	global_load_dwordx2 v[9:10], v8, s[10:11] offset:40
	global_load_dwordx4 v[0:3], v8, s[10:11]
	v_readfirstlane_b32 s7, v7
	v_readfirstlane_b32 s6, v6
	s_mov_b64 s[12:13], exec
	s_waitcnt vmcnt(1)
	v_readfirstlane_b32 s14, v9
	v_readfirstlane_b32 s15, v10
	s_and_b64 s[14:15], s[14:15], s[6:7]
	s_mul_i32 s16, s15, 24
	s_mul_hi_u32 s17, s14, 24
	s_mul_i32 s18, s14, 24
	s_add_i32 s16, s17, s16
	v_mov_b32_e32 v6, s16
	s_waitcnt vmcnt(0)
	v_add_co_u32_e32 v10, vcc, s18, v0
	v_addc_co_u32_e32 v11, vcc, v1, v6, vcc
	s_and_saveexec_b64 s[16:17], s[4:5]
	s_cbranch_execz .LBB1_8
; %bb.7:
	v_mov_b32_e32 v6, s12
	v_mov_b32_e32 v7, s13
	;; [unrolled: 1-line block ×4, first 2 shown]
	global_store_dwordx4 v[10:11], v[6:9], off offset:8
.LBB1_8:
	s_or_b64 exec, exec, s[16:17]
	s_lshl_b64 s[12:13], s[14:15], 12
	v_mov_b32_e32 v6, s13
	v_add_co_u32_e32 v2, vcc, s12, v2
	s_mov_b32 s12, 0
	v_addc_co_u32_e32 v3, vcc, v3, v6, vcc
	v_lshlrev_b32_e32 v35, 6, v34
	s_mov_b32 s15, s12
	v_mov_b32_e32 v7, 0
	v_add_co_u32_e32 v12, vcc, v2, v35
	s_mov_b32 s13, s12
	s_mov_b32 s14, s12
	v_mov_b32_e32 v17, s15
	v_addc_co_u32_e32 v13, vcc, 0, v3, vcc
	v_mov_b32_e32 v6, 33
	v_mov_b32_e32 v8, 1
	;; [unrolled: 1-line block ×3, first 2 shown]
	v_readfirstlane_b32 s16, v2
	v_readfirstlane_b32 s17, v3
	v_mov_b32_e32 v16, s14
	v_mov_b32_e32 v15, s13
	;; [unrolled: 1-line block ×3, first 2 shown]
	s_nop 1
	global_store_dwordx4 v35, v[6:9], s[16:17]
	global_store_dwordx4 v35, v[14:17], s[16:17] offset:16
	global_store_dwordx4 v35, v[14:17], s[16:17] offset:32
	;; [unrolled: 1-line block ×3, first 2 shown]
	s_and_saveexec_b64 s[12:13], s[4:5]
	s_cbranch_execz .LBB1_16
; %bb.9:
	global_load_dwordx2 v[16:17], v7, s[10:11] offset:32 glc
	global_load_dwordx2 v[2:3], v7, s[10:11] offset:40
	v_mov_b32_e32 v14, s6
	v_mov_b32_e32 v15, s7
	s_waitcnt vmcnt(0)
	v_and_b32_e32 v2, s6, v2
	v_and_b32_e32 v3, s7, v3
	v_mul_lo_u32 v3, v3, 24
	v_mul_hi_u32 v6, v2, 24
	v_mul_lo_u32 v2, v2, 24
	v_add_u32_e32 v3, v6, v3
	v_add_co_u32_e32 v8, vcc, v0, v2
	v_addc_co_u32_e32 v9, vcc, v1, v3, vcc
	global_store_dwordx2 v[8:9], v[16:17], off
	s_waitcnt vmcnt(0)
	global_atomic_cmpswap_x2 v[2:3], v7, v[14:17], s[10:11] offset:32 glc
	s_waitcnt vmcnt(0)
	v_cmp_ne_u64_e32 vcc, v[2:3], v[16:17]
	s_and_saveexec_b64 s[14:15], vcc
	s_cbranch_execz .LBB1_12
; %bb.10:
	s_mov_b64 s[16:17], 0
	v_mov_b32_e32 v6, 0
.LBB1_11:                               ; =>This Inner Loop Header: Depth=1
	s_sleep 1
	global_store_dwordx2 v[8:9], v[2:3], off
	v_mov_b32_e32 v0, s6
	v_mov_b32_e32 v1, s7
	s_waitcnt vmcnt(0)
	global_atomic_cmpswap_x2 v[0:1], v6, v[0:3], s[10:11] offset:32 glc
	s_waitcnt vmcnt(0)
	v_cmp_eq_u64_e32 vcc, v[0:1], v[2:3]
	v_mov_b32_e32 v3, v1
	s_or_b64 s[16:17], vcc, s[16:17]
	v_mov_b32_e32 v2, v0
	s_andn2_b64 exec, exec, s[16:17]
	s_cbranch_execnz .LBB1_11
.LBB1_12:
	s_or_b64 exec, exec, s[14:15]
	v_mov_b32_e32 v3, 0
	global_load_dwordx2 v[0:1], v3, s[10:11] offset:16
	s_mov_b64 s[14:15], exec
	v_mbcnt_lo_u32_b32 v2, s14, 0
	v_mbcnt_hi_u32_b32 v2, s15, v2
	v_cmp_eq_u32_e32 vcc, 0, v2
	s_and_saveexec_b64 s[16:17], vcc
	s_cbranch_execz .LBB1_14
; %bb.13:
	s_bcnt1_i32_b64 s14, s[14:15]
	v_mov_b32_e32 v2, s14
	s_waitcnt vmcnt(0)
	global_atomic_add_x2 v[0:1], v[2:3], off offset:8
.LBB1_14:
	s_or_b64 exec, exec, s[16:17]
	s_waitcnt vmcnt(0)
	global_load_dwordx2 v[2:3], v[0:1], off offset:16
	s_waitcnt vmcnt(0)
	v_cmp_eq_u64_e32 vcc, 0, v[2:3]
	s_cbranch_vccnz .LBB1_16
; %bb.15:
	global_load_dword v0, v[0:1], off offset:24
	v_mov_b32_e32 v1, 0
	s_waitcnt vmcnt(0)
	v_readfirstlane_b32 s14, v0
	s_and_b32 m0, s14, 0xffffff
	global_store_dwordx2 v[2:3], v[0:1], off
	s_sendmsg sendmsg(MSG_INTERRUPT)
.LBB1_16:
	s_or_b64 exec, exec, s[12:13]
	s_branch .LBB1_20
.LBB1_17:                               ;   in Loop: Header=BB1_20 Depth=1
	s_or_b64 exec, exec, s[12:13]
	v_readfirstlane_b32 s12, v0
	s_cmp_eq_u32 s12, 0
	s_cbranch_scc1 .LBB1_19
; %bb.18:                               ;   in Loop: Header=BB1_20 Depth=1
	s_sleep 1
	s_cbranch_execnz .LBB1_20
	s_branch .LBB1_22
.LBB1_19:
	s_branch .LBB1_22
.LBB1_20:                               ; =>This Inner Loop Header: Depth=1
	v_mov_b32_e32 v0, 1
	s_and_saveexec_b64 s[12:13], s[4:5]
	s_cbranch_execz .LBB1_17
; %bb.21:                               ;   in Loop: Header=BB1_20 Depth=1
	global_load_dword v0, v[10:11], off offset:20 glc
	s_waitcnt vmcnt(0)
	buffer_wbinvl1_vol
	v_and_b32_e32 v0, 1, v0
	s_branch .LBB1_17
.LBB1_22:
	global_load_dwordx2 v[6:7], v[12:13], off
	s_and_saveexec_b64 s[12:13], s[4:5]
	s_cbranch_execz .LBB1_25
; %bb.23:
	v_mov_b32_e32 v10, 0
	global_load_dwordx2 v[0:1], v10, s[10:11] offset:40
	global_load_dwordx2 v[13:14], v10, s[10:11] offset:24 glc
	global_load_dwordx2 v[2:3], v10, s[10:11]
	s_waitcnt vmcnt(2)
	v_readfirstlane_b32 s14, v0
	v_readfirstlane_b32 s15, v1
	s_add_u32 s16, s14, 1
	s_addc_u32 s17, s15, 0
	s_add_u32 s4, s16, s6
	s_addc_u32 s5, s17, s7
	s_cmp_eq_u64 s[4:5], 0
	s_cselect_b32 s5, s17, s5
	s_cselect_b32 s4, s16, s4
	s_and_b64 s[6:7], s[4:5], s[14:15]
	s_mul_i32 s7, s7, 24
	s_mul_hi_u32 s14, s6, 24
	s_mul_i32 s6, s6, 24
	s_add_i32 s7, s14, s7
	v_mov_b32_e32 v0, s7
	s_waitcnt vmcnt(0)
	v_add_co_u32_e32 v8, vcc, s6, v2
	v_addc_co_u32_e32 v9, vcc, v3, v0, vcc
	v_mov_b32_e32 v11, s4
	global_store_dwordx2 v[8:9], v[13:14], off
	v_mov_b32_e32 v12, s5
	s_waitcnt vmcnt(0)
	global_atomic_cmpswap_x2 v[2:3], v10, v[11:14], s[10:11] offset:24 glc
	s_mov_b64 s[6:7], 0
	s_waitcnt vmcnt(0)
	v_cmp_ne_u64_e32 vcc, v[2:3], v[13:14]
	s_and_b64 exec, exec, vcc
	s_cbranch_execz .LBB1_25
.LBB1_24:                               ; =>This Inner Loop Header: Depth=1
	s_sleep 1
	global_store_dwordx2 v[8:9], v[2:3], off
	v_mov_b32_e32 v0, s4
	v_mov_b32_e32 v1, s5
	s_waitcnt vmcnt(0)
	global_atomic_cmpswap_x2 v[0:1], v10, v[0:3], s[10:11] offset:24 glc
	s_waitcnt vmcnt(0)
	v_cmp_eq_u64_e32 vcc, v[0:1], v[2:3]
	v_mov_b32_e32 v3, v1
	s_or_b64 s[6:7], vcc, s[6:7]
	v_mov_b32_e32 v2, v0
	s_andn2_b64 exec, exec, s[6:7]
	s_cbranch_execnz .LBB1_24
.LBB1_25:
	s_or_b64 exec, exec, s[12:13]
	s_lshr_b32 s6, s33, 6
	s_mov_b64 s[4:5], 0
.LBB1_26:                               ; =>This Inner Loop Header: Depth=1
	v_mov_b32_e32 v0, s6
	buffer_load_ubyte v1, v0, s[0:3], 0 offen
	s_add_i32 s6, s6, 1
	v_mov_b32_e32 v0, s6
	s_waitcnt vmcnt(0)
	v_cmp_eq_u16_e32 vcc, 0, v1
	s_or_b64 s[4:5], vcc, s[4:5]
	s_andn2_b64 exec, exec, s[4:5]
	s_cbranch_execnz .LBB1_26
; %bb.27:
	s_or_b64 exec, exec, s[4:5]
	s_lshr_b32 s4, s33, 6
	s_cmp_lg_u32 s4, -1
	s_cbranch_scc0 .LBB1_112
; %bb.28:
	v_lshrrev_b32_e64 v1, 6, s33
	v_subrev_u32_e32 v28, v1, v0
	v_ashrrev_i32_e32 v29, 31, v28
	v_and_b32_e32 v36, 2, v6
	v_mov_b32_e32 v31, 0
	v_and_b32_e32 v0, -3, v6
	v_mov_b32_e32 v1, v7
	s_mov_b64 s[12:13], 0
	v_lshrrev_b32_e64 v37, 6, s33
	s_mov_b32 s20, 0
	s_movk_i32 s21, 0x1e0
	v_mov_b32_e32 v10, 2
	v_mov_b32_e32 v11, 1
	s_branch .LBB1_30
.LBB1_29:                               ;   in Loop: Header=BB1_30 Depth=1
	s_or_b64 exec, exec, s[6:7]
	v_sub_co_u32_e32 v28, vcc, v28, v38
	v_subb_co_u32_e32 v29, vcc, v29, v39, vcc
	v_cmp_eq_u64_e32 vcc, 0, v[28:29]
	v_add_u32_e32 v37, v37, v38
	s_or_b64 s[12:13], vcc, s[12:13]
	s_andn2_b64 exec, exec, s[12:13]
	s_cbranch_execz .LBB1_113
.LBB1_30:                               ; =>This Loop Header: Depth=1
                                        ;     Child Loop BB1_33 Depth 2
                                        ;     Child Loop BB1_41 Depth 2
	;; [unrolled: 1-line block ×11, first 2 shown]
	v_cmp_gt_u64_e32 vcc, 56, v[28:29]
	v_cmp_gt_u64_e64 s[4:5], 8, v[28:29]
	v_cndmask_b32_e32 v38, 56, v28, vcc
	v_add_u32_e32 v9, 8, v37
	s_and_saveexec_b64 s[6:7], s[4:5]
	s_xor_b64 s[6:7], exec, s[6:7]
	s_cbranch_execz .LBB1_36
; %bb.31:                               ;   in Loop: Header=BB1_30 Depth=1
	v_mov_b32_e32 v2, 0
	v_cmp_ne_u64_e64 s[4:5], 0, v[28:29]
	v_mov_b32_e32 v3, 0
	s_and_saveexec_b64 s[14:15], s[4:5]
	s_cbranch_execz .LBB1_35
; %bb.32:                               ;   in Loop: Header=BB1_30 Depth=1
	v_mov_b32_e32 v2, 0
	s_mov_b32 s22, 0
	s_mov_b64 s[16:17], 0
	v_mov_b32_e32 v3, 0
	s_mov_b64 s[18:19], 0
.LBB1_33:                               ;   Parent Loop BB1_30 Depth=1
                                        ; =>  This Inner Loop Header: Depth=2
	v_add_u32_e32 v8, s22, v37
	buffer_load_ubyte v8, v8, s[0:3], 0 offen
	v_mov_b32_e32 v9, s20
	s_add_i32 s22, s22, 1
	v_cmp_eq_u32_e64 s[4:5], s22, v38
	s_waitcnt vmcnt(0)
	v_and_b32_e32 v8, 0xffff, v8
	v_lshlrev_b64 v[8:9], s18, v[8:9]
	s_add_u32 s18, s18, 8
	s_addc_u32 s19, s19, 0
	v_or_b32_e32 v3, v9, v3
	s_or_b64 s[16:17], s[4:5], s[16:17]
	v_or_b32_e32 v2, v8, v2
	s_andn2_b64 exec, exec, s[16:17]
	s_cbranch_execnz .LBB1_33
; %bb.34:                               ;   in Loop: Header=BB1_30 Depth=1
	s_or_b64 exec, exec, s[16:17]
.LBB1_35:                               ;   in Loop: Header=BB1_30 Depth=1
	s_or_b64 exec, exec, s[14:15]
	v_mov_b32_e32 v9, v37
.LBB1_36:                               ;   in Loop: Header=BB1_30 Depth=1
	s_or_saveexec_b64 s[4:5], s[6:7]
	v_mov_b32_e32 v14, 0
	s_xor_b64 exec, exec, s[4:5]
	s_cbranch_execz .LBB1_38
; %bb.37:                               ;   in Loop: Header=BB1_30 Depth=1
	buffer_load_dword v2, v37, s[0:3], 0 offen
	buffer_load_dword v3, v37, s[0:3], 0 offen offset:4
	v_add_u32_e32 v14, -8, v38
.LBB1_38:                               ;   in Loop: Header=BB1_30 Depth=1
	s_or_b64 exec, exec, s[4:5]
	v_cmp_gt_u32_e64 s[4:5], 8, v14
	v_add_u32_e32 v8, 8, v9
                                        ; implicit-def: $vgpr12_vgpr13
	s_and_saveexec_b64 s[6:7], s[4:5]
	s_xor_b64 s[6:7], exec, s[6:7]
	s_cbranch_execz .LBB1_44
; %bb.39:                               ;   in Loop: Header=BB1_30 Depth=1
	v_mov_b32_e32 v12, 0
	v_mov_b32_e32 v13, 0
	v_cmp_ne_u32_e64 s[4:5], 0, v14
	s_and_saveexec_b64 s[14:15], s[4:5]
	s_cbranch_execz .LBB1_43
; %bb.40:                               ;   in Loop: Header=BB1_30 Depth=1
	v_mov_b32_e32 v12, 0
	s_mov_b32 s22, 0
	s_mov_b64 s[16:17], 0
	v_mov_b32_e32 v13, 0
	s_mov_b64 s[18:19], 0
.LBB1_41:                               ;   Parent Loop BB1_30 Depth=1
                                        ; =>  This Inner Loop Header: Depth=2
	v_add_u32_e32 v8, s22, v9
	buffer_load_ubyte v8, v8, s[0:3], 0 offen
	v_mov_b32_e32 v16, s20
	s_add_i32 s22, s22, 1
	v_cmp_eq_u32_e64 s[4:5], s22, v14
	s_waitcnt vmcnt(0)
	v_and_b32_e32 v15, 0xffff, v8
	v_lshlrev_b64 v[15:16], s18, v[15:16]
	s_add_u32 s18, s18, 8
	s_addc_u32 s19, s19, 0
	v_or_b32_e32 v13, v16, v13
	s_or_b64 s[16:17], s[4:5], s[16:17]
	v_or_b32_e32 v12, v15, v12
	s_andn2_b64 exec, exec, s[16:17]
	s_cbranch_execnz .LBB1_41
; %bb.42:                               ;   in Loop: Header=BB1_30 Depth=1
	s_or_b64 exec, exec, s[16:17]
.LBB1_43:                               ;   in Loop: Header=BB1_30 Depth=1
	s_or_b64 exec, exec, s[14:15]
	v_mov_b32_e32 v8, v9
                                        ; implicit-def: $vgpr14
.LBB1_44:                               ;   in Loop: Header=BB1_30 Depth=1
	s_or_saveexec_b64 s[4:5], s[6:7]
	v_mov_b32_e32 v16, 0
	s_xor_b64 exec, exec, s[4:5]
	s_cbranch_execz .LBB1_46
; %bb.45:                               ;   in Loop: Header=BB1_30 Depth=1
	buffer_load_dword v12, v9, s[0:3], 0 offen
	buffer_load_dword v13, v9, s[0:3], 0 offen offset:4
	v_add_u32_e32 v16, -8, v14
.LBB1_46:                               ;   in Loop: Header=BB1_30 Depth=1
	s_or_b64 exec, exec, s[4:5]
	v_cmp_gt_u32_e64 s[4:5], 8, v16
	v_add_u32_e32 v9, 8, v8
	s_and_saveexec_b64 s[6:7], s[4:5]
	s_xor_b64 s[6:7], exec, s[6:7]
	s_cbranch_execz .LBB1_52
; %bb.47:                               ;   in Loop: Header=BB1_30 Depth=1
	v_mov_b32_e32 v14, 0
	v_mov_b32_e32 v15, 0
	v_cmp_ne_u32_e64 s[4:5], 0, v16
	s_and_saveexec_b64 s[14:15], s[4:5]
	s_cbranch_execz .LBB1_51
; %bb.48:                               ;   in Loop: Header=BB1_30 Depth=1
	v_mov_b32_e32 v14, 0
	s_mov_b32 s22, 0
	s_mov_b64 s[16:17], 0
	v_mov_b32_e32 v15, 0
	s_mov_b64 s[18:19], 0
.LBB1_49:                               ;   Parent Loop BB1_30 Depth=1
                                        ; =>  This Inner Loop Header: Depth=2
	v_add_u32_e32 v9, s22, v8
	buffer_load_ubyte v9, v9, s[0:3], 0 offen
	v_mov_b32_e32 v18, s20
	s_add_i32 s22, s22, 1
	v_cmp_eq_u32_e64 s[4:5], s22, v16
	s_waitcnt vmcnt(0)
	v_and_b32_e32 v17, 0xffff, v9
	v_lshlrev_b64 v[17:18], s18, v[17:18]
	s_add_u32 s18, s18, 8
	s_addc_u32 s19, s19, 0
	v_or_b32_e32 v15, v18, v15
	s_or_b64 s[16:17], s[4:5], s[16:17]
	v_or_b32_e32 v14, v17, v14
	s_andn2_b64 exec, exec, s[16:17]
	s_cbranch_execnz .LBB1_49
; %bb.50:                               ;   in Loop: Header=BB1_30 Depth=1
	s_or_b64 exec, exec, s[16:17]
.LBB1_51:                               ;   in Loop: Header=BB1_30 Depth=1
	s_or_b64 exec, exec, s[14:15]
	v_mov_b32_e32 v9, v8
                                        ; implicit-def: $vgpr16
.LBB1_52:                               ;   in Loop: Header=BB1_30 Depth=1
	s_or_saveexec_b64 s[4:5], s[6:7]
	v_mov_b32_e32 v18, 0
	s_xor_b64 exec, exec, s[4:5]
	s_cbranch_execz .LBB1_54
; %bb.53:                               ;   in Loop: Header=BB1_30 Depth=1
	buffer_load_dword v14, v8, s[0:3], 0 offen
	buffer_load_dword v15, v8, s[0:3], 0 offen offset:4
	v_add_u32_e32 v18, -8, v16
.LBB1_54:                               ;   in Loop: Header=BB1_30 Depth=1
	s_or_b64 exec, exec, s[4:5]
	v_cmp_gt_u32_e64 s[4:5], 8, v18
	v_add_u32_e32 v8, 8, v9
                                        ; implicit-def: $vgpr16_vgpr17
	s_and_saveexec_b64 s[6:7], s[4:5]
	s_xor_b64 s[6:7], exec, s[6:7]
	s_cbranch_execz .LBB1_60
; %bb.55:                               ;   in Loop: Header=BB1_30 Depth=1
	v_mov_b32_e32 v16, 0
	v_mov_b32_e32 v17, 0
	v_cmp_ne_u32_e64 s[4:5], 0, v18
	s_and_saveexec_b64 s[14:15], s[4:5]
	s_cbranch_execz .LBB1_59
; %bb.56:                               ;   in Loop: Header=BB1_30 Depth=1
	v_mov_b32_e32 v16, 0
	s_mov_b32 s22, 0
	s_mov_b64 s[16:17], 0
	v_mov_b32_e32 v17, 0
	s_mov_b64 s[18:19], 0
.LBB1_57:                               ;   Parent Loop BB1_30 Depth=1
                                        ; =>  This Inner Loop Header: Depth=2
	v_add_u32_e32 v8, s22, v9
	buffer_load_ubyte v8, v8, s[0:3], 0 offen
	v_mov_b32_e32 v20, s20
	s_add_i32 s22, s22, 1
	v_cmp_eq_u32_e64 s[4:5], s22, v18
	s_waitcnt vmcnt(0)
	v_and_b32_e32 v19, 0xffff, v8
	v_lshlrev_b64 v[19:20], s18, v[19:20]
	s_add_u32 s18, s18, 8
	s_addc_u32 s19, s19, 0
	v_or_b32_e32 v17, v20, v17
	s_or_b64 s[16:17], s[4:5], s[16:17]
	v_or_b32_e32 v16, v19, v16
	s_andn2_b64 exec, exec, s[16:17]
	s_cbranch_execnz .LBB1_57
; %bb.58:                               ;   in Loop: Header=BB1_30 Depth=1
	s_or_b64 exec, exec, s[16:17]
.LBB1_59:                               ;   in Loop: Header=BB1_30 Depth=1
	s_or_b64 exec, exec, s[14:15]
	v_mov_b32_e32 v8, v9
                                        ; implicit-def: $vgpr18
.LBB1_60:                               ;   in Loop: Header=BB1_30 Depth=1
	s_or_saveexec_b64 s[4:5], s[6:7]
	v_mov_b32_e32 v20, 0
	s_xor_b64 exec, exec, s[4:5]
	s_cbranch_execz .LBB1_62
; %bb.61:                               ;   in Loop: Header=BB1_30 Depth=1
	buffer_load_dword v16, v9, s[0:3], 0 offen
	buffer_load_dword v17, v9, s[0:3], 0 offen offset:4
	v_add_u32_e32 v20, -8, v18
.LBB1_62:                               ;   in Loop: Header=BB1_30 Depth=1
	s_or_b64 exec, exec, s[4:5]
	v_cmp_gt_u32_e64 s[4:5], 8, v20
	v_add_u32_e32 v9, 8, v8
	s_and_saveexec_b64 s[6:7], s[4:5]
	s_xor_b64 s[6:7], exec, s[6:7]
	s_cbranch_execz .LBB1_68
; %bb.63:                               ;   in Loop: Header=BB1_30 Depth=1
	v_mov_b32_e32 v18, 0
	v_mov_b32_e32 v19, 0
	v_cmp_ne_u32_e64 s[4:5], 0, v20
	s_and_saveexec_b64 s[14:15], s[4:5]
	s_cbranch_execz .LBB1_67
; %bb.64:                               ;   in Loop: Header=BB1_30 Depth=1
	v_mov_b32_e32 v18, 0
	s_mov_b32 s22, 0
	s_mov_b64 s[16:17], 0
	v_mov_b32_e32 v19, 0
	s_mov_b64 s[18:19], 0
.LBB1_65:                               ;   Parent Loop BB1_30 Depth=1
                                        ; =>  This Inner Loop Header: Depth=2
	v_add_u32_e32 v9, s22, v8
	buffer_load_ubyte v9, v9, s[0:3], 0 offen
	v_mov_b32_e32 v22, s20
	s_add_i32 s22, s22, 1
	v_cmp_eq_u32_e64 s[4:5], s22, v20
	s_waitcnt vmcnt(0)
	v_and_b32_e32 v21, 0xffff, v9
	v_lshlrev_b64 v[21:22], s18, v[21:22]
	s_add_u32 s18, s18, 8
	s_addc_u32 s19, s19, 0
	v_or_b32_e32 v19, v22, v19
	s_or_b64 s[16:17], s[4:5], s[16:17]
	v_or_b32_e32 v18, v21, v18
	s_andn2_b64 exec, exec, s[16:17]
	s_cbranch_execnz .LBB1_65
; %bb.66:                               ;   in Loop: Header=BB1_30 Depth=1
	s_or_b64 exec, exec, s[16:17]
.LBB1_67:                               ;   in Loop: Header=BB1_30 Depth=1
	s_or_b64 exec, exec, s[14:15]
	v_mov_b32_e32 v9, v8
                                        ; implicit-def: $vgpr20
.LBB1_68:                               ;   in Loop: Header=BB1_30 Depth=1
	s_or_saveexec_b64 s[4:5], s[6:7]
	v_mov_b32_e32 v22, 0
	s_xor_b64 exec, exec, s[4:5]
	s_cbranch_execz .LBB1_70
; %bb.69:                               ;   in Loop: Header=BB1_30 Depth=1
	buffer_load_dword v18, v8, s[0:3], 0 offen
	buffer_load_dword v19, v8, s[0:3], 0 offen offset:4
	v_add_u32_e32 v22, -8, v20
.LBB1_70:                               ;   in Loop: Header=BB1_30 Depth=1
	s_or_b64 exec, exec, s[4:5]
	v_cmp_gt_u32_e64 s[4:5], 8, v22
	v_add_u32_e32 v8, 8, v9
                                        ; implicit-def: $vgpr20_vgpr21
	s_and_saveexec_b64 s[6:7], s[4:5]
	s_xor_b64 s[6:7], exec, s[6:7]
	s_cbranch_execz .LBB1_76
; %bb.71:                               ;   in Loop: Header=BB1_30 Depth=1
	v_mov_b32_e32 v20, 0
	v_mov_b32_e32 v21, 0
	v_cmp_ne_u32_e64 s[4:5], 0, v22
	s_and_saveexec_b64 s[14:15], s[4:5]
	s_cbranch_execz .LBB1_75
; %bb.72:                               ;   in Loop: Header=BB1_30 Depth=1
	v_mov_b32_e32 v20, 0
	s_mov_b32 s22, 0
	s_mov_b64 s[16:17], 0
	v_mov_b32_e32 v21, 0
	s_mov_b64 s[18:19], 0
.LBB1_73:                               ;   Parent Loop BB1_30 Depth=1
                                        ; =>  This Inner Loop Header: Depth=2
	v_add_u32_e32 v8, s22, v9
	buffer_load_ubyte v8, v8, s[0:3], 0 offen
	v_mov_b32_e32 v24, s20
	s_add_i32 s22, s22, 1
	v_cmp_eq_u32_e64 s[4:5], s22, v22
	s_waitcnt vmcnt(0)
	v_and_b32_e32 v23, 0xffff, v8
	v_lshlrev_b64 v[23:24], s18, v[23:24]
	s_add_u32 s18, s18, 8
	s_addc_u32 s19, s19, 0
	v_or_b32_e32 v21, v24, v21
	s_or_b64 s[16:17], s[4:5], s[16:17]
	v_or_b32_e32 v20, v23, v20
	s_andn2_b64 exec, exec, s[16:17]
	s_cbranch_execnz .LBB1_73
; %bb.74:                               ;   in Loop: Header=BB1_30 Depth=1
	s_or_b64 exec, exec, s[16:17]
.LBB1_75:                               ;   in Loop: Header=BB1_30 Depth=1
	s_or_b64 exec, exec, s[14:15]
	v_mov_b32_e32 v8, v9
                                        ; implicit-def: $vgpr22
.LBB1_76:                               ;   in Loop: Header=BB1_30 Depth=1
	s_or_saveexec_b64 s[4:5], s[6:7]
	v_mov_b32_e32 v24, 0
	s_xor_b64 exec, exec, s[4:5]
	s_cbranch_execz .LBB1_78
; %bb.77:                               ;   in Loop: Header=BB1_30 Depth=1
	buffer_load_dword v20, v9, s[0:3], 0 offen
	buffer_load_dword v21, v9, s[0:3], 0 offen offset:4
	v_add_u32_e32 v24, -8, v22
.LBB1_78:                               ;   in Loop: Header=BB1_30 Depth=1
	s_or_b64 exec, exec, s[4:5]
	v_cmp_gt_u32_e64 s[4:5], 8, v24
	s_and_saveexec_b64 s[6:7], s[4:5]
	s_xor_b64 s[6:7], exec, s[6:7]
	s_cbranch_execz .LBB1_84
; %bb.79:                               ;   in Loop: Header=BB1_30 Depth=1
	v_mov_b32_e32 v22, 0
	v_mov_b32_e32 v23, 0
	v_cmp_ne_u32_e64 s[4:5], 0, v24
	s_and_saveexec_b64 s[14:15], s[4:5]
	s_cbranch_execz .LBB1_83
; %bb.80:                               ;   in Loop: Header=BB1_30 Depth=1
	v_mov_b32_e32 v22, 0
	s_mov_b64 s[16:17], 0
	v_mov_b32_e32 v23, 0
	s_mov_b64 s[18:19], 0
.LBB1_81:                               ;   Parent Loop BB1_30 Depth=1
                                        ; =>  This Inner Loop Header: Depth=2
	buffer_load_ubyte v9, v8, s[0:3], 0 offen
	v_mov_b32_e32 v26, s20
	v_add_u32_e32 v24, -1, v24
	v_cmp_eq_u32_e64 s[4:5], 0, v24
	v_add_u32_e32 v8, 1, v8
	s_waitcnt vmcnt(0)
	v_and_b32_e32 v25, 0xffff, v9
	v_lshlrev_b64 v[25:26], s18, v[25:26]
	s_add_u32 s18, s18, 8
	s_addc_u32 s19, s19, 0
	v_or_b32_e32 v23, v26, v23
	s_or_b64 s[16:17], s[4:5], s[16:17]
	v_or_b32_e32 v22, v25, v22
	s_andn2_b64 exec, exec, s[16:17]
	s_cbranch_execnz .LBB1_81
; %bb.82:                               ;   in Loop: Header=BB1_30 Depth=1
	s_or_b64 exec, exec, s[16:17]
.LBB1_83:                               ;   in Loop: Header=BB1_30 Depth=1
	s_or_b64 exec, exec, s[14:15]
                                        ; implicit-def: $vgpr8
.LBB1_84:                               ;   in Loop: Header=BB1_30 Depth=1
	s_andn2_saveexec_b64 s[4:5], s[6:7]
	s_cbranch_execz .LBB1_86
; %bb.85:                               ;   in Loop: Header=BB1_30 Depth=1
	buffer_load_dword v22, v8, s[0:3], 0 offen
	buffer_load_dword v23, v8, s[0:3], 0 offen offset:4
.LBB1_86:                               ;   in Loop: Header=BB1_30 Depth=1
	s_or_b64 exec, exec, s[4:5]
	v_readfirstlane_b32 s4, v34
	v_mov_b32_e32 v8, 0
	v_mov_b32_e32 v9, 0
	v_cmp_eq_u32_e64 s[4:5], s4, v34
	s_and_saveexec_b64 s[14:15], s[4:5]
	s_cbranch_execz .LBB1_92
; %bb.87:                               ;   in Loop: Header=BB1_30 Depth=1
	global_load_dwordx2 v[26:27], v31, s[10:11] offset:24 glc
	s_waitcnt vmcnt(0)
	buffer_wbinvl1_vol
	global_load_dwordx2 v[8:9], v31, s[10:11] offset:40
	global_load_dwordx2 v[24:25], v31, s[10:11]
	s_waitcnt vmcnt(1)
	v_and_b32_e32 v8, v8, v26
	v_and_b32_e32 v9, v9, v27
	v_mul_lo_u32 v9, v9, 24
	v_mul_hi_u32 v30, v8, 24
	v_mul_lo_u32 v8, v8, 24
	v_add_u32_e32 v9, v30, v9
	s_waitcnt vmcnt(0)
	v_add_co_u32_e64 v8, s[6:7], v24, v8
	v_addc_co_u32_e64 v9, s[6:7], v25, v9, s[6:7]
	global_load_dwordx2 v[24:25], v[8:9], off glc
	s_waitcnt vmcnt(0)
	global_atomic_cmpswap_x2 v[8:9], v31, v[24:27], s[10:11] offset:24 glc
	s_waitcnt vmcnt(0)
	buffer_wbinvl1_vol
	v_cmp_ne_u64_e64 s[6:7], v[8:9], v[26:27]
	s_and_saveexec_b64 s[16:17], s[6:7]
	s_cbranch_execz .LBB1_91
; %bb.88:                               ;   in Loop: Header=BB1_30 Depth=1
	s_mov_b64 s[18:19], 0
.LBB1_89:                               ;   Parent Loop BB1_30 Depth=1
                                        ; =>  This Inner Loop Header: Depth=2
	s_sleep 1
	global_load_dwordx2 v[24:25], v31, s[10:11] offset:40
	global_load_dwordx2 v[32:33], v31, s[10:11]
	v_mov_b32_e32 v27, v9
	v_mov_b32_e32 v26, v8
	s_waitcnt vmcnt(1)
	v_and_b32_e32 v8, v24, v26
	s_waitcnt vmcnt(0)
	v_mad_u64_u32 v[8:9], s[6:7], v8, 24, v[32:33]
	v_and_b32_e32 v24, v25, v27
	v_mad_u64_u32 v[24:25], s[6:7], v24, 24, v[9:10]
	v_mov_b32_e32 v9, v24
	global_load_dwordx2 v[24:25], v[8:9], off glc
	s_waitcnt vmcnt(0)
	global_atomic_cmpswap_x2 v[8:9], v31, v[24:27], s[10:11] offset:24 glc
	s_waitcnt vmcnt(0)
	buffer_wbinvl1_vol
	v_cmp_eq_u64_e64 s[6:7], v[8:9], v[26:27]
	s_or_b64 s[18:19], s[6:7], s[18:19]
	s_andn2_b64 exec, exec, s[18:19]
	s_cbranch_execnz .LBB1_89
; %bb.90:                               ;   in Loop: Header=BB1_30 Depth=1
	s_or_b64 exec, exec, s[18:19]
.LBB1_91:                               ;   in Loop: Header=BB1_30 Depth=1
	s_or_b64 exec, exec, s[16:17]
.LBB1_92:                               ;   in Loop: Header=BB1_30 Depth=1
	s_or_b64 exec, exec, s[14:15]
	global_load_dwordx2 v[32:33], v31, s[10:11] offset:40
	global_load_dwordx4 v[24:27], v31, s[10:11]
	v_readfirstlane_b32 s15, v9
	v_readfirstlane_b32 s14, v8
	s_mov_b64 s[16:17], exec
	s_waitcnt vmcnt(1)
	v_readfirstlane_b32 s6, v32
	v_readfirstlane_b32 s7, v33
	s_and_b64 s[18:19], s[6:7], s[14:15]
	s_mul_i32 s6, s19, 24
	s_mul_hi_u32 s7, s18, 24
	s_mul_i32 s22, s18, 24
	s_add_i32 s6, s7, s6
	v_mov_b32_e32 v8, s6
	s_waitcnt vmcnt(0)
	v_add_co_u32_e64 v32, s[6:7], s22, v24
	v_addc_co_u32_e64 v33, s[6:7], v25, v8, s[6:7]
	s_and_saveexec_b64 s[6:7], s[4:5]
	s_cbranch_execz .LBB1_94
; %bb.93:                               ;   in Loop: Header=BB1_30 Depth=1
	v_mov_b32_e32 v8, s16
	v_mov_b32_e32 v9, s17
	global_store_dwordx4 v[32:33], v[8:11], off offset:8
.LBB1_94:                               ;   in Loop: Header=BB1_30 Depth=1
	s_or_b64 exec, exec, s[6:7]
	s_lshl_b64 s[6:7], s[18:19], 12
	v_cndmask_b32_e32 v39, 0, v29, vcc
	v_mov_b32_e32 v8, s7
	v_add_co_u32_e32 v26, vcc, s6, v26
	v_addc_co_u32_e32 v27, vcc, v27, v8, vcc
	v_cmp_gt_u64_e32 vcc, 57, v[28:29]
	v_and_b32_e32 v0, 0xffffff1f, v0
	v_cndmask_b32_e32 v8, 0, v36, vcc
	v_lshl_add_u32 v9, v38, 2, 28
	v_or_b32_e32 v0, v0, v8
	v_and_or_b32 v0, v9, s21, v0
	v_readfirstlane_b32 s6, v26
	v_readfirstlane_b32 s7, v27
	s_nop 4
	global_store_dwordx4 v35, v[0:3], s[6:7]
	global_store_dwordx4 v35, v[12:15], s[6:7] offset:16
	global_store_dwordx4 v35, v[16:19], s[6:7] offset:32
	global_store_dwordx4 v35, v[20:23], s[6:7] offset:48
	s_and_saveexec_b64 s[6:7], s[4:5]
	s_cbranch_execz .LBB1_102
; %bb.95:                               ;   in Loop: Header=BB1_30 Depth=1
	global_load_dwordx2 v[14:15], v31, s[10:11] offset:32 glc
	global_load_dwordx2 v[0:1], v31, s[10:11] offset:40
	v_mov_b32_e32 v12, s14
	v_mov_b32_e32 v13, s15
	s_waitcnt vmcnt(0)
	v_readfirstlane_b32 s16, v0
	v_readfirstlane_b32 s17, v1
	s_and_b64 s[16:17], s[16:17], s[14:15]
	s_mul_i32 s17, s17, 24
	s_mul_hi_u32 s18, s16, 24
	s_mul_i32 s16, s16, 24
	s_add_i32 s17, s18, s17
	v_mov_b32_e32 v0, s17
	v_add_co_u32_e32 v8, vcc, s16, v24
	v_addc_co_u32_e32 v9, vcc, v25, v0, vcc
	global_store_dwordx2 v[8:9], v[14:15], off
	s_waitcnt vmcnt(0)
	global_atomic_cmpswap_x2 v[2:3], v31, v[12:15], s[10:11] offset:32 glc
	s_waitcnt vmcnt(0)
	v_cmp_ne_u64_e32 vcc, v[2:3], v[14:15]
	s_and_saveexec_b64 s[16:17], vcc
	s_cbranch_execz .LBB1_98
; %bb.96:                               ;   in Loop: Header=BB1_30 Depth=1
	s_mov_b64 s[18:19], 0
.LBB1_97:                               ;   Parent Loop BB1_30 Depth=1
                                        ; =>  This Inner Loop Header: Depth=2
	s_sleep 1
	global_store_dwordx2 v[8:9], v[2:3], off
	v_mov_b32_e32 v0, s14
	v_mov_b32_e32 v1, s15
	s_waitcnt vmcnt(0)
	global_atomic_cmpswap_x2 v[0:1], v31, v[0:3], s[10:11] offset:32 glc
	s_waitcnt vmcnt(0)
	v_cmp_eq_u64_e32 vcc, v[0:1], v[2:3]
	v_mov_b32_e32 v3, v1
	s_or_b64 s[18:19], vcc, s[18:19]
	v_mov_b32_e32 v2, v0
	s_andn2_b64 exec, exec, s[18:19]
	s_cbranch_execnz .LBB1_97
.LBB1_98:                               ;   in Loop: Header=BB1_30 Depth=1
	s_or_b64 exec, exec, s[16:17]
	global_load_dwordx2 v[0:1], v31, s[10:11] offset:16
	s_mov_b64 s[18:19], exec
	v_mbcnt_lo_u32_b32 v2, s18, 0
	v_mbcnt_hi_u32_b32 v2, s19, v2
	v_cmp_eq_u32_e32 vcc, 0, v2
	s_and_saveexec_b64 s[16:17], vcc
	s_cbranch_execz .LBB1_100
; %bb.99:                               ;   in Loop: Header=BB1_30 Depth=1
	s_bcnt1_i32_b64 s18, s[18:19]
	v_mov_b32_e32 v30, s18
	s_waitcnt vmcnt(0)
	global_atomic_add_x2 v[0:1], v[30:31], off offset:8
.LBB1_100:                              ;   in Loop: Header=BB1_30 Depth=1
	s_or_b64 exec, exec, s[16:17]
	s_waitcnt vmcnt(0)
	global_load_dwordx2 v[2:3], v[0:1], off offset:16
	s_waitcnt vmcnt(0)
	v_cmp_eq_u64_e32 vcc, 0, v[2:3]
	s_cbranch_vccnz .LBB1_102
; %bb.101:                              ;   in Loop: Header=BB1_30 Depth=1
	global_load_dword v30, v[0:1], off offset:24
	s_waitcnt vmcnt(0)
	v_readfirstlane_b32 s16, v30
	s_and_b32 m0, s16, 0xffffff
	global_store_dwordx2 v[2:3], v[30:31], off
	s_sendmsg sendmsg(MSG_INTERRUPT)
.LBB1_102:                              ;   in Loop: Header=BB1_30 Depth=1
	s_or_b64 exec, exec, s[6:7]
	v_add_co_u32_e32 v0, vcc, v26, v35
	v_addc_co_u32_e32 v1, vcc, 0, v27, vcc
	s_branch .LBB1_106
.LBB1_103:                              ;   in Loop: Header=BB1_106 Depth=2
	s_or_b64 exec, exec, s[6:7]
	v_readfirstlane_b32 s6, v2
	s_cmp_eq_u32 s6, 0
	s_cbranch_scc1 .LBB1_105
; %bb.104:                              ;   in Loop: Header=BB1_106 Depth=2
	s_sleep 1
	s_cbranch_execnz .LBB1_106
	s_branch .LBB1_108
.LBB1_105:                              ;   in Loop: Header=BB1_30 Depth=1
	s_branch .LBB1_108
.LBB1_106:                              ;   Parent Loop BB1_30 Depth=1
                                        ; =>  This Inner Loop Header: Depth=2
	v_mov_b32_e32 v2, 1
	s_and_saveexec_b64 s[6:7], s[4:5]
	s_cbranch_execz .LBB1_103
; %bb.107:                              ;   in Loop: Header=BB1_106 Depth=2
	global_load_dword v2, v[32:33], off offset:20 glc
	s_waitcnt vmcnt(0)
	buffer_wbinvl1_vol
	v_and_b32_e32 v2, 1, v2
	s_branch .LBB1_103
.LBB1_108:                              ;   in Loop: Header=BB1_30 Depth=1
	global_load_dwordx2 v[0:1], v[0:1], off
	s_and_saveexec_b64 s[6:7], s[4:5]
	s_cbranch_execz .LBB1_29
; %bb.109:                              ;   in Loop: Header=BB1_30 Depth=1
	global_load_dwordx2 v[2:3], v31, s[10:11] offset:40
	global_load_dwordx2 v[16:17], v31, s[10:11] offset:24 glc
	global_load_dwordx2 v[8:9], v31, s[10:11]
	s_waitcnt vmcnt(2)
	v_readfirstlane_b32 s16, v2
	v_readfirstlane_b32 s17, v3
	s_add_u32 s18, s16, 1
	s_addc_u32 s19, s17, 0
	s_add_u32 s4, s18, s14
	s_addc_u32 s5, s19, s15
	s_cmp_eq_u64 s[4:5], 0
	s_cselect_b32 s5, s19, s5
	s_cselect_b32 s4, s18, s4
	s_and_b64 s[14:15], s[4:5], s[16:17]
	s_mul_i32 s15, s15, 24
	s_mul_hi_u32 s16, s14, 24
	s_mul_i32 s14, s14, 24
	s_add_i32 s15, s16, s15
	v_mov_b32_e32 v3, s15
	s_waitcnt vmcnt(0)
	v_add_co_u32_e32 v2, vcc, s14, v8
	v_addc_co_u32_e32 v3, vcc, v9, v3, vcc
	v_mov_b32_e32 v14, s4
	global_store_dwordx2 v[2:3], v[16:17], off
	v_mov_b32_e32 v15, s5
	s_waitcnt vmcnt(0)
	global_atomic_cmpswap_x2 v[14:15], v31, v[14:17], s[10:11] offset:24 glc
	s_waitcnt vmcnt(0)
	v_cmp_ne_u64_e32 vcc, v[14:15], v[16:17]
	s_and_b64 exec, exec, vcc
	s_cbranch_execz .LBB1_29
; %bb.110:                              ;   in Loop: Header=BB1_30 Depth=1
	s_mov_b64 s[14:15], 0
.LBB1_111:                              ;   Parent Loop BB1_30 Depth=1
                                        ; =>  This Inner Loop Header: Depth=2
	s_sleep 1
	global_store_dwordx2 v[2:3], v[14:15], off
	v_mov_b32_e32 v12, s4
	v_mov_b32_e32 v13, s5
	s_waitcnt vmcnt(0)
	global_atomic_cmpswap_x2 v[8:9], v31, v[12:15], s[10:11] offset:24 glc
	s_waitcnt vmcnt(0)
	v_cmp_eq_u64_e32 vcc, v[8:9], v[14:15]
	v_mov_b32_e32 v15, v9
	s_or_b64 s[14:15], vcc, s[14:15]
	v_mov_b32_e32 v14, v8
	s_andn2_b64 exec, exec, s[14:15]
	s_cbranch_execnz .LBB1_111
	s_branch .LBB1_29
.LBB1_112:
                                        ; implicit-def: $vgpr0_vgpr1
	s_cbranch_execnz .LBB1_114
	s_branch .LBB1_140
.LBB1_113:
	s_or_b64 exec, exec, s[12:13]
	s_branch .LBB1_140
.LBB1_114:
	v_readfirstlane_b32 s4, v34
	v_mov_b32_e32 v9, 0
	v_mov_b32_e32 v10, 0
	v_cmp_eq_u32_e64 s[4:5], s4, v34
	s_and_saveexec_b64 s[6:7], s[4:5]
	s_cbranch_execz .LBB1_120
; %bb.115:
	s_waitcnt vmcnt(0)
	v_mov_b32_e32 v0, 0
	global_load_dwordx2 v[11:12], v0, s[10:11] offset:24 glc
	s_waitcnt vmcnt(0)
	buffer_wbinvl1_vol
	global_load_dwordx2 v[1:2], v0, s[10:11] offset:40
	global_load_dwordx2 v[8:9], v0, s[10:11]
	s_waitcnt vmcnt(1)
	v_and_b32_e32 v1, v1, v11
	v_and_b32_e32 v2, v2, v12
	v_mul_lo_u32 v2, v2, 24
	v_mul_hi_u32 v3, v1, 24
	v_mul_lo_u32 v1, v1, 24
	v_add_u32_e32 v2, v3, v2
	s_waitcnt vmcnt(0)
	v_add_co_u32_e32 v1, vcc, v8, v1
	v_addc_co_u32_e32 v2, vcc, v9, v2, vcc
	global_load_dwordx2 v[9:10], v[1:2], off glc
	s_waitcnt vmcnt(0)
	global_atomic_cmpswap_x2 v[9:10], v0, v[9:12], s[10:11] offset:24 glc
	s_waitcnt vmcnt(0)
	buffer_wbinvl1_vol
	v_cmp_ne_u64_e32 vcc, v[9:10], v[11:12]
	s_and_saveexec_b64 s[12:13], vcc
	s_cbranch_execz .LBB1_119
; %bb.116:
	s_mov_b64 s[14:15], 0
.LBB1_117:                              ; =>This Inner Loop Header: Depth=1
	s_sleep 1
	global_load_dwordx2 v[1:2], v0, s[10:11] offset:40
	global_load_dwordx2 v[13:14], v0, s[10:11]
	v_mov_b32_e32 v12, v10
	v_mov_b32_e32 v11, v9
	s_waitcnt vmcnt(1)
	v_and_b32_e32 v1, v1, v11
	s_waitcnt vmcnt(0)
	v_mad_u64_u32 v[8:9], s[16:17], v1, 24, v[13:14]
	v_and_b32_e32 v2, v2, v12
	v_mov_b32_e32 v1, v9
	v_mad_u64_u32 v[1:2], s[16:17], v2, 24, v[1:2]
	v_mov_b32_e32 v9, v1
	global_load_dwordx2 v[9:10], v[8:9], off glc
	s_waitcnt vmcnt(0)
	global_atomic_cmpswap_x2 v[9:10], v0, v[9:12], s[10:11] offset:24 glc
	s_waitcnt vmcnt(0)
	buffer_wbinvl1_vol
	v_cmp_eq_u64_e32 vcc, v[9:10], v[11:12]
	s_or_b64 s[14:15], vcc, s[14:15]
	s_andn2_b64 exec, exec, s[14:15]
	s_cbranch_execnz .LBB1_117
; %bb.118:
	s_or_b64 exec, exec, s[14:15]
.LBB1_119:
	s_or_b64 exec, exec, s[12:13]
.LBB1_120:
	s_or_b64 exec, exec, s[6:7]
	v_mov_b32_e32 v8, 0
	global_load_dwordx2 v[11:12], v8, s[10:11] offset:40
	global_load_dwordx4 v[0:3], v8, s[10:11]
	v_readfirstlane_b32 s7, v10
	v_readfirstlane_b32 s6, v9
	s_mov_b64 s[12:13], exec
	s_waitcnt vmcnt(1)
	v_readfirstlane_b32 s14, v11
	v_readfirstlane_b32 s15, v12
	s_and_b64 s[14:15], s[14:15], s[6:7]
	s_mul_i32 s16, s15, 24
	s_mul_hi_u32 s17, s14, 24
	s_mul_i32 s18, s14, 24
	s_add_i32 s16, s17, s16
	v_mov_b32_e32 v9, s16
	s_waitcnt vmcnt(0)
	v_add_co_u32_e32 v10, vcc, s18, v0
	v_addc_co_u32_e32 v11, vcc, v1, v9, vcc
	s_and_saveexec_b64 s[16:17], s[4:5]
	s_cbranch_execz .LBB1_122
; %bb.121:
	v_mov_b32_e32 v12, s12
	v_mov_b32_e32 v13, s13
	;; [unrolled: 1-line block ×4, first 2 shown]
	global_store_dwordx4 v[10:11], v[12:15], off offset:8
.LBB1_122:
	s_or_b64 exec, exec, s[16:17]
	s_lshl_b64 s[12:13], s[14:15], 12
	v_mov_b32_e32 v9, s13
	v_add_co_u32_e32 v2, vcc, s12, v2
	v_addc_co_u32_e32 v3, vcc, v3, v9, vcc
	s_movk_i32 s12, 0xff1f
	v_and_or_b32 v6, v6, s12, 32
	s_mov_b32 s12, 0
	v_mov_b32_e32 v9, v8
	v_readfirstlane_b32 s16, v2
	v_readfirstlane_b32 s17, v3
	v_add_co_u32_e32 v12, vcc, v2, v35
	s_mov_b32 s13, s12
	s_mov_b32 s14, s12
	;; [unrolled: 1-line block ×3, first 2 shown]
	s_nop 0
	global_store_dwordx4 v35, v[6:9], s[16:17]
	v_addc_co_u32_e32 v13, vcc, 0, v3, vcc
	v_mov_b32_e32 v6, s12
	v_mov_b32_e32 v7, s13
	;; [unrolled: 1-line block ×4, first 2 shown]
	global_store_dwordx4 v35, v[6:9], s[16:17] offset:16
	global_store_dwordx4 v35, v[6:9], s[16:17] offset:32
	;; [unrolled: 1-line block ×3, first 2 shown]
	s_and_saveexec_b64 s[12:13], s[4:5]
	s_cbranch_execz .LBB1_130
; %bb.123:
	v_mov_b32_e32 v8, 0
	global_load_dwordx2 v[16:17], v8, s[10:11] offset:32 glc
	global_load_dwordx2 v[2:3], v8, s[10:11] offset:40
	v_mov_b32_e32 v14, s6
	v_mov_b32_e32 v15, s7
	s_waitcnt vmcnt(0)
	v_readfirstlane_b32 s14, v2
	v_readfirstlane_b32 s15, v3
	s_and_b64 s[14:15], s[14:15], s[6:7]
	s_mul_i32 s15, s15, 24
	s_mul_hi_u32 s16, s14, 24
	s_mul_i32 s14, s14, 24
	s_add_i32 s15, s16, s15
	v_mov_b32_e32 v2, s15
	v_add_co_u32_e32 v6, vcc, s14, v0
	v_addc_co_u32_e32 v7, vcc, v1, v2, vcc
	global_store_dwordx2 v[6:7], v[16:17], off
	s_waitcnt vmcnt(0)
	global_atomic_cmpswap_x2 v[2:3], v8, v[14:17], s[10:11] offset:32 glc
	s_waitcnt vmcnt(0)
	v_cmp_ne_u64_e32 vcc, v[2:3], v[16:17]
	s_and_saveexec_b64 s[14:15], vcc
	s_cbranch_execz .LBB1_126
; %bb.124:
	s_mov_b64 s[16:17], 0
.LBB1_125:                              ; =>This Inner Loop Header: Depth=1
	s_sleep 1
	global_store_dwordx2 v[6:7], v[2:3], off
	v_mov_b32_e32 v0, s6
	v_mov_b32_e32 v1, s7
	s_waitcnt vmcnt(0)
	global_atomic_cmpswap_x2 v[0:1], v8, v[0:3], s[10:11] offset:32 glc
	s_waitcnt vmcnt(0)
	v_cmp_eq_u64_e32 vcc, v[0:1], v[2:3]
	v_mov_b32_e32 v3, v1
	s_or_b64 s[16:17], vcc, s[16:17]
	v_mov_b32_e32 v2, v0
	s_andn2_b64 exec, exec, s[16:17]
	s_cbranch_execnz .LBB1_125
.LBB1_126:
	s_or_b64 exec, exec, s[14:15]
	v_mov_b32_e32 v3, 0
	global_load_dwordx2 v[0:1], v3, s[10:11] offset:16
	s_mov_b64 s[14:15], exec
	v_mbcnt_lo_u32_b32 v2, s14, 0
	v_mbcnt_hi_u32_b32 v2, s15, v2
	v_cmp_eq_u32_e32 vcc, 0, v2
	s_and_saveexec_b64 s[16:17], vcc
	s_cbranch_execz .LBB1_128
; %bb.127:
	s_bcnt1_i32_b64 s14, s[14:15]
	v_mov_b32_e32 v2, s14
	s_waitcnt vmcnt(0)
	global_atomic_add_x2 v[0:1], v[2:3], off offset:8
.LBB1_128:
	s_or_b64 exec, exec, s[16:17]
	s_waitcnt vmcnt(0)
	global_load_dwordx2 v[2:3], v[0:1], off offset:16
	s_waitcnt vmcnt(0)
	v_cmp_eq_u64_e32 vcc, 0, v[2:3]
	s_cbranch_vccnz .LBB1_130
; %bb.129:
	global_load_dword v0, v[0:1], off offset:24
	v_mov_b32_e32 v1, 0
	s_waitcnt vmcnt(0)
	v_readfirstlane_b32 s14, v0
	s_and_b32 m0, s14, 0xffffff
	global_store_dwordx2 v[2:3], v[0:1], off
	s_sendmsg sendmsg(MSG_INTERRUPT)
.LBB1_130:
	s_or_b64 exec, exec, s[12:13]
	s_branch .LBB1_134
.LBB1_131:                              ;   in Loop: Header=BB1_134 Depth=1
	s_or_b64 exec, exec, s[12:13]
	v_readfirstlane_b32 s12, v0
	s_cmp_eq_u32 s12, 0
	s_cbranch_scc1 .LBB1_133
; %bb.132:                              ;   in Loop: Header=BB1_134 Depth=1
	s_sleep 1
	s_cbranch_execnz .LBB1_134
	s_branch .LBB1_136
.LBB1_133:
	s_branch .LBB1_136
.LBB1_134:                              ; =>This Inner Loop Header: Depth=1
	v_mov_b32_e32 v0, 1
	s_and_saveexec_b64 s[12:13], s[4:5]
	s_cbranch_execz .LBB1_131
; %bb.135:                              ;   in Loop: Header=BB1_134 Depth=1
	global_load_dword v0, v[10:11], off offset:20 glc
	s_waitcnt vmcnt(0)
	buffer_wbinvl1_vol
	v_and_b32_e32 v0, 1, v0
	s_branch .LBB1_131
.LBB1_136:
	global_load_dwordx2 v[0:1], v[12:13], off
	s_and_saveexec_b64 s[12:13], s[4:5]
	s_cbranch_execz .LBB1_139
; %bb.137:
	v_mov_b32_e32 v10, 0
	global_load_dwordx2 v[2:3], v10, s[10:11] offset:40
	global_load_dwordx2 v[13:14], v10, s[10:11] offset:24 glc
	global_load_dwordx2 v[6:7], v10, s[10:11]
	s_waitcnt vmcnt(2)
	v_readfirstlane_b32 s14, v2
	v_readfirstlane_b32 s15, v3
	s_add_u32 s16, s14, 1
	s_addc_u32 s17, s15, 0
	s_add_u32 s4, s16, s6
	s_addc_u32 s5, s17, s7
	s_cmp_eq_u64 s[4:5], 0
	s_cselect_b32 s5, s17, s5
	s_cselect_b32 s4, s16, s4
	s_and_b64 s[6:7], s[4:5], s[14:15]
	s_mul_i32 s7, s7, 24
	s_mul_hi_u32 s14, s6, 24
	s_mul_i32 s6, s6, 24
	s_add_i32 s7, s14, s7
	v_mov_b32_e32 v3, s7
	s_waitcnt vmcnt(0)
	v_add_co_u32_e32 v2, vcc, s6, v6
	v_addc_co_u32_e32 v3, vcc, v7, v3, vcc
	v_mov_b32_e32 v11, s4
	global_store_dwordx2 v[2:3], v[13:14], off
	v_mov_b32_e32 v12, s5
	s_waitcnt vmcnt(0)
	global_atomic_cmpswap_x2 v[8:9], v10, v[11:14], s[10:11] offset:24 glc
	s_mov_b64 s[6:7], 0
	s_waitcnt vmcnt(0)
	v_cmp_ne_u64_e32 vcc, v[8:9], v[13:14]
	s_and_b64 exec, exec, vcc
	s_cbranch_execz .LBB1_139
.LBB1_138:                              ; =>This Inner Loop Header: Depth=1
	s_sleep 1
	global_store_dwordx2 v[2:3], v[8:9], off
	v_mov_b32_e32 v6, s4
	v_mov_b32_e32 v7, s5
	s_waitcnt vmcnt(0)
	global_atomic_cmpswap_x2 v[6:7], v10, v[6:9], s[10:11] offset:24 glc
	s_waitcnt vmcnt(0)
	v_cmp_eq_u64_e32 vcc, v[6:7], v[8:9]
	v_mov_b32_e32 v9, v7
	s_or_b64 s[6:7], vcc, s[6:7]
	v_mov_b32_e32 v8, v6
	s_andn2_b64 exec, exec, s[6:7]
	s_cbranch_execnz .LBB1_138
.LBB1_139:
	s_or_b64 exec, exec, s[12:13]
.LBB1_140:
	s_getpc_b64 s[6:7]
	s_add_u32 s6, s6, .str.4@rel32@lo+4
	s_addc_u32 s7, s7, .str.4@rel32@hi+12
	s_cmp_lg_u64 s[6:7], 0
	s_cbranch_scc0 .LBB1_225
; %bb.141:
	s_getpc_b64 s[4:5]
	s_add_u32 s4, s4, .str.4@rel32@lo+80
	s_addc_u32 s5, s5, .str.4@rel32@hi+88
	s_sub_i32 s12, s4, s6
	s_ashr_i32 s13, s12, 31
	s_waitcnt vmcnt(0)
	v_and_b32_e32 v32, 2, v0
	v_mov_b32_e32 v3, 0
	v_and_b32_e32 v6, -3, v0
	v_mov_b32_e32 v7, v1
	v_mov_b32_e32 v12, 2
	;; [unrolled: 1-line block ×3, first 2 shown]
	s_branch .LBB1_143
.LBB1_142:                              ;   in Loop: Header=BB1_143 Depth=1
	s_or_b64 exec, exec, s[18:19]
	s_sub_u32 s12, s12, s14
	s_subb_u32 s13, s13, s15
	s_add_u32 s6, s6, s14
	s_addc_u32 s7, s7, s15
	s_cmp_lg_u64 s[12:13], 0
	s_cbranch_scc0 .LBB1_226
.LBB1_143:                              ; =>This Loop Header: Depth=1
                                        ;     Child Loop BB1_146 Depth 2
                                        ;     Child Loop BB1_154 Depth 2
                                        ;     Child Loop BB1_162 Depth 2
                                        ;     Child Loop BB1_170 Depth 2
                                        ;     Child Loop BB1_178 Depth 2
                                        ;     Child Loop BB1_186 Depth 2
                                        ;     Child Loop BB1_194 Depth 2
                                        ;     Child Loop BB1_202 Depth 2
                                        ;     Child Loop BB1_210 Depth 2
                                        ;     Child Loop BB1_219 Depth 2
                                        ;     Child Loop BB1_224 Depth 2
	v_cmp_lt_u64_e64 s[4:5], s[12:13], 56
	v_cmp_gt_u64_e64 s[16:17], s[12:13], 7
	s_and_b64 s[4:5], s[4:5], exec
	s_cselect_b32 s15, s13, 0
	s_cselect_b32 s14, s12, 56
	s_add_u32 s4, s6, 8
	s_addc_u32 s5, s7, 0
	s_and_b64 vcc, exec, s[16:17]
	s_cbranch_vccnz .LBB1_147
; %bb.144:                              ;   in Loop: Header=BB1_143 Depth=1
	s_cmp_eq_u64 s[12:13], 0
	s_cbranch_scc1 .LBB1_148
; %bb.145:                              ;   in Loop: Header=BB1_143 Depth=1
	v_mov_b32_e32 v8, 0
	s_lshl_b64 s[4:5], s[14:15], 3
	s_mov_b64 s[16:17], 0
	v_mov_b32_e32 v9, 0
	s_mov_b64 s[18:19], s[6:7]
.LBB1_146:                              ;   Parent Loop BB1_143 Depth=1
                                        ; =>  This Inner Loop Header: Depth=2
	global_load_ubyte v2, v3, s[18:19]
	s_waitcnt vmcnt(0)
	v_and_b32_e32 v2, 0xffff, v2
	v_lshlrev_b64 v[10:11], s16, v[2:3]
	s_add_u32 s16, s16, 8
	s_addc_u32 s17, s17, 0
	s_add_u32 s18, s18, 1
	s_addc_u32 s19, s19, 0
	v_or_b32_e32 v8, v10, v8
	s_cmp_lg_u32 s4, s16
	v_or_b32_e32 v9, v11, v9
	s_cbranch_scc1 .LBB1_146
	s_branch .LBB1_149
.LBB1_147:                              ;   in Loop: Header=BB1_143 Depth=1
	s_mov_b32 s20, 0
	s_branch .LBB1_150
.LBB1_148:                              ;   in Loop: Header=BB1_143 Depth=1
	v_mov_b32_e32 v8, 0
	v_mov_b32_e32 v9, 0
.LBB1_149:                              ;   in Loop: Header=BB1_143 Depth=1
	s_mov_b64 s[4:5], s[6:7]
	s_mov_b32 s20, 0
	s_cbranch_execnz .LBB1_151
.LBB1_150:                              ;   in Loop: Header=BB1_143 Depth=1
	global_load_dwordx2 v[8:9], v3, s[6:7]
	s_add_i32 s20, s14, -8
.LBB1_151:                              ;   in Loop: Header=BB1_143 Depth=1
	s_add_u32 s16, s4, 8
	s_addc_u32 s17, s5, 0
	s_cmp_gt_u32 s20, 7
	s_cbranch_scc1 .LBB1_155
; %bb.152:                              ;   in Loop: Header=BB1_143 Depth=1
	s_cmp_eq_u32 s20, 0
	s_cbranch_scc1 .LBB1_156
; %bb.153:                              ;   in Loop: Header=BB1_143 Depth=1
	v_mov_b32_e32 v14, 0
	s_mov_b64 s[16:17], 0
	v_mov_b32_e32 v15, 0
	s_mov_b64 s[18:19], 0
.LBB1_154:                              ;   Parent Loop BB1_143 Depth=1
                                        ; =>  This Inner Loop Header: Depth=2
	s_add_u32 s22, s4, s18
	s_addc_u32 s23, s5, s19
	global_load_ubyte v2, v3, s[22:23]
	s_add_u32 s18, s18, 1
	s_addc_u32 s19, s19, 0
	s_waitcnt vmcnt(0)
	v_and_b32_e32 v2, 0xffff, v2
	v_lshlrev_b64 v[10:11], s16, v[2:3]
	s_add_u32 s16, s16, 8
	s_addc_u32 s17, s17, 0
	v_or_b32_e32 v14, v10, v14
	s_cmp_lg_u32 s20, s18
	v_or_b32_e32 v15, v11, v15
	s_cbranch_scc1 .LBB1_154
	s_branch .LBB1_157
.LBB1_155:                              ;   in Loop: Header=BB1_143 Depth=1
                                        ; implicit-def: $vgpr14_vgpr15
	s_mov_b32 s21, 0
	s_branch .LBB1_158
.LBB1_156:                              ;   in Loop: Header=BB1_143 Depth=1
	v_mov_b32_e32 v14, 0
	v_mov_b32_e32 v15, 0
.LBB1_157:                              ;   in Loop: Header=BB1_143 Depth=1
	s_mov_b64 s[16:17], s[4:5]
	s_mov_b32 s21, 0
	s_cbranch_execnz .LBB1_159
.LBB1_158:                              ;   in Loop: Header=BB1_143 Depth=1
	global_load_dwordx2 v[14:15], v3, s[4:5]
	s_add_i32 s21, s20, -8
.LBB1_159:                              ;   in Loop: Header=BB1_143 Depth=1
	s_add_u32 s4, s16, 8
	s_addc_u32 s5, s17, 0
	s_cmp_gt_u32 s21, 7
	s_cbranch_scc1 .LBB1_163
; %bb.160:                              ;   in Loop: Header=BB1_143 Depth=1
	s_cmp_eq_u32 s21, 0
	s_cbranch_scc1 .LBB1_164
; %bb.161:                              ;   in Loop: Header=BB1_143 Depth=1
	v_mov_b32_e32 v16, 0
	s_mov_b64 s[4:5], 0
	v_mov_b32_e32 v17, 0
	s_mov_b64 s[18:19], 0
.LBB1_162:                              ;   Parent Loop BB1_143 Depth=1
                                        ; =>  This Inner Loop Header: Depth=2
	s_add_u32 s22, s16, s18
	s_addc_u32 s23, s17, s19
	global_load_ubyte v2, v3, s[22:23]
	s_add_u32 s18, s18, 1
	s_addc_u32 s19, s19, 0
	s_waitcnt vmcnt(0)
	v_and_b32_e32 v2, 0xffff, v2
	v_lshlrev_b64 v[10:11], s4, v[2:3]
	s_add_u32 s4, s4, 8
	s_addc_u32 s5, s5, 0
	v_or_b32_e32 v16, v10, v16
	s_cmp_lg_u32 s21, s18
	v_or_b32_e32 v17, v11, v17
	s_cbranch_scc1 .LBB1_162
	s_branch .LBB1_165
.LBB1_163:                              ;   in Loop: Header=BB1_143 Depth=1
	s_mov_b32 s20, 0
	s_branch .LBB1_166
.LBB1_164:                              ;   in Loop: Header=BB1_143 Depth=1
	v_mov_b32_e32 v16, 0
	v_mov_b32_e32 v17, 0
.LBB1_165:                              ;   in Loop: Header=BB1_143 Depth=1
	s_mov_b64 s[4:5], s[16:17]
	s_mov_b32 s20, 0
	s_cbranch_execnz .LBB1_167
.LBB1_166:                              ;   in Loop: Header=BB1_143 Depth=1
	global_load_dwordx2 v[16:17], v3, s[16:17]
	s_add_i32 s20, s21, -8
.LBB1_167:                              ;   in Loop: Header=BB1_143 Depth=1
	s_add_u32 s16, s4, 8
	s_addc_u32 s17, s5, 0
	s_cmp_gt_u32 s20, 7
	s_cbranch_scc1 .LBB1_171
; %bb.168:                              ;   in Loop: Header=BB1_143 Depth=1
	s_cmp_eq_u32 s20, 0
	s_cbranch_scc1 .LBB1_172
; %bb.169:                              ;   in Loop: Header=BB1_143 Depth=1
	v_mov_b32_e32 v18, 0
	s_mov_b64 s[16:17], 0
	v_mov_b32_e32 v19, 0
	s_mov_b64 s[18:19], 0
.LBB1_170:                              ;   Parent Loop BB1_143 Depth=1
                                        ; =>  This Inner Loop Header: Depth=2
	s_add_u32 s22, s4, s18
	s_addc_u32 s23, s5, s19
	global_load_ubyte v2, v3, s[22:23]
	s_add_u32 s18, s18, 1
	s_addc_u32 s19, s19, 0
	s_waitcnt vmcnt(0)
	v_and_b32_e32 v2, 0xffff, v2
	v_lshlrev_b64 v[10:11], s16, v[2:3]
	s_add_u32 s16, s16, 8
	s_addc_u32 s17, s17, 0
	v_or_b32_e32 v18, v10, v18
	s_cmp_lg_u32 s20, s18
	v_or_b32_e32 v19, v11, v19
	s_cbranch_scc1 .LBB1_170
	s_branch .LBB1_173
.LBB1_171:                              ;   in Loop: Header=BB1_143 Depth=1
                                        ; implicit-def: $vgpr18_vgpr19
	s_mov_b32 s21, 0
	s_branch .LBB1_174
.LBB1_172:                              ;   in Loop: Header=BB1_143 Depth=1
	v_mov_b32_e32 v18, 0
	v_mov_b32_e32 v19, 0
.LBB1_173:                              ;   in Loop: Header=BB1_143 Depth=1
	s_mov_b64 s[16:17], s[4:5]
	s_mov_b32 s21, 0
	s_cbranch_execnz .LBB1_175
.LBB1_174:                              ;   in Loop: Header=BB1_143 Depth=1
	global_load_dwordx2 v[18:19], v3, s[4:5]
	s_add_i32 s21, s20, -8
.LBB1_175:                              ;   in Loop: Header=BB1_143 Depth=1
	s_add_u32 s4, s16, 8
	s_addc_u32 s5, s17, 0
	s_cmp_gt_u32 s21, 7
	s_cbranch_scc1 .LBB1_179
; %bb.176:                              ;   in Loop: Header=BB1_143 Depth=1
	s_cmp_eq_u32 s21, 0
	s_cbranch_scc1 .LBB1_180
; %bb.177:                              ;   in Loop: Header=BB1_143 Depth=1
	v_mov_b32_e32 v20, 0
	s_mov_b64 s[4:5], 0
	v_mov_b32_e32 v21, 0
	s_mov_b64 s[18:19], 0
.LBB1_178:                              ;   Parent Loop BB1_143 Depth=1
                                        ; =>  This Inner Loop Header: Depth=2
	s_add_u32 s22, s16, s18
	s_addc_u32 s23, s17, s19
	global_load_ubyte v2, v3, s[22:23]
	s_add_u32 s18, s18, 1
	s_addc_u32 s19, s19, 0
	s_waitcnt vmcnt(0)
	v_and_b32_e32 v2, 0xffff, v2
	v_lshlrev_b64 v[10:11], s4, v[2:3]
	s_add_u32 s4, s4, 8
	s_addc_u32 s5, s5, 0
	v_or_b32_e32 v20, v10, v20
	s_cmp_lg_u32 s21, s18
	v_or_b32_e32 v21, v11, v21
	s_cbranch_scc1 .LBB1_178
	s_branch .LBB1_181
.LBB1_179:                              ;   in Loop: Header=BB1_143 Depth=1
	s_mov_b32 s20, 0
	s_branch .LBB1_182
.LBB1_180:                              ;   in Loop: Header=BB1_143 Depth=1
	v_mov_b32_e32 v20, 0
	v_mov_b32_e32 v21, 0
.LBB1_181:                              ;   in Loop: Header=BB1_143 Depth=1
	s_mov_b64 s[4:5], s[16:17]
	s_mov_b32 s20, 0
	s_cbranch_execnz .LBB1_183
.LBB1_182:                              ;   in Loop: Header=BB1_143 Depth=1
	global_load_dwordx2 v[20:21], v3, s[16:17]
	s_add_i32 s20, s21, -8
.LBB1_183:                              ;   in Loop: Header=BB1_143 Depth=1
	s_add_u32 s16, s4, 8
	s_addc_u32 s17, s5, 0
	s_cmp_gt_u32 s20, 7
	s_cbranch_scc1 .LBB1_187
; %bb.184:                              ;   in Loop: Header=BB1_143 Depth=1
	s_cmp_eq_u32 s20, 0
	s_cbranch_scc1 .LBB1_188
; %bb.185:                              ;   in Loop: Header=BB1_143 Depth=1
	v_mov_b32_e32 v22, 0
	s_mov_b64 s[16:17], 0
	v_mov_b32_e32 v23, 0
	s_mov_b64 s[18:19], 0
.LBB1_186:                              ;   Parent Loop BB1_143 Depth=1
                                        ; =>  This Inner Loop Header: Depth=2
	s_add_u32 s22, s4, s18
	s_addc_u32 s23, s5, s19
	global_load_ubyte v2, v3, s[22:23]
	s_add_u32 s18, s18, 1
	s_addc_u32 s19, s19, 0
	s_waitcnt vmcnt(0)
	v_and_b32_e32 v2, 0xffff, v2
	v_lshlrev_b64 v[10:11], s16, v[2:3]
	s_add_u32 s16, s16, 8
	s_addc_u32 s17, s17, 0
	v_or_b32_e32 v22, v10, v22
	s_cmp_lg_u32 s20, s18
	v_or_b32_e32 v23, v11, v23
	s_cbranch_scc1 .LBB1_186
	s_branch .LBB1_189
.LBB1_187:                              ;   in Loop: Header=BB1_143 Depth=1
                                        ; implicit-def: $vgpr22_vgpr23
	s_mov_b32 s21, 0
	s_branch .LBB1_190
.LBB1_188:                              ;   in Loop: Header=BB1_143 Depth=1
	v_mov_b32_e32 v22, 0
	v_mov_b32_e32 v23, 0
.LBB1_189:                              ;   in Loop: Header=BB1_143 Depth=1
	s_mov_b64 s[16:17], s[4:5]
	s_mov_b32 s21, 0
	s_cbranch_execnz .LBB1_191
.LBB1_190:                              ;   in Loop: Header=BB1_143 Depth=1
	global_load_dwordx2 v[22:23], v3, s[4:5]
	s_add_i32 s21, s20, -8
.LBB1_191:                              ;   in Loop: Header=BB1_143 Depth=1
	s_cmp_gt_u32 s21, 7
	s_cbranch_scc1 .LBB1_195
; %bb.192:                              ;   in Loop: Header=BB1_143 Depth=1
	s_cmp_eq_u32 s21, 0
	s_cbranch_scc1 .LBB1_196
; %bb.193:                              ;   in Loop: Header=BB1_143 Depth=1
	v_mov_b32_e32 v24, 0
	s_mov_b64 s[4:5], 0
	v_mov_b32_e32 v25, 0
	s_mov_b64 s[18:19], s[16:17]
.LBB1_194:                              ;   Parent Loop BB1_143 Depth=1
                                        ; =>  This Inner Loop Header: Depth=2
	global_load_ubyte v2, v3, s[18:19]
	s_add_i32 s21, s21, -1
	s_waitcnt vmcnt(0)
	v_and_b32_e32 v2, 0xffff, v2
	v_lshlrev_b64 v[10:11], s4, v[2:3]
	s_add_u32 s4, s4, 8
	s_addc_u32 s5, s5, 0
	s_add_u32 s18, s18, 1
	s_addc_u32 s19, s19, 0
	v_or_b32_e32 v24, v10, v24
	s_cmp_lg_u32 s21, 0
	v_or_b32_e32 v25, v11, v25
	s_cbranch_scc1 .LBB1_194
	s_branch .LBB1_197
.LBB1_195:                              ;   in Loop: Header=BB1_143 Depth=1
	s_branch .LBB1_198
.LBB1_196:                              ;   in Loop: Header=BB1_143 Depth=1
	v_mov_b32_e32 v24, 0
	v_mov_b32_e32 v25, 0
.LBB1_197:                              ;   in Loop: Header=BB1_143 Depth=1
	s_cbranch_execnz .LBB1_199
.LBB1_198:                              ;   in Loop: Header=BB1_143 Depth=1
	global_load_dwordx2 v[24:25], v3, s[16:17]
.LBB1_199:                              ;   in Loop: Header=BB1_143 Depth=1
	v_readfirstlane_b32 s4, v34
	v_mov_b32_e32 v10, 0
	v_mov_b32_e32 v11, 0
	v_cmp_eq_u32_e64 s[4:5], s4, v34
	s_and_saveexec_b64 s[16:17], s[4:5]
	s_cbranch_execz .LBB1_205
; %bb.200:                              ;   in Loop: Header=BB1_143 Depth=1
	global_load_dwordx2 v[28:29], v3, s[10:11] offset:24 glc
	s_waitcnt vmcnt(0)
	buffer_wbinvl1_vol
	global_load_dwordx2 v[10:11], v3, s[10:11] offset:40
	global_load_dwordx2 v[26:27], v3, s[10:11]
	s_waitcnt vmcnt(1)
	v_and_b32_e32 v2, v10, v28
	v_and_b32_e32 v10, v11, v29
	v_mul_lo_u32 v10, v10, 24
	v_mul_hi_u32 v11, v2, 24
	v_mul_lo_u32 v2, v2, 24
	v_add_u32_e32 v11, v11, v10
	s_waitcnt vmcnt(0)
	v_add_co_u32_e32 v10, vcc, v26, v2
	v_addc_co_u32_e32 v11, vcc, v27, v11, vcc
	global_load_dwordx2 v[26:27], v[10:11], off glc
	s_waitcnt vmcnt(0)
	global_atomic_cmpswap_x2 v[10:11], v3, v[26:29], s[10:11] offset:24 glc
	s_waitcnt vmcnt(0)
	buffer_wbinvl1_vol
	v_cmp_ne_u64_e32 vcc, v[10:11], v[28:29]
	s_and_saveexec_b64 s[18:19], vcc
	s_cbranch_execz .LBB1_204
; %bb.201:                              ;   in Loop: Header=BB1_143 Depth=1
	s_mov_b64 s[20:21], 0
.LBB1_202:                              ;   Parent Loop BB1_143 Depth=1
                                        ; =>  This Inner Loop Header: Depth=2
	s_sleep 1
	global_load_dwordx2 v[26:27], v3, s[10:11] offset:40
	global_load_dwordx2 v[30:31], v3, s[10:11]
	v_mov_b32_e32 v29, v11
	v_mov_b32_e32 v28, v10
	s_waitcnt vmcnt(1)
	v_and_b32_e32 v2, v26, v28
	s_waitcnt vmcnt(0)
	v_mad_u64_u32 v[10:11], s[22:23], v2, 24, v[30:31]
	v_and_b32_e32 v26, v27, v29
	v_mov_b32_e32 v2, v11
	v_mad_u64_u32 v[26:27], s[22:23], v26, 24, v[2:3]
	v_mov_b32_e32 v11, v26
	global_load_dwordx2 v[26:27], v[10:11], off glc
	s_waitcnt vmcnt(0)
	global_atomic_cmpswap_x2 v[10:11], v3, v[26:29], s[10:11] offset:24 glc
	s_waitcnt vmcnt(0)
	buffer_wbinvl1_vol
	v_cmp_eq_u64_e32 vcc, v[10:11], v[28:29]
	s_or_b64 s[20:21], vcc, s[20:21]
	s_andn2_b64 exec, exec, s[20:21]
	s_cbranch_execnz .LBB1_202
; %bb.203:                              ;   in Loop: Header=BB1_143 Depth=1
	s_or_b64 exec, exec, s[20:21]
.LBB1_204:                              ;   in Loop: Header=BB1_143 Depth=1
	s_or_b64 exec, exec, s[18:19]
.LBB1_205:                              ;   in Loop: Header=BB1_143 Depth=1
	s_or_b64 exec, exec, s[16:17]
	global_load_dwordx2 v[30:31], v3, s[10:11] offset:40
	global_load_dwordx4 v[26:29], v3, s[10:11]
	v_readfirstlane_b32 s17, v11
	v_readfirstlane_b32 s16, v10
	s_mov_b64 s[18:19], exec
	s_waitcnt vmcnt(1)
	v_readfirstlane_b32 s20, v30
	v_readfirstlane_b32 s21, v31
	s_and_b64 s[20:21], s[20:21], s[16:17]
	s_mul_i32 s22, s21, 24
	s_mul_hi_u32 s23, s20, 24
	s_mul_i32 s24, s20, 24
	s_add_i32 s22, s23, s22
	v_mov_b32_e32 v2, s22
	s_waitcnt vmcnt(0)
	v_add_co_u32_e32 v30, vcc, s24, v26
	v_addc_co_u32_e32 v31, vcc, v27, v2, vcc
	s_and_saveexec_b64 s[22:23], s[4:5]
	s_cbranch_execz .LBB1_207
; %bb.206:                              ;   in Loop: Header=BB1_143 Depth=1
	v_mov_b32_e32 v10, s18
	v_mov_b32_e32 v11, s19
	global_store_dwordx4 v[30:31], v[10:13], off offset:8
.LBB1_207:                              ;   in Loop: Header=BB1_143 Depth=1
	s_or_b64 exec, exec, s[22:23]
	s_lshl_b64 s[18:19], s[20:21], 12
	v_mov_b32_e32 v2, s19
	v_add_co_u32_e32 v28, vcc, s18, v28
	v_addc_co_u32_e32 v29, vcc, v29, v2, vcc
	v_cmp_lt_u64_e64 vcc, s[12:13], 57
	s_lshl_b32 s18, s14, 2
	v_cndmask_b32_e32 v2, 0, v32, vcc
	s_add_i32 s18, s18, 28
	v_and_b32_e32 v6, 0xffffff1f, v6
	s_and_b32 s18, s18, 0x1e0
	v_or_b32_e32 v2, v6, v2
	v_or_b32_e32 v6, s18, v2
	v_readfirstlane_b32 s18, v28
	v_readfirstlane_b32 s19, v29
	s_nop 4
	global_store_dwordx4 v35, v[6:9], s[18:19]
	global_store_dwordx4 v35, v[14:17], s[18:19] offset:16
	global_store_dwordx4 v35, v[18:21], s[18:19] offset:32
	;; [unrolled: 1-line block ×3, first 2 shown]
	s_and_saveexec_b64 s[18:19], s[4:5]
	s_cbranch_execz .LBB1_215
; %bb.208:                              ;   in Loop: Header=BB1_143 Depth=1
	global_load_dwordx2 v[16:17], v3, s[10:11] offset:32 glc
	global_load_dwordx2 v[6:7], v3, s[10:11] offset:40
	v_mov_b32_e32 v14, s16
	v_mov_b32_e32 v15, s17
	s_waitcnt vmcnt(0)
	v_readfirstlane_b32 s20, v6
	v_readfirstlane_b32 s21, v7
	s_and_b64 s[20:21], s[20:21], s[16:17]
	s_mul_i32 s21, s21, 24
	s_mul_hi_u32 s22, s20, 24
	s_mul_i32 s20, s20, 24
	s_add_i32 s21, s22, s21
	v_mov_b32_e32 v2, s21
	v_add_co_u32_e32 v10, vcc, s20, v26
	v_addc_co_u32_e32 v11, vcc, v27, v2, vcc
	global_store_dwordx2 v[10:11], v[16:17], off
	s_waitcnt vmcnt(0)
	global_atomic_cmpswap_x2 v[8:9], v3, v[14:17], s[10:11] offset:32 glc
	s_waitcnt vmcnt(0)
	v_cmp_ne_u64_e32 vcc, v[8:9], v[16:17]
	s_and_saveexec_b64 s[20:21], vcc
	s_cbranch_execz .LBB1_211
; %bb.209:                              ;   in Loop: Header=BB1_143 Depth=1
	s_mov_b64 s[22:23], 0
.LBB1_210:                              ;   Parent Loop BB1_143 Depth=1
                                        ; =>  This Inner Loop Header: Depth=2
	s_sleep 1
	global_store_dwordx2 v[10:11], v[8:9], off
	v_mov_b32_e32 v6, s16
	v_mov_b32_e32 v7, s17
	s_waitcnt vmcnt(0)
	global_atomic_cmpswap_x2 v[6:7], v3, v[6:9], s[10:11] offset:32 glc
	s_waitcnt vmcnt(0)
	v_cmp_eq_u64_e32 vcc, v[6:7], v[8:9]
	v_mov_b32_e32 v9, v7
	s_or_b64 s[22:23], vcc, s[22:23]
	v_mov_b32_e32 v8, v6
	s_andn2_b64 exec, exec, s[22:23]
	s_cbranch_execnz .LBB1_210
.LBB1_211:                              ;   in Loop: Header=BB1_143 Depth=1
	s_or_b64 exec, exec, s[20:21]
	global_load_dwordx2 v[6:7], v3, s[10:11] offset:16
	s_mov_b64 s[22:23], exec
	v_mbcnt_lo_u32_b32 v2, s22, 0
	v_mbcnt_hi_u32_b32 v2, s23, v2
	v_cmp_eq_u32_e32 vcc, 0, v2
	s_and_saveexec_b64 s[20:21], vcc
	s_cbranch_execz .LBB1_213
; %bb.212:                              ;   in Loop: Header=BB1_143 Depth=1
	s_bcnt1_i32_b64 s22, s[22:23]
	v_mov_b32_e32 v2, s22
	s_waitcnt vmcnt(0)
	global_atomic_add_x2 v[6:7], v[2:3], off offset:8
.LBB1_213:                              ;   in Loop: Header=BB1_143 Depth=1
	s_or_b64 exec, exec, s[20:21]
	s_waitcnt vmcnt(0)
	global_load_dwordx2 v[8:9], v[6:7], off offset:16
	s_waitcnt vmcnt(0)
	v_cmp_eq_u64_e32 vcc, 0, v[8:9]
	s_cbranch_vccnz .LBB1_215
; %bb.214:                              ;   in Loop: Header=BB1_143 Depth=1
	global_load_dword v2, v[6:7], off offset:24
	s_waitcnt vmcnt(0)
	v_readfirstlane_b32 s20, v2
	s_and_b32 m0, s20, 0xffffff
	global_store_dwordx2 v[8:9], v[2:3], off
	s_sendmsg sendmsg(MSG_INTERRUPT)
.LBB1_215:                              ;   in Loop: Header=BB1_143 Depth=1
	s_or_b64 exec, exec, s[18:19]
	v_add_co_u32_e32 v6, vcc, v28, v35
	v_addc_co_u32_e32 v7, vcc, 0, v29, vcc
	s_branch .LBB1_219
.LBB1_216:                              ;   in Loop: Header=BB1_219 Depth=2
	s_or_b64 exec, exec, s[18:19]
	v_readfirstlane_b32 s18, v2
	s_cmp_eq_u32 s18, 0
	s_cbranch_scc1 .LBB1_218
; %bb.217:                              ;   in Loop: Header=BB1_219 Depth=2
	s_sleep 1
	s_cbranch_execnz .LBB1_219
	s_branch .LBB1_221
.LBB1_218:                              ;   in Loop: Header=BB1_143 Depth=1
	s_branch .LBB1_221
.LBB1_219:                              ;   Parent Loop BB1_143 Depth=1
                                        ; =>  This Inner Loop Header: Depth=2
	v_mov_b32_e32 v2, 1
	s_and_saveexec_b64 s[18:19], s[4:5]
	s_cbranch_execz .LBB1_216
; %bb.220:                              ;   in Loop: Header=BB1_219 Depth=2
	global_load_dword v2, v[30:31], off offset:20 glc
	s_waitcnt vmcnt(0)
	buffer_wbinvl1_vol
	v_and_b32_e32 v2, 1, v2
	s_branch .LBB1_216
.LBB1_221:                              ;   in Loop: Header=BB1_143 Depth=1
	global_load_dwordx2 v[6:7], v[6:7], off
	s_and_saveexec_b64 s[18:19], s[4:5]
	s_cbranch_execz .LBB1_142
; %bb.222:                              ;   in Loop: Header=BB1_143 Depth=1
	global_load_dwordx2 v[8:9], v3, s[10:11] offset:40
	global_load_dwordx2 v[18:19], v3, s[10:11] offset:24 glc
	global_load_dwordx2 v[10:11], v3, s[10:11]
	s_waitcnt vmcnt(2)
	v_readfirstlane_b32 s20, v8
	v_readfirstlane_b32 s21, v9
	s_add_u32 s22, s20, 1
	s_addc_u32 s23, s21, 0
	s_add_u32 s4, s22, s16
	s_addc_u32 s5, s23, s17
	s_cmp_eq_u64 s[4:5], 0
	s_cselect_b32 s5, s23, s5
	s_cselect_b32 s4, s22, s4
	s_and_b64 s[16:17], s[4:5], s[20:21]
	s_mul_i32 s17, s17, 24
	s_mul_hi_u32 s20, s16, 24
	s_mul_i32 s16, s16, 24
	s_add_i32 s17, s20, s17
	v_mov_b32_e32 v2, s17
	s_waitcnt vmcnt(0)
	v_add_co_u32_e32 v14, vcc, s16, v10
	v_addc_co_u32_e32 v15, vcc, v11, v2, vcc
	v_mov_b32_e32 v16, s4
	global_store_dwordx2 v[14:15], v[18:19], off
	v_mov_b32_e32 v17, s5
	s_waitcnt vmcnt(0)
	global_atomic_cmpswap_x2 v[10:11], v3, v[16:19], s[10:11] offset:24 glc
	s_waitcnt vmcnt(0)
	v_cmp_ne_u64_e32 vcc, v[10:11], v[18:19]
	s_and_b64 exec, exec, vcc
	s_cbranch_execz .LBB1_142
; %bb.223:                              ;   in Loop: Header=BB1_143 Depth=1
	s_mov_b64 s[16:17], 0
.LBB1_224:                              ;   Parent Loop BB1_143 Depth=1
                                        ; =>  This Inner Loop Header: Depth=2
	s_sleep 1
	global_store_dwordx2 v[14:15], v[10:11], off
	v_mov_b32_e32 v8, s4
	v_mov_b32_e32 v9, s5
	s_waitcnt vmcnt(0)
	global_atomic_cmpswap_x2 v[8:9], v3, v[8:11], s[10:11] offset:24 glc
	s_waitcnt vmcnt(0)
	v_cmp_eq_u64_e32 vcc, v[8:9], v[10:11]
	v_mov_b32_e32 v11, v9
	s_or_b64 s[16:17], vcc, s[16:17]
	v_mov_b32_e32 v10, v8
	s_andn2_b64 exec, exec, s[16:17]
	s_cbranch_execnz .LBB1_224
	s_branch .LBB1_142
.LBB1_225:
                                        ; implicit-def: $vgpr6_vgpr7
	s_cbranch_execnz .LBB1_227
	s_branch .LBB1_253
.LBB1_226:
	s_branch .LBB1_253
.LBB1_227:
	v_readfirstlane_b32 s4, v34
	v_mov_b32_e32 v10, 0
	v_mov_b32_e32 v11, 0
	v_cmp_eq_u32_e64 s[4:5], s4, v34
	s_and_saveexec_b64 s[6:7], s[4:5]
	s_cbranch_execz .LBB1_233
; %bb.228:
	v_mov_b32_e32 v2, 0
	global_load_dwordx2 v[8:9], v2, s[10:11] offset:24 glc
	s_waitcnt vmcnt(0)
	buffer_wbinvl1_vol
	global_load_dwordx2 v[6:7], v2, s[10:11] offset:40
	global_load_dwordx2 v[10:11], v2, s[10:11]
	s_waitcnt vmcnt(1)
	v_and_b32_e32 v3, v6, v8
	v_and_b32_e32 v6, v7, v9
	v_mul_lo_u32 v6, v6, 24
	v_mul_hi_u32 v7, v3, 24
	v_mul_lo_u32 v3, v3, 24
	v_add_u32_e32 v7, v7, v6
	s_waitcnt vmcnt(0)
	v_add_co_u32_e32 v6, vcc, v10, v3
	v_addc_co_u32_e32 v7, vcc, v11, v7, vcc
	global_load_dwordx2 v[6:7], v[6:7], off glc
	s_waitcnt vmcnt(0)
	global_atomic_cmpswap_x2 v[10:11], v2, v[6:9], s[10:11] offset:24 glc
	s_waitcnt vmcnt(0)
	buffer_wbinvl1_vol
	v_cmp_ne_u64_e32 vcc, v[10:11], v[8:9]
	s_and_saveexec_b64 s[12:13], vcc
	s_cbranch_execz .LBB1_232
; %bb.229:
	s_mov_b64 s[14:15], 0
.LBB1_230:                              ; =>This Inner Loop Header: Depth=1
	s_sleep 1
	global_load_dwordx2 v[6:7], v2, s[10:11] offset:40
	global_load_dwordx2 v[12:13], v2, s[10:11]
	v_mov_b32_e32 v8, v10
	v_mov_b32_e32 v9, v11
	s_waitcnt vmcnt(1)
	v_and_b32_e32 v3, v6, v8
	s_waitcnt vmcnt(0)
	v_mad_u64_u32 v[10:11], s[16:17], v3, 24, v[12:13]
	v_and_b32_e32 v6, v7, v9
	v_mov_b32_e32 v3, v11
	v_mad_u64_u32 v[6:7], s[16:17], v6, 24, v[3:4]
	v_mov_b32_e32 v11, v6
	global_load_dwordx2 v[6:7], v[10:11], off glc
	s_waitcnt vmcnt(0)
	global_atomic_cmpswap_x2 v[10:11], v2, v[6:9], s[10:11] offset:24 glc
	s_waitcnt vmcnt(0)
	buffer_wbinvl1_vol
	v_cmp_eq_u64_e32 vcc, v[10:11], v[8:9]
	s_or_b64 s[14:15], vcc, s[14:15]
	s_andn2_b64 exec, exec, s[14:15]
	s_cbranch_execnz .LBB1_230
; %bb.231:
	s_or_b64 exec, exec, s[14:15]
.LBB1_232:
	s_or_b64 exec, exec, s[12:13]
.LBB1_233:
	s_or_b64 exec, exec, s[6:7]
	v_mov_b32_e32 v2, 0
	global_load_dwordx2 v[12:13], v2, s[10:11] offset:40
	global_load_dwordx4 v[6:9], v2, s[10:11]
	v_readfirstlane_b32 s7, v11
	v_readfirstlane_b32 s6, v10
	s_mov_b64 s[12:13], exec
	s_waitcnt vmcnt(1)
	v_readfirstlane_b32 s14, v12
	v_readfirstlane_b32 s15, v13
	s_and_b64 s[14:15], s[14:15], s[6:7]
	s_mul_i32 s16, s15, 24
	s_mul_hi_u32 s17, s14, 24
	s_mul_i32 s18, s14, 24
	s_add_i32 s16, s17, s16
	v_mov_b32_e32 v3, s16
	s_waitcnt vmcnt(0)
	v_add_co_u32_e32 v10, vcc, s18, v6
	v_addc_co_u32_e32 v11, vcc, v7, v3, vcc
	s_and_saveexec_b64 s[16:17], s[4:5]
	s_cbranch_execz .LBB1_235
; %bb.234:
	v_mov_b32_e32 v12, s12
	v_mov_b32_e32 v13, s13
	v_mov_b32_e32 v14, 2
	v_mov_b32_e32 v15, 1
	global_store_dwordx4 v[10:11], v[12:15], off offset:8
.LBB1_235:
	s_or_b64 exec, exec, s[16:17]
	s_lshl_b64 s[12:13], s[14:15], 12
	v_mov_b32_e32 v3, s13
	v_add_co_u32_e32 v12, vcc, s12, v8
	v_addc_co_u32_e32 v13, vcc, v9, v3, vcc
	s_movk_i32 s12, 0xff1f
	v_and_or_b32 v0, v0, s12, 32
	s_mov_b32 s12, 0
	v_mov_b32_e32 v3, v2
	v_readfirstlane_b32 s16, v12
	v_readfirstlane_b32 s17, v13
	v_add_co_u32_e32 v8, vcc, v12, v35
	s_mov_b32 s13, s12
	s_mov_b32 s14, s12
	;; [unrolled: 1-line block ×3, first 2 shown]
	s_nop 0
	global_store_dwordx4 v35, v[0:3], s[16:17]
	v_addc_co_u32_e32 v9, vcc, 0, v13, vcc
	v_mov_b32_e32 v0, s12
	v_mov_b32_e32 v1, s13
	;; [unrolled: 1-line block ×4, first 2 shown]
	global_store_dwordx4 v35, v[0:3], s[16:17] offset:16
	global_store_dwordx4 v35, v[0:3], s[16:17] offset:32
	;; [unrolled: 1-line block ×3, first 2 shown]
	s_and_saveexec_b64 s[12:13], s[4:5]
	s_cbranch_execz .LBB1_243
; %bb.236:
	v_mov_b32_e32 v12, 0
	global_load_dwordx2 v[15:16], v12, s[10:11] offset:32 glc
	global_load_dwordx2 v[0:1], v12, s[10:11] offset:40
	v_mov_b32_e32 v13, s6
	v_mov_b32_e32 v14, s7
	s_waitcnt vmcnt(0)
	v_readfirstlane_b32 s14, v0
	v_readfirstlane_b32 s15, v1
	s_and_b64 s[14:15], s[14:15], s[6:7]
	s_mul_i32 s15, s15, 24
	s_mul_hi_u32 s16, s14, 24
	s_mul_i32 s14, s14, 24
	s_add_i32 s15, s16, s15
	v_mov_b32_e32 v0, s15
	v_add_co_u32_e32 v6, vcc, s14, v6
	v_addc_co_u32_e32 v7, vcc, v7, v0, vcc
	global_store_dwordx2 v[6:7], v[15:16], off
	s_waitcnt vmcnt(0)
	global_atomic_cmpswap_x2 v[2:3], v12, v[13:16], s[10:11] offset:32 glc
	s_waitcnt vmcnt(0)
	v_cmp_ne_u64_e32 vcc, v[2:3], v[15:16]
	s_and_saveexec_b64 s[14:15], vcc
	s_cbranch_execz .LBB1_239
; %bb.237:
	s_mov_b64 s[16:17], 0
.LBB1_238:                              ; =>This Inner Loop Header: Depth=1
	s_sleep 1
	global_store_dwordx2 v[6:7], v[2:3], off
	v_mov_b32_e32 v0, s6
	v_mov_b32_e32 v1, s7
	s_waitcnt vmcnt(0)
	global_atomic_cmpswap_x2 v[0:1], v12, v[0:3], s[10:11] offset:32 glc
	s_waitcnt vmcnt(0)
	v_cmp_eq_u64_e32 vcc, v[0:1], v[2:3]
	v_mov_b32_e32 v3, v1
	s_or_b64 s[16:17], vcc, s[16:17]
	v_mov_b32_e32 v2, v0
	s_andn2_b64 exec, exec, s[16:17]
	s_cbranch_execnz .LBB1_238
.LBB1_239:
	s_or_b64 exec, exec, s[14:15]
	v_mov_b32_e32 v3, 0
	global_load_dwordx2 v[0:1], v3, s[10:11] offset:16
	s_mov_b64 s[14:15], exec
	v_mbcnt_lo_u32_b32 v2, s14, 0
	v_mbcnt_hi_u32_b32 v2, s15, v2
	v_cmp_eq_u32_e32 vcc, 0, v2
	s_and_saveexec_b64 s[16:17], vcc
	s_cbranch_execz .LBB1_241
; %bb.240:
	s_bcnt1_i32_b64 s14, s[14:15]
	v_mov_b32_e32 v2, s14
	s_waitcnt vmcnt(0)
	global_atomic_add_x2 v[0:1], v[2:3], off offset:8
.LBB1_241:
	s_or_b64 exec, exec, s[16:17]
	s_waitcnt vmcnt(0)
	global_load_dwordx2 v[2:3], v[0:1], off offset:16
	s_waitcnt vmcnt(0)
	v_cmp_eq_u64_e32 vcc, 0, v[2:3]
	s_cbranch_vccnz .LBB1_243
; %bb.242:
	global_load_dword v0, v[0:1], off offset:24
	v_mov_b32_e32 v1, 0
	s_waitcnt vmcnt(0)
	v_readfirstlane_b32 s14, v0
	s_and_b32 m0, s14, 0xffffff
	global_store_dwordx2 v[2:3], v[0:1], off
	s_sendmsg sendmsg(MSG_INTERRUPT)
.LBB1_243:
	s_or_b64 exec, exec, s[12:13]
	s_branch .LBB1_247
.LBB1_244:                              ;   in Loop: Header=BB1_247 Depth=1
	s_or_b64 exec, exec, s[12:13]
	v_readfirstlane_b32 s12, v0
	s_cmp_eq_u32 s12, 0
	s_cbranch_scc1 .LBB1_246
; %bb.245:                              ;   in Loop: Header=BB1_247 Depth=1
	s_sleep 1
	s_cbranch_execnz .LBB1_247
	s_branch .LBB1_249
.LBB1_246:
	s_branch .LBB1_249
.LBB1_247:                              ; =>This Inner Loop Header: Depth=1
	v_mov_b32_e32 v0, 1
	s_and_saveexec_b64 s[12:13], s[4:5]
	s_cbranch_execz .LBB1_244
; %bb.248:                              ;   in Loop: Header=BB1_247 Depth=1
	global_load_dword v0, v[10:11], off offset:20 glc
	s_waitcnt vmcnt(0)
	buffer_wbinvl1_vol
	v_and_b32_e32 v0, 1, v0
	s_branch .LBB1_244
.LBB1_249:
	global_load_dwordx2 v[6:7], v[8:9], off
	s_and_saveexec_b64 s[12:13], s[4:5]
	s_cbranch_execz .LBB1_252
; %bb.250:
	v_mov_b32_e32 v10, 0
	global_load_dwordx2 v[0:1], v10, s[10:11] offset:40
	global_load_dwordx2 v[13:14], v10, s[10:11] offset:24 glc
	global_load_dwordx2 v[2:3], v10, s[10:11]
	s_waitcnt vmcnt(2)
	v_readfirstlane_b32 s14, v0
	v_readfirstlane_b32 s15, v1
	s_add_u32 s16, s14, 1
	s_addc_u32 s17, s15, 0
	s_add_u32 s4, s16, s6
	s_addc_u32 s5, s17, s7
	s_cmp_eq_u64 s[4:5], 0
	s_cselect_b32 s5, s17, s5
	s_cselect_b32 s4, s16, s4
	s_and_b64 s[6:7], s[4:5], s[14:15]
	s_mul_i32 s7, s7, 24
	s_mul_hi_u32 s14, s6, 24
	s_mul_i32 s6, s6, 24
	s_add_i32 s7, s14, s7
	v_mov_b32_e32 v0, s7
	s_waitcnt vmcnt(0)
	v_add_co_u32_e32 v8, vcc, s6, v2
	v_addc_co_u32_e32 v9, vcc, v3, v0, vcc
	v_mov_b32_e32 v11, s4
	global_store_dwordx2 v[8:9], v[13:14], off
	v_mov_b32_e32 v12, s5
	s_waitcnt vmcnt(0)
	global_atomic_cmpswap_x2 v[2:3], v10, v[11:14], s[10:11] offset:24 glc
	s_mov_b64 s[6:7], 0
	s_waitcnt vmcnt(0)
	v_cmp_ne_u64_e32 vcc, v[2:3], v[13:14]
	s_and_b64 exec, exec, vcc
	s_cbranch_execz .LBB1_252
.LBB1_251:                              ; =>This Inner Loop Header: Depth=1
	s_sleep 1
	global_store_dwordx2 v[8:9], v[2:3], off
	v_mov_b32_e32 v0, s4
	v_mov_b32_e32 v1, s5
	s_waitcnt vmcnt(0)
	global_atomic_cmpswap_x2 v[0:1], v10, v[0:3], s[10:11] offset:24 glc
	s_waitcnt vmcnt(0)
	v_cmp_eq_u64_e32 vcc, v[0:1], v[2:3]
	v_mov_b32_e32 v3, v1
	s_or_b64 s[6:7], vcc, s[6:7]
	v_mov_b32_e32 v2, v0
	s_andn2_b64 exec, exec, s[6:7]
	s_cbranch_execnz .LBB1_251
.LBB1_252:
	s_or_b64 exec, exec, s[12:13]
.LBB1_253:
	v_readfirstlane_b32 s4, v34
	v_mov_b32_e32 v10, 0
	v_mov_b32_e32 v11, 0
	v_cmp_eq_u32_e64 s[4:5], s4, v34
	s_and_saveexec_b64 s[6:7], s[4:5]
	s_cbranch_execz .LBB1_259
; %bb.254:
	s_waitcnt vmcnt(0)
	v_mov_b32_e32 v0, 0
	global_load_dwordx2 v[12:13], v0, s[10:11] offset:24 glc
	s_waitcnt vmcnt(0)
	buffer_wbinvl1_vol
	global_load_dwordx2 v[1:2], v0, s[10:11] offset:40
	global_load_dwordx2 v[8:9], v0, s[10:11]
	s_waitcnt vmcnt(1)
	v_and_b32_e32 v1, v1, v12
	v_and_b32_e32 v2, v2, v13
	v_mul_lo_u32 v2, v2, 24
	v_mul_hi_u32 v3, v1, 24
	v_mul_lo_u32 v1, v1, 24
	v_add_u32_e32 v2, v3, v2
	s_waitcnt vmcnt(0)
	v_add_co_u32_e32 v1, vcc, v8, v1
	v_addc_co_u32_e32 v2, vcc, v9, v2, vcc
	global_load_dwordx2 v[10:11], v[1:2], off glc
	s_waitcnt vmcnt(0)
	global_atomic_cmpswap_x2 v[10:11], v0, v[10:13], s[10:11] offset:24 glc
	s_waitcnt vmcnt(0)
	buffer_wbinvl1_vol
	v_cmp_ne_u64_e32 vcc, v[10:11], v[12:13]
	s_and_saveexec_b64 s[12:13], vcc
	s_cbranch_execz .LBB1_258
; %bb.255:
	s_mov_b64 s[14:15], 0
.LBB1_256:                              ; =>This Inner Loop Header: Depth=1
	s_sleep 1
	global_load_dwordx2 v[1:2], v0, s[10:11] offset:40
	global_load_dwordx2 v[8:9], v0, s[10:11]
	v_mov_b32_e32 v13, v11
	v_mov_b32_e32 v12, v10
	s_waitcnt vmcnt(1)
	v_and_b32_e32 v1, v1, v12
	s_waitcnt vmcnt(0)
	v_mad_u64_u32 v[8:9], s[16:17], v1, 24, v[8:9]
	v_and_b32_e32 v2, v2, v13
	v_mov_b32_e32 v1, v9
	v_mad_u64_u32 v[1:2], s[16:17], v2, 24, v[1:2]
	v_mov_b32_e32 v9, v1
	global_load_dwordx2 v[10:11], v[8:9], off glc
	s_waitcnt vmcnt(0)
	global_atomic_cmpswap_x2 v[10:11], v0, v[10:13], s[10:11] offset:24 glc
	s_waitcnt vmcnt(0)
	buffer_wbinvl1_vol
	v_cmp_eq_u64_e32 vcc, v[10:11], v[12:13]
	s_or_b64 s[14:15], vcc, s[14:15]
	s_andn2_b64 exec, exec, s[14:15]
	s_cbranch_execnz .LBB1_256
; %bb.257:
	s_or_b64 exec, exec, s[14:15]
.LBB1_258:
	s_or_b64 exec, exec, s[12:13]
.LBB1_259:
	s_or_b64 exec, exec, s[6:7]
	v_mov_b32_e32 v9, 0
	global_load_dwordx2 v[12:13], v9, s[10:11] offset:40
	global_load_dwordx4 v[0:3], v9, s[10:11]
	v_readfirstlane_b32 s7, v11
	v_readfirstlane_b32 s6, v10
	s_mov_b64 s[12:13], exec
	s_waitcnt vmcnt(1)
	v_readfirstlane_b32 s14, v12
	v_readfirstlane_b32 s15, v13
	s_and_b64 s[14:15], s[14:15], s[6:7]
	s_mul_i32 s16, s15, 24
	s_mul_hi_u32 s17, s14, 24
	s_mul_i32 s18, s14, 24
	s_add_i32 s16, s17, s16
	v_mov_b32_e32 v8, s16
	s_waitcnt vmcnt(0)
	v_add_co_u32_e32 v10, vcc, s18, v0
	v_addc_co_u32_e32 v11, vcc, v1, v8, vcc
	s_and_saveexec_b64 s[16:17], s[4:5]
	s_cbranch_execz .LBB1_261
; %bb.260:
	v_mov_b32_e32 v12, s12
	v_mov_b32_e32 v13, s13
	v_mov_b32_e32 v14, 2
	v_mov_b32_e32 v15, 1
	global_store_dwordx4 v[10:11], v[12:15], off offset:8
.LBB1_261:
	s_or_b64 exec, exec, s[16:17]
	s_lshl_b64 s[12:13], s[14:15], 12
	v_mov_b32_e32 v8, s13
	v_add_co_u32_e32 v2, vcc, s12, v2
	v_addc_co_u32_e32 v3, vcc, v3, v8, vcc
	s_movk_i32 s12, 0xff1f
	v_and_or_b32 v6, v6, s12, 32
	s_mov_b32 s12, 0
	v_mov_b32_e32 v8, 0x331
	v_readfirstlane_b32 s16, v2
	v_readfirstlane_b32 s17, v3
	v_add_co_u32_e32 v12, vcc, v2, v35
	s_mov_b32 s13, s12
	s_mov_b32 s14, s12
	;; [unrolled: 1-line block ×3, first 2 shown]
	s_nop 0
	global_store_dwordx4 v35, v[6:9], s[16:17]
	v_addc_co_u32_e32 v13, vcc, 0, v3, vcc
	v_mov_b32_e32 v6, s12
	v_mov_b32_e32 v7, s13
	;; [unrolled: 1-line block ×4, first 2 shown]
	global_store_dwordx4 v35, v[6:9], s[16:17] offset:16
	global_store_dwordx4 v35, v[6:9], s[16:17] offset:32
	;; [unrolled: 1-line block ×3, first 2 shown]
	s_and_saveexec_b64 s[12:13], s[4:5]
	s_cbranch_execz .LBB1_269
; %bb.262:
	v_mov_b32_e32 v8, 0
	global_load_dwordx2 v[16:17], v8, s[10:11] offset:32 glc
	global_load_dwordx2 v[2:3], v8, s[10:11] offset:40
	v_mov_b32_e32 v14, s6
	v_mov_b32_e32 v15, s7
	s_waitcnt vmcnt(0)
	v_readfirstlane_b32 s14, v2
	v_readfirstlane_b32 s15, v3
	s_and_b64 s[14:15], s[14:15], s[6:7]
	s_mul_i32 s15, s15, 24
	s_mul_hi_u32 s16, s14, 24
	s_mul_i32 s14, s14, 24
	s_add_i32 s15, s16, s15
	v_mov_b32_e32 v2, s15
	v_add_co_u32_e32 v6, vcc, s14, v0
	v_addc_co_u32_e32 v7, vcc, v1, v2, vcc
	global_store_dwordx2 v[6:7], v[16:17], off
	s_waitcnt vmcnt(0)
	global_atomic_cmpswap_x2 v[2:3], v8, v[14:17], s[10:11] offset:32 glc
	s_waitcnt vmcnt(0)
	v_cmp_ne_u64_e32 vcc, v[2:3], v[16:17]
	s_and_saveexec_b64 s[14:15], vcc
	s_cbranch_execz .LBB1_265
; %bb.263:
	s_mov_b64 s[16:17], 0
.LBB1_264:                              ; =>This Inner Loop Header: Depth=1
	s_sleep 1
	global_store_dwordx2 v[6:7], v[2:3], off
	v_mov_b32_e32 v0, s6
	v_mov_b32_e32 v1, s7
	s_waitcnt vmcnt(0)
	global_atomic_cmpswap_x2 v[0:1], v8, v[0:3], s[10:11] offset:32 glc
	s_waitcnt vmcnt(0)
	v_cmp_eq_u64_e32 vcc, v[0:1], v[2:3]
	v_mov_b32_e32 v3, v1
	s_or_b64 s[16:17], vcc, s[16:17]
	v_mov_b32_e32 v2, v0
	s_andn2_b64 exec, exec, s[16:17]
	s_cbranch_execnz .LBB1_264
.LBB1_265:
	s_or_b64 exec, exec, s[14:15]
	v_mov_b32_e32 v3, 0
	global_load_dwordx2 v[0:1], v3, s[10:11] offset:16
	s_mov_b64 s[14:15], exec
	v_mbcnt_lo_u32_b32 v2, s14, 0
	v_mbcnt_hi_u32_b32 v2, s15, v2
	v_cmp_eq_u32_e32 vcc, 0, v2
	s_and_saveexec_b64 s[16:17], vcc
	s_cbranch_execz .LBB1_267
; %bb.266:
	s_bcnt1_i32_b64 s14, s[14:15]
	v_mov_b32_e32 v2, s14
	s_waitcnt vmcnt(0)
	global_atomic_add_x2 v[0:1], v[2:3], off offset:8
.LBB1_267:
	s_or_b64 exec, exec, s[16:17]
	s_waitcnt vmcnt(0)
	global_load_dwordx2 v[2:3], v[0:1], off offset:16
	s_waitcnt vmcnt(0)
	v_cmp_eq_u64_e32 vcc, 0, v[2:3]
	s_cbranch_vccnz .LBB1_269
; %bb.268:
	global_load_dword v0, v[0:1], off offset:24
	v_mov_b32_e32 v1, 0
	s_waitcnt vmcnt(0)
	v_readfirstlane_b32 s14, v0
	s_and_b32 m0, s14, 0xffffff
	global_store_dwordx2 v[2:3], v[0:1], off
	s_sendmsg sendmsg(MSG_INTERRUPT)
.LBB1_269:
	s_or_b64 exec, exec, s[12:13]
	s_branch .LBB1_273
.LBB1_270:                              ;   in Loop: Header=BB1_273 Depth=1
	s_or_b64 exec, exec, s[12:13]
	v_readfirstlane_b32 s12, v0
	s_cmp_eq_u32 s12, 0
	s_cbranch_scc1 .LBB1_272
; %bb.271:                              ;   in Loop: Header=BB1_273 Depth=1
	s_sleep 1
	s_cbranch_execnz .LBB1_273
	s_branch .LBB1_275
.LBB1_272:
	s_branch .LBB1_275
.LBB1_273:                              ; =>This Inner Loop Header: Depth=1
	v_mov_b32_e32 v0, 1
	s_and_saveexec_b64 s[12:13], s[4:5]
	s_cbranch_execz .LBB1_270
; %bb.274:                              ;   in Loop: Header=BB1_273 Depth=1
	global_load_dword v0, v[10:11], off offset:20 glc
	s_waitcnt vmcnt(0)
	buffer_wbinvl1_vol
	v_and_b32_e32 v0, 1, v0
	s_branch .LBB1_270
.LBB1_275:
	global_load_dwordx2 v[0:1], v[12:13], off
	s_and_saveexec_b64 s[12:13], s[4:5]
	s_cbranch_execz .LBB1_278
; %bb.276:
	v_mov_b32_e32 v10, 0
	global_load_dwordx2 v[2:3], v10, s[10:11] offset:40
	global_load_dwordx2 v[13:14], v10, s[10:11] offset:24 glc
	global_load_dwordx2 v[6:7], v10, s[10:11]
	s_waitcnt vmcnt(2)
	v_readfirstlane_b32 s14, v2
	v_readfirstlane_b32 s15, v3
	s_add_u32 s16, s14, 1
	s_addc_u32 s17, s15, 0
	s_add_u32 s4, s16, s6
	s_addc_u32 s5, s17, s7
	s_cmp_eq_u64 s[4:5], 0
	s_cselect_b32 s5, s17, s5
	s_cselect_b32 s4, s16, s4
	s_and_b64 s[6:7], s[4:5], s[14:15]
	s_mul_i32 s7, s7, 24
	s_mul_hi_u32 s14, s6, 24
	s_mul_i32 s6, s6, 24
	s_add_i32 s7, s14, s7
	v_mov_b32_e32 v3, s7
	s_waitcnt vmcnt(0)
	v_add_co_u32_e32 v2, vcc, s6, v6
	v_addc_co_u32_e32 v3, vcc, v7, v3, vcc
	v_mov_b32_e32 v11, s4
	global_store_dwordx2 v[2:3], v[13:14], off
	v_mov_b32_e32 v12, s5
	s_waitcnt vmcnt(0)
	global_atomic_cmpswap_x2 v[8:9], v10, v[11:14], s[10:11] offset:24 glc
	s_mov_b64 s[6:7], 0
	s_waitcnt vmcnt(0)
	v_cmp_ne_u64_e32 vcc, v[8:9], v[13:14]
	s_and_b64 exec, exec, vcc
	s_cbranch_execz .LBB1_278
.LBB1_277:                              ; =>This Inner Loop Header: Depth=1
	s_sleep 1
	global_store_dwordx2 v[2:3], v[8:9], off
	v_mov_b32_e32 v6, s4
	v_mov_b32_e32 v7, s5
	s_waitcnt vmcnt(0)
	global_atomic_cmpswap_x2 v[6:7], v10, v[6:9], s[10:11] offset:24 glc
	s_waitcnt vmcnt(0)
	v_cmp_eq_u64_e32 vcc, v[6:7], v[8:9]
	v_mov_b32_e32 v9, v7
	s_or_b64 s[6:7], vcc, s[6:7]
	v_mov_b32_e32 v8, v6
	s_andn2_b64 exec, exec, s[6:7]
	s_cbranch_execnz .LBB1_277
.LBB1_278:
	s_or_b64 exec, exec, s[12:13]
	v_mov_b32_e32 v7, v5
	s_mov_b64 s[4:5], 0
	v_mov_b32_e32 v6, v4
.LBB1_279:                              ; =>This Inner Loop Header: Depth=1
	global_load_ubyte v8, v[6:7], off
	v_add_co_u32_e32 v2, vcc, 1, v6
	v_addc_co_u32_e32 v3, vcc, 0, v7, vcc
	v_mov_b32_e32 v7, v3
	v_mov_b32_e32 v6, v2
	s_waitcnt vmcnt(0)
	v_cmp_eq_u16_e32 vcc, 0, v8
	s_or_b64 s[4:5], vcc, s[4:5]
	s_andn2_b64 exec, exec, s[4:5]
	s_cbranch_execnz .LBB1_279
; %bb.280:
	s_or_b64 exec, exec, s[4:5]
	v_cmp_ne_u64_e32 vcc, 0, v[4:5]
	s_mov_b64 s[12:13], 0
	s_and_saveexec_b64 s[4:5], vcc
	s_xor_b64 s[6:7], exec, s[4:5]
	s_cbranch_execz .LBB1_366
; %bb.281:
	v_sub_u32_e32 v26, v2, v4
	v_ashrrev_i32_e32 v27, 31, v26
	v_and_b32_e32 v36, 2, v0
	v_mov_b32_e32 v29, 0
	v_and_b32_e32 v0, -3, v0
	s_mov_b32 s22, 0
	s_movk_i32 s23, 0x1e0
	v_mov_b32_e32 v8, 2
	v_mov_b32_e32 v9, 1
	s_branch .LBB1_283
.LBB1_282:                              ;   in Loop: Header=BB1_283 Depth=1
	s_or_b64 exec, exec, s[16:17]
	v_sub_co_u32_e32 v26, vcc, v26, v30
	v_subb_co_u32_e32 v27, vcc, v27, v31, vcc
	v_cmp_eq_u64_e32 vcc, 0, v[26:27]
	s_or_b64 s[12:13], vcc, s[12:13]
	v_add_co_u32_e32 v4, vcc, v4, v30
	v_addc_co_u32_e32 v5, vcc, v5, v31, vcc
	s_andn2_b64 exec, exec, s[12:13]
	s_cbranch_execz .LBB1_365
.LBB1_283:                              ; =>This Loop Header: Depth=1
                                        ;     Child Loop BB1_286 Depth 2
                                        ;     Child Loop BB1_294 Depth 2
	;; [unrolled: 1-line block ×11, first 2 shown]
	v_cmp_gt_u64_e32 vcc, 56, v[26:27]
	v_add_co_u32_e64 v12, s[4:5], 8, v4
	v_cndmask_b32_e32 v31, 0, v27, vcc
	v_cndmask_b32_e32 v30, 56, v26, vcc
	v_cmp_gt_u64_e32 vcc, 8, v[26:27]
	v_addc_co_u32_e64 v13, s[4:5], 0, v5, s[4:5]
	s_and_saveexec_b64 s[4:5], vcc
	s_xor_b64 s[4:5], exec, s[4:5]
	s_cbranch_execz .LBB1_289
; %bb.284:                              ;   in Loop: Header=BB1_283 Depth=1
	v_mov_b32_e32 v2, 0
	v_cmp_ne_u64_e32 vcc, 0, v[26:27]
	v_mov_b32_e32 v3, 0
	s_and_saveexec_b64 s[14:15], vcc
	s_cbranch_execz .LBB1_288
; %bb.285:                              ;   in Loop: Header=BB1_283 Depth=1
	v_lshlrev_b64 v[6:7], 3, v[30:31]
	v_mov_b32_e32 v2, 0
	v_mov_b32_e32 v11, v5
	s_mov_b64 s[16:17], 0
	v_mov_b32_e32 v3, 0
	v_mov_b32_e32 v10, v4
	s_mov_b64 s[18:19], 0
.LBB1_286:                              ;   Parent Loop BB1_283 Depth=1
                                        ; =>  This Inner Loop Header: Depth=2
	global_load_ubyte v7, v[10:11], off
	v_mov_b32_e32 v13, s22
	v_add_co_u32_e32 v10, vcc, 1, v10
	v_addc_co_u32_e32 v11, vcc, 0, v11, vcc
	s_waitcnt vmcnt(0)
	v_and_b32_e32 v12, 0xffff, v7
	v_lshlrev_b64 v[12:13], s18, v[12:13]
	s_add_u32 s18, s18, 8
	s_addc_u32 s19, s19, 0
	v_cmp_eq_u32_e32 vcc, s18, v6
	v_or_b32_e32 v3, v13, v3
	s_or_b64 s[16:17], vcc, s[16:17]
	v_or_b32_e32 v2, v12, v2
	s_andn2_b64 exec, exec, s[16:17]
	s_cbranch_execnz .LBB1_286
; %bb.287:                              ;   in Loop: Header=BB1_283 Depth=1
	s_or_b64 exec, exec, s[16:17]
.LBB1_288:                              ;   in Loop: Header=BB1_283 Depth=1
	s_or_b64 exec, exec, s[14:15]
	v_mov_b32_e32 v13, v5
	v_mov_b32_e32 v12, v4
.LBB1_289:                              ;   in Loop: Header=BB1_283 Depth=1
	s_or_saveexec_b64 s[4:5], s[4:5]
	v_mov_b32_e32 v14, 0
	s_xor_b64 exec, exec, s[4:5]
	s_cbranch_execz .LBB1_291
; %bb.290:                              ;   in Loop: Header=BB1_283 Depth=1
	global_load_dwordx2 v[2:3], v[4:5], off
	v_add_u32_e32 v14, -8, v30
.LBB1_291:                              ;   in Loop: Header=BB1_283 Depth=1
	s_or_b64 exec, exec, s[4:5]
	v_add_co_u32_e64 v6, s[4:5], 8, v12
	v_cmp_gt_u32_e32 vcc, 8, v14
	v_addc_co_u32_e64 v7, s[4:5], 0, v13, s[4:5]
                                        ; implicit-def: $vgpr10_vgpr11
	s_and_saveexec_b64 s[4:5], vcc
	s_xor_b64 s[4:5], exec, s[4:5]
	s_cbranch_execz .LBB1_297
; %bb.292:                              ;   in Loop: Header=BB1_283 Depth=1
	v_mov_b32_e32 v10, 0
	v_mov_b32_e32 v11, 0
	v_cmp_ne_u32_e32 vcc, 0, v14
	s_and_saveexec_b64 s[14:15], vcc
	s_cbranch_execz .LBB1_296
; %bb.293:                              ;   in Loop: Header=BB1_283 Depth=1
	v_mov_b32_e32 v10, 0
	s_mov_b64 s[16:17], 0
	v_mov_b32_e32 v11, 0
	s_mov_b64 s[18:19], 0
	s_mov_b64 s[20:21], 0
.LBB1_294:                              ;   Parent Loop BB1_283 Depth=1
                                        ; =>  This Inner Loop Header: Depth=2
	v_mov_b32_e32 v7, s21
	v_add_co_u32_e32 v6, vcc, s20, v12
	v_addc_co_u32_e32 v7, vcc, v13, v7, vcc
	global_load_ubyte v6, v[6:7], off
	s_add_u32 s20, s20, 1
	v_mov_b32_e32 v7, s22
	s_addc_u32 s21, s21, 0
	v_cmp_eq_u32_e32 vcc, s20, v14
	s_waitcnt vmcnt(0)
	v_and_b32_e32 v6, 0xffff, v6
	v_lshlrev_b64 v[6:7], s18, v[6:7]
	s_add_u32 s18, s18, 8
	s_addc_u32 s19, s19, 0
	v_or_b32_e32 v11, v7, v11
	s_or_b64 s[16:17], vcc, s[16:17]
	v_or_b32_e32 v10, v6, v10
	s_andn2_b64 exec, exec, s[16:17]
	s_cbranch_execnz .LBB1_294
; %bb.295:                              ;   in Loop: Header=BB1_283 Depth=1
	s_or_b64 exec, exec, s[16:17]
.LBB1_296:                              ;   in Loop: Header=BB1_283 Depth=1
	s_or_b64 exec, exec, s[14:15]
	v_mov_b32_e32 v6, v12
	v_mov_b32_e32 v7, v13
                                        ; implicit-def: $vgpr14
.LBB1_297:                              ;   in Loop: Header=BB1_283 Depth=1
	s_or_saveexec_b64 s[4:5], s[4:5]
	v_mov_b32_e32 v15, 0
	s_xor_b64 exec, exec, s[4:5]
	s_cbranch_execz .LBB1_299
; %bb.298:                              ;   in Loop: Header=BB1_283 Depth=1
	global_load_dwordx2 v[10:11], v[12:13], off
	v_add_u32_e32 v15, -8, v14
.LBB1_299:                              ;   in Loop: Header=BB1_283 Depth=1
	s_or_b64 exec, exec, s[4:5]
	v_add_co_u32_e64 v16, s[4:5], 8, v6
	v_cmp_gt_u32_e32 vcc, 8, v15
	v_addc_co_u32_e64 v17, s[4:5], 0, v7, s[4:5]
	s_and_saveexec_b64 s[4:5], vcc
	s_xor_b64 s[4:5], exec, s[4:5]
	s_cbranch_execz .LBB1_305
; %bb.300:                              ;   in Loop: Header=BB1_283 Depth=1
	v_mov_b32_e32 v12, 0
	v_mov_b32_e32 v13, 0
	v_cmp_ne_u32_e32 vcc, 0, v15
	s_and_saveexec_b64 s[14:15], vcc
	s_cbranch_execz .LBB1_304
; %bb.301:                              ;   in Loop: Header=BB1_283 Depth=1
	v_mov_b32_e32 v12, 0
	s_mov_b64 s[16:17], 0
	v_mov_b32_e32 v13, 0
	s_mov_b64 s[18:19], 0
	s_mov_b64 s[20:21], 0
.LBB1_302:                              ;   Parent Loop BB1_283 Depth=1
                                        ; =>  This Inner Loop Header: Depth=2
	v_mov_b32_e32 v14, s21
	v_add_co_u32_e32 v16, vcc, s20, v6
	v_addc_co_u32_e32 v17, vcc, v7, v14, vcc
	global_load_ubyte v14, v[16:17], off
	s_add_u32 s20, s20, 1
	v_mov_b32_e32 v17, s22
	s_addc_u32 s21, s21, 0
	v_cmp_eq_u32_e32 vcc, s20, v15
	s_waitcnt vmcnt(0)
	v_and_b32_e32 v16, 0xffff, v14
	v_lshlrev_b64 v[16:17], s18, v[16:17]
	s_add_u32 s18, s18, 8
	s_addc_u32 s19, s19, 0
	v_or_b32_e32 v13, v17, v13
	s_or_b64 s[16:17], vcc, s[16:17]
	v_or_b32_e32 v12, v16, v12
	s_andn2_b64 exec, exec, s[16:17]
	s_cbranch_execnz .LBB1_302
; %bb.303:                              ;   in Loop: Header=BB1_283 Depth=1
	s_or_b64 exec, exec, s[16:17]
.LBB1_304:                              ;   in Loop: Header=BB1_283 Depth=1
	s_or_b64 exec, exec, s[14:15]
	v_mov_b32_e32 v17, v7
	v_mov_b32_e32 v16, v6
                                        ; implicit-def: $vgpr15
.LBB1_305:                              ;   in Loop: Header=BB1_283 Depth=1
	s_or_saveexec_b64 s[4:5], s[4:5]
	v_mov_b32_e32 v18, 0
	s_xor_b64 exec, exec, s[4:5]
	s_cbranch_execz .LBB1_307
; %bb.306:                              ;   in Loop: Header=BB1_283 Depth=1
	global_load_dwordx2 v[12:13], v[6:7], off
	v_add_u32_e32 v18, -8, v15
.LBB1_307:                              ;   in Loop: Header=BB1_283 Depth=1
	s_or_b64 exec, exec, s[4:5]
	v_add_co_u32_e64 v6, s[4:5], 8, v16
	v_cmp_gt_u32_e32 vcc, 8, v18
	v_addc_co_u32_e64 v7, s[4:5], 0, v17, s[4:5]
                                        ; implicit-def: $vgpr14_vgpr15
	s_and_saveexec_b64 s[4:5], vcc
	s_xor_b64 s[4:5], exec, s[4:5]
	s_cbranch_execz .LBB1_313
; %bb.308:                              ;   in Loop: Header=BB1_283 Depth=1
	v_mov_b32_e32 v14, 0
	v_mov_b32_e32 v15, 0
	v_cmp_ne_u32_e32 vcc, 0, v18
	s_and_saveexec_b64 s[14:15], vcc
	s_cbranch_execz .LBB1_312
; %bb.309:                              ;   in Loop: Header=BB1_283 Depth=1
	v_mov_b32_e32 v14, 0
	s_mov_b64 s[16:17], 0
	v_mov_b32_e32 v15, 0
	s_mov_b64 s[18:19], 0
	s_mov_b64 s[20:21], 0
.LBB1_310:                              ;   Parent Loop BB1_283 Depth=1
                                        ; =>  This Inner Loop Header: Depth=2
	v_mov_b32_e32 v7, s21
	v_add_co_u32_e32 v6, vcc, s20, v16
	v_addc_co_u32_e32 v7, vcc, v17, v7, vcc
	global_load_ubyte v6, v[6:7], off
	s_add_u32 s20, s20, 1
	v_mov_b32_e32 v7, s22
	s_addc_u32 s21, s21, 0
	v_cmp_eq_u32_e32 vcc, s20, v18
	s_waitcnt vmcnt(0)
	v_and_b32_e32 v6, 0xffff, v6
	v_lshlrev_b64 v[6:7], s18, v[6:7]
	s_add_u32 s18, s18, 8
	s_addc_u32 s19, s19, 0
	v_or_b32_e32 v15, v7, v15
	s_or_b64 s[16:17], vcc, s[16:17]
	v_or_b32_e32 v14, v6, v14
	s_andn2_b64 exec, exec, s[16:17]
	s_cbranch_execnz .LBB1_310
; %bb.311:                              ;   in Loop: Header=BB1_283 Depth=1
	s_or_b64 exec, exec, s[16:17]
.LBB1_312:                              ;   in Loop: Header=BB1_283 Depth=1
	s_or_b64 exec, exec, s[14:15]
	v_mov_b32_e32 v6, v16
	v_mov_b32_e32 v7, v17
                                        ; implicit-def: $vgpr18
.LBB1_313:                              ;   in Loop: Header=BB1_283 Depth=1
	s_or_saveexec_b64 s[4:5], s[4:5]
	v_mov_b32_e32 v19, 0
	s_xor_b64 exec, exec, s[4:5]
	s_cbranch_execz .LBB1_315
; %bb.314:                              ;   in Loop: Header=BB1_283 Depth=1
	global_load_dwordx2 v[14:15], v[16:17], off
	v_add_u32_e32 v19, -8, v18
.LBB1_315:                              ;   in Loop: Header=BB1_283 Depth=1
	s_or_b64 exec, exec, s[4:5]
	v_add_co_u32_e64 v20, s[4:5], 8, v6
	v_cmp_gt_u32_e32 vcc, 8, v19
	v_addc_co_u32_e64 v21, s[4:5], 0, v7, s[4:5]
	s_and_saveexec_b64 s[4:5], vcc
	s_xor_b64 s[4:5], exec, s[4:5]
	s_cbranch_execz .LBB1_321
; %bb.316:                              ;   in Loop: Header=BB1_283 Depth=1
	v_mov_b32_e32 v16, 0
	v_mov_b32_e32 v17, 0
	v_cmp_ne_u32_e32 vcc, 0, v19
	s_and_saveexec_b64 s[14:15], vcc
	s_cbranch_execz .LBB1_320
; %bb.317:                              ;   in Loop: Header=BB1_283 Depth=1
	v_mov_b32_e32 v16, 0
	s_mov_b64 s[16:17], 0
	v_mov_b32_e32 v17, 0
	s_mov_b64 s[18:19], 0
	s_mov_b64 s[20:21], 0
.LBB1_318:                              ;   Parent Loop BB1_283 Depth=1
                                        ; =>  This Inner Loop Header: Depth=2
	v_mov_b32_e32 v18, s21
	v_add_co_u32_e32 v20, vcc, s20, v6
	v_addc_co_u32_e32 v21, vcc, v7, v18, vcc
	global_load_ubyte v18, v[20:21], off
	s_add_u32 s20, s20, 1
	v_mov_b32_e32 v21, s22
	s_addc_u32 s21, s21, 0
	v_cmp_eq_u32_e32 vcc, s20, v19
	s_waitcnt vmcnt(0)
	v_and_b32_e32 v20, 0xffff, v18
	v_lshlrev_b64 v[20:21], s18, v[20:21]
	s_add_u32 s18, s18, 8
	s_addc_u32 s19, s19, 0
	v_or_b32_e32 v17, v21, v17
	s_or_b64 s[16:17], vcc, s[16:17]
	v_or_b32_e32 v16, v20, v16
	s_andn2_b64 exec, exec, s[16:17]
	s_cbranch_execnz .LBB1_318
; %bb.319:                              ;   in Loop: Header=BB1_283 Depth=1
	s_or_b64 exec, exec, s[16:17]
.LBB1_320:                              ;   in Loop: Header=BB1_283 Depth=1
	s_or_b64 exec, exec, s[14:15]
	v_mov_b32_e32 v21, v7
	v_mov_b32_e32 v20, v6
                                        ; implicit-def: $vgpr19
.LBB1_321:                              ;   in Loop: Header=BB1_283 Depth=1
	s_or_saveexec_b64 s[4:5], s[4:5]
	v_mov_b32_e32 v22, 0
	s_xor_b64 exec, exec, s[4:5]
	s_cbranch_execz .LBB1_323
; %bb.322:                              ;   in Loop: Header=BB1_283 Depth=1
	global_load_dwordx2 v[16:17], v[6:7], off
	v_add_u32_e32 v22, -8, v19
.LBB1_323:                              ;   in Loop: Header=BB1_283 Depth=1
	s_or_b64 exec, exec, s[4:5]
	v_add_co_u32_e64 v6, s[4:5], 8, v20
	v_cmp_gt_u32_e32 vcc, 8, v22
	v_addc_co_u32_e64 v7, s[4:5], 0, v21, s[4:5]
                                        ; implicit-def: $vgpr18_vgpr19
	s_and_saveexec_b64 s[4:5], vcc
	s_xor_b64 s[4:5], exec, s[4:5]
	s_cbranch_execz .LBB1_329
; %bb.324:                              ;   in Loop: Header=BB1_283 Depth=1
	v_mov_b32_e32 v18, 0
	v_mov_b32_e32 v19, 0
	v_cmp_ne_u32_e32 vcc, 0, v22
	s_and_saveexec_b64 s[14:15], vcc
	s_cbranch_execz .LBB1_328
; %bb.325:                              ;   in Loop: Header=BB1_283 Depth=1
	v_mov_b32_e32 v18, 0
	s_mov_b64 s[16:17], 0
	v_mov_b32_e32 v19, 0
	s_mov_b64 s[18:19], 0
	s_mov_b64 s[20:21], 0
.LBB1_326:                              ;   Parent Loop BB1_283 Depth=1
                                        ; =>  This Inner Loop Header: Depth=2
	v_mov_b32_e32 v7, s21
	v_add_co_u32_e32 v6, vcc, s20, v20
	v_addc_co_u32_e32 v7, vcc, v21, v7, vcc
	global_load_ubyte v6, v[6:7], off
	s_add_u32 s20, s20, 1
	v_mov_b32_e32 v7, s22
	s_addc_u32 s21, s21, 0
	v_cmp_eq_u32_e32 vcc, s20, v22
	s_waitcnt vmcnt(0)
	v_and_b32_e32 v6, 0xffff, v6
	v_lshlrev_b64 v[6:7], s18, v[6:7]
	s_add_u32 s18, s18, 8
	s_addc_u32 s19, s19, 0
	v_or_b32_e32 v19, v7, v19
	s_or_b64 s[16:17], vcc, s[16:17]
	v_or_b32_e32 v18, v6, v18
	s_andn2_b64 exec, exec, s[16:17]
	s_cbranch_execnz .LBB1_326
; %bb.327:                              ;   in Loop: Header=BB1_283 Depth=1
	s_or_b64 exec, exec, s[16:17]
.LBB1_328:                              ;   in Loop: Header=BB1_283 Depth=1
	s_or_b64 exec, exec, s[14:15]
	v_mov_b32_e32 v6, v20
	v_mov_b32_e32 v7, v21
                                        ; implicit-def: $vgpr22
.LBB1_329:                              ;   in Loop: Header=BB1_283 Depth=1
	s_or_saveexec_b64 s[4:5], s[4:5]
	v_mov_b32_e32 v23, 0
	s_xor_b64 exec, exec, s[4:5]
	s_cbranch_execz .LBB1_331
; %bb.330:                              ;   in Loop: Header=BB1_283 Depth=1
	global_load_dwordx2 v[18:19], v[20:21], off
	v_add_u32_e32 v23, -8, v22
.LBB1_331:                              ;   in Loop: Header=BB1_283 Depth=1
	s_or_b64 exec, exec, s[4:5]
	v_cmp_gt_u32_e32 vcc, 8, v23
	s_and_saveexec_b64 s[4:5], vcc
	s_xor_b64 s[4:5], exec, s[4:5]
	s_cbranch_execz .LBB1_337
; %bb.332:                              ;   in Loop: Header=BB1_283 Depth=1
	v_mov_b32_e32 v20, 0
	v_mov_b32_e32 v21, 0
	v_cmp_ne_u32_e32 vcc, 0, v23
	s_and_saveexec_b64 s[14:15], vcc
	s_cbranch_execz .LBB1_336
; %bb.333:                              ;   in Loop: Header=BB1_283 Depth=1
	v_mov_b32_e32 v20, 0
	s_mov_b64 s[16:17], 0
	v_mov_b32_e32 v21, 0
	s_mov_b64 s[18:19], 0
.LBB1_334:                              ;   Parent Loop BB1_283 Depth=1
                                        ; =>  This Inner Loop Header: Depth=2
	global_load_ubyte v22, v[6:7], off
	v_mov_b32_e32 v25, s22
	v_add_co_u32_e32 v6, vcc, 1, v6
	v_add_u32_e32 v23, -1, v23
	v_addc_co_u32_e32 v7, vcc, 0, v7, vcc
	v_cmp_eq_u32_e32 vcc, 0, v23
	s_waitcnt vmcnt(0)
	v_and_b32_e32 v24, 0xffff, v22
	v_lshlrev_b64 v[24:25], s18, v[24:25]
	s_add_u32 s18, s18, 8
	s_addc_u32 s19, s19, 0
	v_or_b32_e32 v21, v25, v21
	s_or_b64 s[16:17], vcc, s[16:17]
	v_or_b32_e32 v20, v24, v20
	s_andn2_b64 exec, exec, s[16:17]
	s_cbranch_execnz .LBB1_334
; %bb.335:                              ;   in Loop: Header=BB1_283 Depth=1
	s_or_b64 exec, exec, s[16:17]
.LBB1_336:                              ;   in Loop: Header=BB1_283 Depth=1
	s_or_b64 exec, exec, s[14:15]
                                        ; implicit-def: $vgpr6_vgpr7
.LBB1_337:                              ;   in Loop: Header=BB1_283 Depth=1
	s_andn2_saveexec_b64 s[4:5], s[4:5]
	s_cbranch_execz .LBB1_339
; %bb.338:                              ;   in Loop: Header=BB1_283 Depth=1
	global_load_dwordx2 v[20:21], v[6:7], off
.LBB1_339:                              ;   in Loop: Header=BB1_283 Depth=1
	s_or_b64 exec, exec, s[4:5]
	v_readfirstlane_b32 s4, v34
	v_mov_b32_e32 v6, 0
	v_mov_b32_e32 v7, 0
	v_cmp_eq_u32_e64 s[4:5], s4, v34
	s_and_saveexec_b64 s[14:15], s[4:5]
	s_cbranch_execz .LBB1_345
; %bb.340:                              ;   in Loop: Header=BB1_283 Depth=1
	global_load_dwordx2 v[24:25], v29, s[10:11] offset:24 glc
	s_waitcnt vmcnt(0)
	buffer_wbinvl1_vol
	global_load_dwordx2 v[6:7], v29, s[10:11] offset:40
	global_load_dwordx2 v[22:23], v29, s[10:11]
	s_waitcnt vmcnt(1)
	v_and_b32_e32 v6, v6, v24
	v_and_b32_e32 v7, v7, v25
	v_mul_lo_u32 v7, v7, 24
	v_mul_hi_u32 v28, v6, 24
	v_mul_lo_u32 v6, v6, 24
	v_add_u32_e32 v7, v28, v7
	s_waitcnt vmcnt(0)
	v_add_co_u32_e32 v6, vcc, v22, v6
	v_addc_co_u32_e32 v7, vcc, v23, v7, vcc
	global_load_dwordx2 v[22:23], v[6:7], off glc
	s_waitcnt vmcnt(0)
	global_atomic_cmpswap_x2 v[6:7], v29, v[22:25], s[10:11] offset:24 glc
	s_waitcnt vmcnt(0)
	buffer_wbinvl1_vol
	v_cmp_ne_u64_e32 vcc, v[6:7], v[24:25]
	s_and_saveexec_b64 s[16:17], vcc
	s_cbranch_execz .LBB1_344
; %bb.341:                              ;   in Loop: Header=BB1_283 Depth=1
	s_mov_b64 s[18:19], 0
.LBB1_342:                              ;   Parent Loop BB1_283 Depth=1
                                        ; =>  This Inner Loop Header: Depth=2
	s_sleep 1
	global_load_dwordx2 v[22:23], v29, s[10:11] offset:40
	global_load_dwordx2 v[32:33], v29, s[10:11]
	v_mov_b32_e32 v25, v7
	v_mov_b32_e32 v24, v6
	s_waitcnt vmcnt(1)
	v_and_b32_e32 v6, v22, v24
	s_waitcnt vmcnt(0)
	v_mad_u64_u32 v[6:7], s[20:21], v6, 24, v[32:33]
	v_and_b32_e32 v22, v23, v25
	v_mad_u64_u32 v[22:23], s[20:21], v22, 24, v[7:8]
	v_mov_b32_e32 v7, v22
	global_load_dwordx2 v[22:23], v[6:7], off glc
	s_waitcnt vmcnt(0)
	global_atomic_cmpswap_x2 v[6:7], v29, v[22:25], s[10:11] offset:24 glc
	s_waitcnt vmcnt(0)
	buffer_wbinvl1_vol
	v_cmp_eq_u64_e32 vcc, v[6:7], v[24:25]
	s_or_b64 s[18:19], vcc, s[18:19]
	s_andn2_b64 exec, exec, s[18:19]
	s_cbranch_execnz .LBB1_342
; %bb.343:                              ;   in Loop: Header=BB1_283 Depth=1
	s_or_b64 exec, exec, s[18:19]
.LBB1_344:                              ;   in Loop: Header=BB1_283 Depth=1
	s_or_b64 exec, exec, s[16:17]
.LBB1_345:                              ;   in Loop: Header=BB1_283 Depth=1
	s_or_b64 exec, exec, s[14:15]
	global_load_dwordx2 v[32:33], v29, s[10:11] offset:40
	global_load_dwordx4 v[22:25], v29, s[10:11]
	v_readfirstlane_b32 s15, v7
	v_readfirstlane_b32 s14, v6
	s_mov_b64 s[16:17], exec
	s_waitcnt vmcnt(1)
	v_readfirstlane_b32 s18, v32
	v_readfirstlane_b32 s19, v33
	s_and_b64 s[18:19], s[18:19], s[14:15]
	s_mul_i32 s20, s19, 24
	s_mul_hi_u32 s21, s18, 24
	s_mul_i32 s24, s18, 24
	s_add_i32 s20, s21, s20
	v_mov_b32_e32 v6, s20
	s_waitcnt vmcnt(0)
	v_add_co_u32_e32 v32, vcc, s24, v22
	v_addc_co_u32_e32 v33, vcc, v23, v6, vcc
	s_and_saveexec_b64 s[20:21], s[4:5]
	s_cbranch_execz .LBB1_347
; %bb.346:                              ;   in Loop: Header=BB1_283 Depth=1
	v_mov_b32_e32 v6, s16
	v_mov_b32_e32 v7, s17
	global_store_dwordx4 v[32:33], v[6:9], off offset:8
.LBB1_347:                              ;   in Loop: Header=BB1_283 Depth=1
	s_or_b64 exec, exec, s[20:21]
	s_lshl_b64 s[16:17], s[18:19], 12
	v_mov_b32_e32 v6, s17
	v_add_co_u32_e32 v24, vcc, s16, v24
	v_addc_co_u32_e32 v25, vcc, v25, v6, vcc
	v_cmp_gt_u64_e32 vcc, 57, v[26:27]
	v_and_b32_e32 v0, 0xffffff1f, v0
	v_cndmask_b32_e32 v6, 0, v36, vcc
	v_lshl_add_u32 v7, v30, 2, 28
	v_or_b32_e32 v0, v0, v6
	v_and_or_b32 v0, v7, s23, v0
	v_readfirstlane_b32 s16, v24
	v_readfirstlane_b32 s17, v25
	s_nop 4
	global_store_dwordx4 v35, v[0:3], s[16:17]
	global_store_dwordx4 v35, v[10:13], s[16:17] offset:16
	global_store_dwordx4 v35, v[14:17], s[16:17] offset:32
	;; [unrolled: 1-line block ×3, first 2 shown]
	s_and_saveexec_b64 s[16:17], s[4:5]
	s_cbranch_execz .LBB1_355
; %bb.348:                              ;   in Loop: Header=BB1_283 Depth=1
	global_load_dwordx2 v[12:13], v29, s[10:11] offset:32 glc
	global_load_dwordx2 v[0:1], v29, s[10:11] offset:40
	v_mov_b32_e32 v10, s14
	v_mov_b32_e32 v11, s15
	s_waitcnt vmcnt(0)
	v_readfirstlane_b32 s18, v0
	v_readfirstlane_b32 s19, v1
	s_and_b64 s[18:19], s[18:19], s[14:15]
	s_mul_i32 s19, s19, 24
	s_mul_hi_u32 s20, s18, 24
	s_mul_i32 s18, s18, 24
	s_add_i32 s19, s20, s19
	v_mov_b32_e32 v0, s19
	v_add_co_u32_e32 v6, vcc, s18, v22
	v_addc_co_u32_e32 v7, vcc, v23, v0, vcc
	global_store_dwordx2 v[6:7], v[12:13], off
	s_waitcnt vmcnt(0)
	global_atomic_cmpswap_x2 v[2:3], v29, v[10:13], s[10:11] offset:32 glc
	s_waitcnt vmcnt(0)
	v_cmp_ne_u64_e32 vcc, v[2:3], v[12:13]
	s_and_saveexec_b64 s[18:19], vcc
	s_cbranch_execz .LBB1_351
; %bb.349:                              ;   in Loop: Header=BB1_283 Depth=1
	s_mov_b64 s[20:21], 0
.LBB1_350:                              ;   Parent Loop BB1_283 Depth=1
                                        ; =>  This Inner Loop Header: Depth=2
	s_sleep 1
	global_store_dwordx2 v[6:7], v[2:3], off
	v_mov_b32_e32 v0, s14
	v_mov_b32_e32 v1, s15
	s_waitcnt vmcnt(0)
	global_atomic_cmpswap_x2 v[0:1], v29, v[0:3], s[10:11] offset:32 glc
	s_waitcnt vmcnt(0)
	v_cmp_eq_u64_e32 vcc, v[0:1], v[2:3]
	v_mov_b32_e32 v3, v1
	s_or_b64 s[20:21], vcc, s[20:21]
	v_mov_b32_e32 v2, v0
	s_andn2_b64 exec, exec, s[20:21]
	s_cbranch_execnz .LBB1_350
.LBB1_351:                              ;   in Loop: Header=BB1_283 Depth=1
	s_or_b64 exec, exec, s[18:19]
	global_load_dwordx2 v[0:1], v29, s[10:11] offset:16
	s_mov_b64 s[20:21], exec
	v_mbcnt_lo_u32_b32 v2, s20, 0
	v_mbcnt_hi_u32_b32 v2, s21, v2
	v_cmp_eq_u32_e32 vcc, 0, v2
	s_and_saveexec_b64 s[18:19], vcc
	s_cbranch_execz .LBB1_353
; %bb.352:                              ;   in Loop: Header=BB1_283 Depth=1
	s_bcnt1_i32_b64 s20, s[20:21]
	v_mov_b32_e32 v28, s20
	s_waitcnt vmcnt(0)
	global_atomic_add_x2 v[0:1], v[28:29], off offset:8
.LBB1_353:                              ;   in Loop: Header=BB1_283 Depth=1
	s_or_b64 exec, exec, s[18:19]
	s_waitcnt vmcnt(0)
	global_load_dwordx2 v[2:3], v[0:1], off offset:16
	s_waitcnt vmcnt(0)
	v_cmp_eq_u64_e32 vcc, 0, v[2:3]
	s_cbranch_vccnz .LBB1_355
; %bb.354:                              ;   in Loop: Header=BB1_283 Depth=1
	global_load_dword v28, v[0:1], off offset:24
	s_waitcnt vmcnt(0)
	v_readfirstlane_b32 s18, v28
	s_and_b32 m0, s18, 0xffffff
	global_store_dwordx2 v[2:3], v[28:29], off
	s_sendmsg sendmsg(MSG_INTERRUPT)
.LBB1_355:                              ;   in Loop: Header=BB1_283 Depth=1
	s_or_b64 exec, exec, s[16:17]
	v_add_co_u32_e32 v0, vcc, v24, v35
	v_addc_co_u32_e32 v1, vcc, 0, v25, vcc
	s_branch .LBB1_359
.LBB1_356:                              ;   in Loop: Header=BB1_359 Depth=2
	s_or_b64 exec, exec, s[16:17]
	v_readfirstlane_b32 s16, v2
	s_cmp_eq_u32 s16, 0
	s_cbranch_scc1 .LBB1_358
; %bb.357:                              ;   in Loop: Header=BB1_359 Depth=2
	s_sleep 1
	s_cbranch_execnz .LBB1_359
	s_branch .LBB1_361
.LBB1_358:                              ;   in Loop: Header=BB1_283 Depth=1
	s_branch .LBB1_361
.LBB1_359:                              ;   Parent Loop BB1_283 Depth=1
                                        ; =>  This Inner Loop Header: Depth=2
	v_mov_b32_e32 v2, 1
	s_and_saveexec_b64 s[16:17], s[4:5]
	s_cbranch_execz .LBB1_356
; %bb.360:                              ;   in Loop: Header=BB1_359 Depth=2
	global_load_dword v2, v[32:33], off offset:20 glc
	s_waitcnt vmcnt(0)
	buffer_wbinvl1_vol
	v_and_b32_e32 v2, 1, v2
	s_branch .LBB1_356
.LBB1_361:                              ;   in Loop: Header=BB1_283 Depth=1
	global_load_dwordx2 v[0:1], v[0:1], off
	s_and_saveexec_b64 s[16:17], s[4:5]
	s_cbranch_execz .LBB1_282
; %bb.362:                              ;   in Loop: Header=BB1_283 Depth=1
	global_load_dwordx2 v[2:3], v29, s[10:11] offset:40
	global_load_dwordx2 v[14:15], v29, s[10:11] offset:24 glc
	global_load_dwordx2 v[6:7], v29, s[10:11]
	s_waitcnt vmcnt(2)
	v_readfirstlane_b32 s18, v2
	v_readfirstlane_b32 s19, v3
	s_add_u32 s20, s18, 1
	s_addc_u32 s21, s19, 0
	s_add_u32 s4, s20, s14
	s_addc_u32 s5, s21, s15
	s_cmp_eq_u64 s[4:5], 0
	s_cselect_b32 s5, s21, s5
	s_cselect_b32 s4, s20, s4
	s_and_b64 s[14:15], s[4:5], s[18:19]
	s_mul_i32 s15, s15, 24
	s_mul_hi_u32 s18, s14, 24
	s_mul_i32 s14, s14, 24
	s_add_i32 s15, s18, s15
	v_mov_b32_e32 v3, s15
	s_waitcnt vmcnt(0)
	v_add_co_u32_e32 v2, vcc, s14, v6
	v_addc_co_u32_e32 v3, vcc, v7, v3, vcc
	v_mov_b32_e32 v12, s4
	global_store_dwordx2 v[2:3], v[14:15], off
	v_mov_b32_e32 v13, s5
	s_waitcnt vmcnt(0)
	global_atomic_cmpswap_x2 v[12:13], v29, v[12:15], s[10:11] offset:24 glc
	s_waitcnt vmcnt(0)
	v_cmp_ne_u64_e32 vcc, v[12:13], v[14:15]
	s_and_b64 exec, exec, vcc
	s_cbranch_execz .LBB1_282
; %bb.363:                              ;   in Loop: Header=BB1_283 Depth=1
	s_mov_b64 s[14:15], 0
.LBB1_364:                              ;   Parent Loop BB1_283 Depth=1
                                        ; =>  This Inner Loop Header: Depth=2
	s_sleep 1
	global_store_dwordx2 v[2:3], v[12:13], off
	v_mov_b32_e32 v10, s4
	v_mov_b32_e32 v11, s5
	s_waitcnt vmcnt(0)
	global_atomic_cmpswap_x2 v[6:7], v29, v[10:13], s[10:11] offset:24 glc
	s_waitcnt vmcnt(0)
	v_cmp_eq_u64_e32 vcc, v[6:7], v[12:13]
	v_mov_b32_e32 v13, v7
	s_or_b64 s[14:15], vcc, s[14:15]
	v_mov_b32_e32 v12, v6
	s_andn2_b64 exec, exec, s[14:15]
	s_cbranch_execnz .LBB1_364
	s_branch .LBB1_282
.LBB1_365:
	s_or_b64 exec, exec, s[12:13]
                                        ; implicit-def: $vgpr35
                                        ; implicit-def: $vgpr34
.LBB1_366:
	s_andn2_saveexec_b64 s[6:7], s[6:7]
	s_cbranch_execz .LBB1_393
; %bb.367:
	v_readfirstlane_b32 s4, v34
	v_mov_b32_e32 v8, 0
	v_mov_b32_e32 v9, 0
	v_cmp_eq_u32_e64 s[4:5], s4, v34
	s_and_saveexec_b64 s[12:13], s[4:5]
	s_cbranch_execz .LBB1_373
; %bb.368:
	v_mov_b32_e32 v2, 0
	global_load_dwordx2 v[5:6], v2, s[10:11] offset:24 glc
	s_waitcnt vmcnt(0)
	buffer_wbinvl1_vol
	global_load_dwordx2 v[3:4], v2, s[10:11] offset:40
	global_load_dwordx2 v[7:8], v2, s[10:11]
	s_waitcnt vmcnt(1)
	v_and_b32_e32 v3, v3, v5
	v_and_b32_e32 v4, v4, v6
	v_mul_lo_u32 v4, v4, 24
	v_mul_hi_u32 v9, v3, 24
	v_mul_lo_u32 v3, v3, 24
	v_add_u32_e32 v4, v9, v4
	s_waitcnt vmcnt(0)
	v_add_co_u32_e32 v3, vcc, v7, v3
	v_addc_co_u32_e32 v4, vcc, v8, v4, vcc
	global_load_dwordx2 v[3:4], v[3:4], off glc
	s_waitcnt vmcnt(0)
	global_atomic_cmpswap_x2 v[8:9], v2, v[3:6], s[10:11] offset:24 glc
	s_waitcnt vmcnt(0)
	buffer_wbinvl1_vol
	v_cmp_ne_u64_e32 vcc, v[8:9], v[5:6]
	s_and_saveexec_b64 s[14:15], vcc
	s_cbranch_execz .LBB1_372
; %bb.369:
	s_mov_b64 s[16:17], 0
.LBB1_370:                              ; =>This Inner Loop Header: Depth=1
	s_sleep 1
	global_load_dwordx2 v[3:4], v2, s[10:11] offset:40
	global_load_dwordx2 v[10:11], v2, s[10:11]
	v_mov_b32_e32 v5, v8
	v_mov_b32_e32 v6, v9
	s_waitcnt vmcnt(1)
	v_and_b32_e32 v3, v3, v5
	s_waitcnt vmcnt(0)
	v_mad_u64_u32 v[7:8], s[18:19], v3, 24, v[10:11]
	v_and_b32_e32 v4, v4, v6
	v_mov_b32_e32 v3, v8
	v_mad_u64_u32 v[3:4], s[18:19], v4, 24, v[3:4]
	v_mov_b32_e32 v8, v3
	global_load_dwordx2 v[3:4], v[7:8], off glc
	s_waitcnt vmcnt(0)
	global_atomic_cmpswap_x2 v[8:9], v2, v[3:6], s[10:11] offset:24 glc
	s_waitcnt vmcnt(0)
	buffer_wbinvl1_vol
	v_cmp_eq_u64_e32 vcc, v[8:9], v[5:6]
	s_or_b64 s[16:17], vcc, s[16:17]
	s_andn2_b64 exec, exec, s[16:17]
	s_cbranch_execnz .LBB1_370
; %bb.371:
	s_or_b64 exec, exec, s[16:17]
.LBB1_372:
	s_or_b64 exec, exec, s[14:15]
.LBB1_373:
	s_or_b64 exec, exec, s[12:13]
	v_mov_b32_e32 v2, 0
	global_load_dwordx2 v[10:11], v2, s[10:11] offset:40
	global_load_dwordx4 v[4:7], v2, s[10:11]
	v_readfirstlane_b32 s13, v9
	v_readfirstlane_b32 s12, v8
	s_mov_b64 s[14:15], exec
	s_waitcnt vmcnt(1)
	v_readfirstlane_b32 s16, v10
	v_readfirstlane_b32 s17, v11
	s_and_b64 s[16:17], s[16:17], s[12:13]
	s_mul_i32 s18, s17, 24
	s_mul_hi_u32 s19, s16, 24
	s_mul_i32 s20, s16, 24
	s_add_i32 s18, s19, s18
	v_mov_b32_e32 v3, s18
	s_waitcnt vmcnt(0)
	v_add_co_u32_e32 v8, vcc, s20, v4
	v_addc_co_u32_e32 v9, vcc, v5, v3, vcc
	s_and_saveexec_b64 s[18:19], s[4:5]
	s_cbranch_execz .LBB1_375
; %bb.374:
	v_mov_b32_e32 v10, s14
	v_mov_b32_e32 v11, s15
	;; [unrolled: 1-line block ×4, first 2 shown]
	global_store_dwordx4 v[8:9], v[10:13], off offset:8
.LBB1_375:
	s_or_b64 exec, exec, s[18:19]
	s_lshl_b64 s[14:15], s[16:17], 12
	v_mov_b32_e32 v3, s15
	v_add_co_u32_e32 v10, vcc, s14, v6
	v_addc_co_u32_e32 v11, vcc, v7, v3, vcc
	s_movk_i32 s14, 0xff1f
	v_and_or_b32 v0, v0, s14, 32
	s_mov_b32 s16, 0
	v_mov_b32_e32 v3, v2
	v_readfirstlane_b32 s14, v10
	v_readfirstlane_b32 s15, v11
	v_add_co_u32_e32 v6, vcc, v10, v35
	s_mov_b32 s17, s16
	s_mov_b32 s18, s16
	s_mov_b32 s19, s16
	s_nop 0
	global_store_dwordx4 v35, v[0:3], s[14:15]
	v_addc_co_u32_e32 v7, vcc, 0, v11, vcc
	v_mov_b32_e32 v0, s16
	v_mov_b32_e32 v1, s17
	;; [unrolled: 1-line block ×4, first 2 shown]
	global_store_dwordx4 v35, v[0:3], s[14:15] offset:16
	global_store_dwordx4 v35, v[0:3], s[14:15] offset:32
	;; [unrolled: 1-line block ×3, first 2 shown]
	s_and_saveexec_b64 s[14:15], s[4:5]
	s_cbranch_execz .LBB1_383
; %bb.376:
	v_mov_b32_e32 v10, 0
	global_load_dwordx2 v[13:14], v10, s[10:11] offset:32 glc
	global_load_dwordx2 v[0:1], v10, s[10:11] offset:40
	v_mov_b32_e32 v11, s12
	v_mov_b32_e32 v12, s13
	s_waitcnt vmcnt(0)
	v_readfirstlane_b32 s16, v0
	v_readfirstlane_b32 s17, v1
	s_and_b64 s[16:17], s[16:17], s[12:13]
	s_mul_i32 s17, s17, 24
	s_mul_hi_u32 s18, s16, 24
	s_mul_i32 s16, s16, 24
	s_add_i32 s17, s18, s17
	v_mov_b32_e32 v0, s17
	v_add_co_u32_e32 v4, vcc, s16, v4
	v_addc_co_u32_e32 v5, vcc, v5, v0, vcc
	global_store_dwordx2 v[4:5], v[13:14], off
	s_waitcnt vmcnt(0)
	global_atomic_cmpswap_x2 v[2:3], v10, v[11:14], s[10:11] offset:32 glc
	s_waitcnt vmcnt(0)
	v_cmp_ne_u64_e32 vcc, v[2:3], v[13:14]
	s_and_saveexec_b64 s[16:17], vcc
	s_cbranch_execz .LBB1_379
; %bb.377:
	s_mov_b64 s[18:19], 0
.LBB1_378:                              ; =>This Inner Loop Header: Depth=1
	s_sleep 1
	global_store_dwordx2 v[4:5], v[2:3], off
	v_mov_b32_e32 v0, s12
	v_mov_b32_e32 v1, s13
	s_waitcnt vmcnt(0)
	global_atomic_cmpswap_x2 v[0:1], v10, v[0:3], s[10:11] offset:32 glc
	s_waitcnt vmcnt(0)
	v_cmp_eq_u64_e32 vcc, v[0:1], v[2:3]
	v_mov_b32_e32 v3, v1
	s_or_b64 s[18:19], vcc, s[18:19]
	v_mov_b32_e32 v2, v0
	s_andn2_b64 exec, exec, s[18:19]
	s_cbranch_execnz .LBB1_378
.LBB1_379:
	s_or_b64 exec, exec, s[16:17]
	v_mov_b32_e32 v3, 0
	global_load_dwordx2 v[0:1], v3, s[10:11] offset:16
	s_mov_b64 s[16:17], exec
	v_mbcnt_lo_u32_b32 v2, s16, 0
	v_mbcnt_hi_u32_b32 v2, s17, v2
	v_cmp_eq_u32_e32 vcc, 0, v2
	s_and_saveexec_b64 s[18:19], vcc
	s_cbranch_execz .LBB1_381
; %bb.380:
	s_bcnt1_i32_b64 s16, s[16:17]
	v_mov_b32_e32 v2, s16
	s_waitcnt vmcnt(0)
	global_atomic_add_x2 v[0:1], v[2:3], off offset:8
.LBB1_381:
	s_or_b64 exec, exec, s[18:19]
	s_waitcnt vmcnt(0)
	global_load_dwordx2 v[2:3], v[0:1], off offset:16
	s_waitcnt vmcnt(0)
	v_cmp_eq_u64_e32 vcc, 0, v[2:3]
	s_cbranch_vccnz .LBB1_383
; %bb.382:
	global_load_dword v0, v[0:1], off offset:24
	v_mov_b32_e32 v1, 0
	s_waitcnt vmcnt(0)
	v_readfirstlane_b32 s16, v0
	s_and_b32 m0, s16, 0xffffff
	global_store_dwordx2 v[2:3], v[0:1], off
	s_sendmsg sendmsg(MSG_INTERRUPT)
.LBB1_383:
	s_or_b64 exec, exec, s[14:15]
	s_branch .LBB1_387
.LBB1_384:                              ;   in Loop: Header=BB1_387 Depth=1
	s_or_b64 exec, exec, s[14:15]
	v_readfirstlane_b32 s14, v0
	s_cmp_eq_u32 s14, 0
	s_cbranch_scc1 .LBB1_386
; %bb.385:                              ;   in Loop: Header=BB1_387 Depth=1
	s_sleep 1
	s_cbranch_execnz .LBB1_387
	s_branch .LBB1_389
.LBB1_386:
	s_branch .LBB1_389
.LBB1_387:                              ; =>This Inner Loop Header: Depth=1
	v_mov_b32_e32 v0, 1
	s_and_saveexec_b64 s[14:15], s[4:5]
	s_cbranch_execz .LBB1_384
; %bb.388:                              ;   in Loop: Header=BB1_387 Depth=1
	global_load_dword v0, v[8:9], off offset:20 glc
	s_waitcnt vmcnt(0)
	buffer_wbinvl1_vol
	v_and_b32_e32 v0, 1, v0
	s_branch .LBB1_384
.LBB1_389:
	global_load_dwordx2 v[0:1], v[6:7], off
	s_and_saveexec_b64 s[14:15], s[4:5]
	s_cbranch_execz .LBB1_392
; %bb.390:
	v_mov_b32_e32 v8, 0
	global_load_dwordx2 v[2:3], v8, s[10:11] offset:40
	global_load_dwordx2 v[11:12], v8, s[10:11] offset:24 glc
	global_load_dwordx2 v[4:5], v8, s[10:11]
	s_waitcnt vmcnt(2)
	v_readfirstlane_b32 s16, v2
	v_readfirstlane_b32 s17, v3
	s_add_u32 s18, s16, 1
	s_addc_u32 s19, s17, 0
	s_add_u32 s4, s18, s12
	s_addc_u32 s5, s19, s13
	s_cmp_eq_u64 s[4:5], 0
	s_cselect_b32 s5, s19, s5
	s_cselect_b32 s4, s18, s4
	s_and_b64 s[12:13], s[4:5], s[16:17]
	s_mul_i32 s13, s13, 24
	s_mul_hi_u32 s16, s12, 24
	s_mul_i32 s12, s12, 24
	s_add_i32 s13, s16, s13
	v_mov_b32_e32 v2, s13
	s_waitcnt vmcnt(0)
	v_add_co_u32_e32 v6, vcc, s12, v4
	v_addc_co_u32_e32 v7, vcc, v5, v2, vcc
	v_mov_b32_e32 v9, s4
	global_store_dwordx2 v[6:7], v[11:12], off
	v_mov_b32_e32 v10, s5
	s_waitcnt vmcnt(0)
	global_atomic_cmpswap_x2 v[4:5], v8, v[9:12], s[10:11] offset:24 glc
	s_mov_b64 s[12:13], 0
	s_waitcnt vmcnt(0)
	v_cmp_ne_u64_e32 vcc, v[4:5], v[11:12]
	s_and_b64 exec, exec, vcc
	s_cbranch_execz .LBB1_392
.LBB1_391:                              ; =>This Inner Loop Header: Depth=1
	s_sleep 1
	global_store_dwordx2 v[6:7], v[4:5], off
	v_mov_b32_e32 v2, s4
	v_mov_b32_e32 v3, s5
	s_waitcnt vmcnt(0)
	global_atomic_cmpswap_x2 v[2:3], v8, v[2:5], s[10:11] offset:24 glc
	s_waitcnt vmcnt(0)
	v_cmp_eq_u64_e32 vcc, v[2:3], v[4:5]
	v_mov_b32_e32 v5, v3
	s_or_b64 s[12:13], vcc, s[12:13]
	v_mov_b32_e32 v4, v2
	s_andn2_b64 exec, exec, s[12:13]
	s_cbranch_execnz .LBB1_391
.LBB1_392:
	s_or_b64 exec, exec, s[14:15]
.LBB1_393:
	s_or_b64 exec, exec, s[6:7]
	s_getpc_b64 s[4:5]
	s_add_u32 s4, s4, .str.3@rel32@lo+4
	s_addc_u32 s5, s5, .str.3@rel32@hi+12
	s_getpc_b64 s[6:7]
	s_add_u32 s6, s6, .str.3@rel32@lo+32
	s_addc_u32 s7, s7, .str.3@rel32@hi+40
	s_sub_i32 s10, s6, s4
	s_ashr_i32 s11, s10, 31
	s_getpc_b64 s[6:7]
	s_add_u32 s6, s6, __ockl_fprintf_append_string_n@rel32@lo+4
	s_addc_u32 s7, s7, __ockl_fprintf_append_string_n@rel32@hi+12
	v_mov_b32_e32 v2, s4
	v_mov_b32_e32 v3, s5
	;; [unrolled: 1-line block ×5, first 2 shown]
	s_swappc_b64 s[30:31], s[6:7]
	s_trap 2
.Lfunc_end1:
	.size	__assert_fail, .Lfunc_end1-__assert_fail
                                        ; -- End function
	.set .L__assert_fail.num_vgpr, max(41, .L__ockl_fprintf_append_string_n.num_vgpr)
	.set .L__assert_fail.num_agpr, max(0, .L__ockl_fprintf_append_string_n.num_agpr)
	.set .L__assert_fail.numbered_sgpr, max(34, .L__ockl_fprintf_append_string_n.numbered_sgpr)
	.set .L__assert_fail.num_named_barrier, max(0, .L__ockl_fprintf_append_string_n.num_named_barrier)
	.set .L__assert_fail.private_seg_size, 64+max(.L__ockl_fprintf_append_string_n.private_seg_size)
	.set .L__assert_fail.uses_vcc, or(1, .L__ockl_fprintf_append_string_n.uses_vcc)
	.set .L__assert_fail.uses_flat_scratch, or(0, .L__ockl_fprintf_append_string_n.uses_flat_scratch)
	.set .L__assert_fail.has_dyn_sized_stack, or(0, .L__ockl_fprintf_append_string_n.has_dyn_sized_stack)
	.set .L__assert_fail.has_recursion, or(0, .L__ockl_fprintf_append_string_n.has_recursion)
	.set .L__assert_fail.has_indirect_call, or(0, .L__ockl_fprintf_append_string_n.has_indirect_call)
	.section	.AMDGPU.csdata,"",@progbits
; Function info:
; codeLenInByte = 13844
; TotalNumSgprs: 38
; NumVgprs: 41
; ScratchSize: 64
; MemoryBound: 0
	.text
	.p2align	2                               ; -- Begin function _ZN12_GLOBAL__N_17runRingI12hip_bfloat1610FuncMinMaxIS1_E11ProtoSimpleILi2ELi2ELi0ELi1ELi0ELi0EELi0ELi0ELi1ELi0EEEviiP15ncclDevWorkColl
	.type	_ZN12_GLOBAL__N_17runRingI12hip_bfloat1610FuncMinMaxIS1_E11ProtoSimpleILi2ELi2ELi0ELi1ELi0ELi0EELi0ELi0ELi1ELi0EEEviiP15ncclDevWorkColl,@function
_ZN12_GLOBAL__N_17runRingI12hip_bfloat1610FuncMinMaxIS1_E11ProtoSimpleILi2ELi2ELi0ELi1ELi0ELi0EELi0ELi0ELi1ELi0EEEviiP15ncclDevWorkColl: ; @_ZN12_GLOBAL__N_17runRingI12hip_bfloat1610FuncMinMaxIS1_E11ProtoSimpleILi2ELi2ELi0ELi1ELi0ELi0EELi0ELi0ELi1ELi0EEEviiP15ncclDevWorkColl
; %bb.0:
	s_waitcnt vmcnt(0) expcnt(0) lgkmcnt(0)
	s_mov_b32 s4, s33
	s_mov_b32 s33, s32
	s_or_saveexec_b64 s[6:7], -1
	buffer_store_dword v63, off, s[0:3], s33 offset:196 ; 4-byte Folded Spill
	s_mov_b64 exec, s[6:7]
	v_writelane_b32 v63, s4, 30
	s_addk_i32 s32, 0x3400
	buffer_store_dword v40, off, s[0:3], s33 offset:56 ; 4-byte Folded Spill
	buffer_store_dword v41, off, s[0:3], s33 offset:52 ; 4-byte Folded Spill
	;; [unrolled: 1-line block ×14, first 2 shown]
	buffer_store_dword v62, off, s[0:3], s33 ; 4-byte Folded Spill
	v_writelane_b32 v63, s34, 0
	v_writelane_b32 v63, s35, 1
	;; [unrolled: 1-line block ×30, first 2 shown]
	v_mov_b32_e32 v16, v1
	s_trap 2
	flat_load_dword v1, v[2:3]
	ds_read_b32 v4, v0
	v_mov_b32_e32 v61, v0
                                        ; implicit-def: $vgpr14_vgpr15
                                        ; implicit-def: $vgpr5_vgpr6
                                        ; kill: killed $vgpr5_vgpr6
                                        ; implicit-def: $vgpr34_vgpr35
	s_waitcnt lgkmcnt(0)
	v_readfirstlane_b32 s54, v4
	s_waitcnt vmcnt(0)
	v_cmp_ne_u32_sdwa s[4:5], v4, v1 src0_sel:DWORD src1_sel:BYTE_0
	s_and_saveexec_b64 s[6:7], s[4:5]
	s_xor_b64 s[4:5], exec, s[6:7]
	s_cbranch_execz .LBB2_6
; %bb.1:
	v_not_b32_sdwa v0, v1 dst_sel:DWORD dst_unused:UNUSED_PAD src0_sel:BYTE_0
	v_cmp_ne_u32_sdwa s[6:7], v4, v1 src0_sel:DWORD src1_sel:BYTE_1
                                        ; implicit-def: $vgpr14_vgpr15
                                        ; implicit-def: $vgpr5_vgpr6
                                        ; kill: killed $vgpr5_vgpr6
                                        ; implicit-def: $vgpr34_vgpr35
	s_and_saveexec_b64 s[10:11], s[6:7]
	s_xor_b64 s[6:7], exec, s[10:11]
	s_cbranch_execz .LBB2_3
; %bb.2:
	flat_load_dwordx4 v[5:8], v[2:3] offset:72
	flat_load_dwordx2 v[9:10], v[2:3] offset:96
	v_add_u32_e32 v0, v4, v0
	v_ashrrev_i32_e32 v1, 31, v0
	s_waitcnt vmcnt(0) lgkmcnt(0)
	v_mul_lo_u32 v1, v7, v1
	v_mad_u64_u32 v[4:5], s[10:11], v7, v0, v[5:6]
	v_mul_lo_u32 v0, v8, v0
	v_mov_b32_e32 v35, v8
	v_lshrrev_b64 v[14:15], 13, v[9:10]
	v_mov_b32_e32 v34, v7
	v_add3_u32 v5, v0, v5, v1
	buffer_store_dword v4, off, s[0:3], s33 offset:128 ; 4-byte Folded Spill
	s_nop 0
	buffer_store_dword v5, off, s[0:3], s33 offset:132 ; 4-byte Folded Spill
                                        ; implicit-def: $vgpr1
                                        ; implicit-def: $vgpr0
.LBB2_3:
	s_andn2_saveexec_b64 s[6:7], s[6:7]
	s_cbranch_execz .LBB2_5
; %bb.4:
	flat_load_dwordx4 v[4:7], v[2:3] offset:72
	flat_load_dwordx4 v[34:37], v[2:3] offset:88
	v_add_u32_sdwa v0, v1, v0 dst_sel:DWORD dst_unused:UNUSED_PAD src0_sel:BYTE_1 src1_sel:DWORD
	v_ashrrev_i32_e32 v1, 31, v0
	s_waitcnt vmcnt(0) lgkmcnt(0)
	v_mul_lo_u32 v1, v6, v1
	v_mad_u64_u32 v[4:5], s[10:11], v6, v0, v[4:5]
	v_mul_lo_u32 v0, v7, v0
	v_lshrrev_b32_e32 v14, 2, v37
	v_add3_u32 v5, v0, v5, v1
	buffer_store_dword v4, off, s[0:3], s33 offset:128 ; 4-byte Folded Spill
	s_nop 0
	buffer_store_dword v5, off, s[0:3], s33 offset:132 ; 4-byte Folded Spill
.LBB2_5:
	s_or_b64 exec, exec, s[6:7]
.LBB2_6:
	s_andn2_saveexec_b64 s[4:5], s[4:5]
	s_cbranch_execz .LBB2_8
; %bb.7:
	flat_load_dwordx2 v[0:1], v[2:3] offset:96
	flat_load_dwordx2 v[34:35], v[2:3] offset:72
	s_waitcnt vmcnt(0) lgkmcnt(0)
	v_lshlrev_b64 v[14:15], 8, v[0:1]
	v_mov_b32_e32 v0, 0
	v_mov_b32_e32 v1, 0
	buffer_store_dword v0, off, s[0:3], s33 offset:128 ; 4-byte Folded Spill
	s_nop 0
	buffer_store_dword v1, off, s[0:3], s33 offset:132 ; 4-byte Folded Spill
.LBB2_8:
	s_or_b64 exec, exec, s[4:5]
	s_trap 2
	ds_read_b64 v[4:5], v0
	s_waitcnt lgkmcnt(0)
	v_cmp_ne_u32_e32 vcc, -1, v4
	v_cndmask_b32_e64 v1, 0, 1, vcc
	v_cmp_ne_u32_e32 vcc, -1, v5
	v_addc_co_u32_e64 v0, s[4:5], 0, v1, vcc
	v_lshlrev_b32_e32 v4, 1, v0
	v_cmp_le_u32_e64 s[4:5], v4, v16
	s_and_saveexec_b64 s[6:7], s[4:5]
	s_xor_b64 s[46:47], exec, s[6:7]
	s_cbranch_execz .LBB2_1496
; %bb.9:
	flat_load_dwordx4 v[10:13], v[2:3] offset:16
	flat_load_dwordx2 v[18:19], v[2:3] offset:104
	flat_load_ushort v7, v[2:3] offset:8
	flat_load_dword v6, v[2:3] offset:4
	s_trap 2
	s_load_dword s4, s[8:9], 0x0
	v_mov_b32_e32 v4, 0
	v_mov_b32_e32 v62, 4
	s_waitcnt lgkmcnt(0)
	s_cmp_lt_u32 s12, s4
	s_cselect_b32 s4, 12, 18
	s_add_u32 s4, s8, s4
	s_addc_u32 s5, s9, 0
	global_load_ushort v15, v4, s[4:5]
	ds_read_b32 v4, v0
	v_cmp_ge_u32_e64 s[4:5], v61, v1
	s_waitcnt lgkmcnt(0)
	v_readfirstlane_b32 s24, v4
	s_and_saveexec_b64 s[6:7], s[4:5]
	s_cbranch_execz .LBB2_19
; %bb.10:
	v_cmp_ge_u32_e64 s[4:5], v61, v0
                                        ; implicit-def: $vgpr62
	s_and_saveexec_b64 s[10:11], s[4:5]
	s_xor_b64 s[4:5], exec, s[10:11]
	s_cbranch_execz .LBB2_16
; %bb.11:
	v_cndmask_b32_e64 v4, 0, 1, vcc
	v_sub_u32_e32 v4, v16, v4
	v_cmp_ge_u32_e32 vcc, v61, v4
	s_and_saveexec_b64 s[10:11], vcc
	s_xor_b64 s[10:11], exec, s[10:11]
; %bb.12:
                                        ; implicit-def: $vgpr0
; %bb.13:
	s_or_saveexec_b64 s[10:11], s[10:11]
	v_mov_b32_e32 v62, 16
	s_xor_b64 exec, exec, s[10:11]
; %bb.14:
	v_sub_u32_e32 v0, v16, v0
	v_cmp_lt_i32_e32 vcc, v61, v0
	v_cndmask_b32_e64 v62, 32, 0, vcc
; %bb.15:
	s_or_b64 exec, exec, s[10:11]
.LBB2_16:
	s_andn2_saveexec_b64 s[4:5], s[4:5]
; %bb.17:
	v_mov_b32_e32 v62, 8
; %bb.18:
	s_or_b64 exec, exec, s[4:5]
.LBB2_19:
	s_or_b64 exec, exec, s[6:7]
	v_and_b32_e32 v0, 36, v62
	v_cmp_ne_u32_e32 vcc, 0, v0
	v_mov_b32_e32 v8, -1
	s_and_saveexec_b64 s[4:5], vcc
	s_cbranch_execz .LBB2_21
; %bb.20:
	s_trap 2
	ds_read_b32 v8, v0
.LBB2_21:
	s_or_b64 exec, exec, s[4:5]
	v_and_b32_e32 v0, 24, v62
	v_cmp_ne_u32_e64 s[4:5], 0, v0
	s_and_saveexec_b64 s[6:7], s[4:5]
	s_cbranch_execz .LBB2_23
; %bb.22:
	s_trap 2
	s_waitcnt lgkmcnt(0)
	ds_read_b32 v8, v0
.LBB2_23:
	s_or_b64 exec, exec, s[6:7]
	s_waitcnt vmcnt(0)
	v_lshrrev_b64 v[4:5], 31, v[6:7]
	v_mov_b32_e32 v20, 0
	v_mov_b32_e32 v6, 0
	;; [unrolled: 1-line block ×3, first 2 shown]
	v_and_b32_e32 v0, 3, v4
	v_mov_b32_e32 v7, 0
	s_waitcnt lgkmcnt(0)
	v_ashrrev_i32_e32 v9, 31, v8
                                        ; implicit-def: $vgpr4_vgpr5
                                        ; kill: killed $vgpr4_vgpr5
                                        ; implicit-def: $vgpr30
                                        ; implicit-def: $vgpr50_vgpr51
                                        ; implicit-def: $vgpr24_vgpr25
                                        ; implicit-def: $vgpr32_vgpr33
                                        ; implicit-def: $vgpr22_vgpr23
	s_and_saveexec_b64 s[4:5], vcc
	s_cbranch_execz .LBB2_33
; %bb.24:
	s_trap 2
	ds_read_b64 v[4:5], v0
	v_lshlrev_b64 v[6:7], 3, v[8:9]
	s_movk_i32 s6, 0xa8
	s_waitcnt lgkmcnt(0)
	v_add_co_u32_e32 v4, vcc, v4, v6
	v_addc_co_u32_e32 v5, vcc, v5, v7, vcc
	flat_load_dwordx2 v[4:5], v[4:5]
	v_and_b32_e32 v6, 0xffff, v0
	s_waitcnt vmcnt(0) lgkmcnt(0)
	v_mad_u64_u32 v[26:27], s[6:7], v6, s6, v[4:5]
	flat_load_dword v4, v[26:27] offset:640
	s_waitcnt vmcnt(0) lgkmcnt(0)
	v_cmp_eq_u32_e32 vcc, 1, v4
                                        ; implicit-def: $vgpr4_vgpr5
                                        ; kill: killed $vgpr4_vgpr5
	s_and_saveexec_b64 s[6:7], vcc
	s_cbranch_execz .LBB2_26
; %bb.25:
	flat_load_dwordx2 v[6:7], v[26:27] offset:648
	v_or_b32_e32 v62, 0x2000, v62
	s_waitcnt vmcnt(0) lgkmcnt(0)
	flat_load_dwordx2 v[4:5], v[6:7]
	s_trap 2
	s_waitcnt vmcnt(0) lgkmcnt(0)
	ds_write_b64 v0, v[4:5]
	flat_load_dwordx2 v[4:5], v[6:7] offset:8
	s_waitcnt vmcnt(0) lgkmcnt(0)
	ds_write_b64 v0, v[4:5]
	buffer_store_dword v6, off, s[0:3], s33 offset:188 ; 4-byte Folded Spill
	s_nop 0
	buffer_store_dword v7, off, s[0:3], s33 offset:192 ; 4-byte Folded Spill
	flat_load_dwordx2 v[4:5], v[6:7] offset:16
	s_waitcnt vmcnt(0) lgkmcnt(0)
	ds_write_b64 v0, v[4:5]
.LBB2_26:
	s_or_b64 exec, exec, s[6:7]
	flat_load_dwordx2 v[4:5], v[26:27] offset:608
	v_and_b32_e32 v6, 32, v62
                                        ; implicit-def: $vgpr22_vgpr23
	s_waitcnt vmcnt(0) lgkmcnt(0)
	v_add_co_u32_e32 v4, vcc, 3, v4
	v_addc_co_u32_e32 v51, vcc, 0, v5, vcc
	v_and_b32_e32 v50, -4, v4
	v_cmp_ne_u32_e32 vcc, 0, v6
	s_and_saveexec_b64 s[6:7], vcc
	s_cbranch_execz .LBB2_28
; %bb.27:
	flat_load_dwordx2 v[22:23], v[26:27] offset:560
	s_waitcnt vmcnt(0) lgkmcnt(0)
	flat_store_dwordx2 v[22:23], v[50:51]
.LBB2_28:
	s_or_b64 exec, exec, s[6:7]
	v_add_co_u32_e32 v20, vcc, 0x1f8, v26
	v_addc_co_u32_e32 v21, vcc, 0, v27, vcc
	v_and_b32_e32 v4, 4, v62
	v_mov_b32_e32 v6, 0
	v_mov_b32_e32 v7, 0
	v_cmp_ne_u32_e32 vcc, 0, v4
                                        ; implicit-def: $vgpr30
                                        ; implicit-def: $vgpr24_vgpr25
                                        ; implicit-def: $vgpr32_vgpr33
	s_and_saveexec_b64 s[6:7], vcc
	s_cbranch_execz .LBB2_32
; %bb.29:
	v_and_b32_e32 v4, 0x800, v62
	v_cmp_eq_u32_e32 vcc, 0, v4
	s_and_saveexec_b64 s[10:11], vcc
	s_cbranch_execz .LBB2_31
; %bb.30:
	s_trap 2
	ds_write_b64 v0, v[20:21]
.LBB2_31:
	s_or_b64 exec, exec, s[10:11]
	flat_load_dwordx2 v[22:23], v[26:27] offset:552
	v_or_b32_e32 v5, 0x100, v62
	s_waitcnt vmcnt(0) lgkmcnt(0)
	flat_load_dwordx2 v[32:33], v[22:23] glc
	flat_load_dword v4, v[26:27] offset:576
	flat_load_dwordx2 v[6:7], v[26:27] offset:600
	flat_load_dwordx2 v[24:25], v[26:27] offset:520
	s_waitcnt vmcnt(0) lgkmcnt(0)
	v_ashrrev_i32_e32 v30, 1, v4
	v_cmp_eq_u64_e32 vcc, 0, v[6:7]
	v_cndmask_b32_e32 v62, v5, v62, vcc
.LBB2_32:
	s_or_b64 exec, exec, s[6:7]
.LBB2_33:
	s_or_b64 exec, exec, s[4:5]
	v_and_b32_e32 v4, 24, v62
	v_cmp_ne_u32_e32 vcc, 0, v4
                                        ; implicit-def: $vgpr26_vgpr27
	s_and_saveexec_b64 s[4:5], vcc
	s_cbranch_execz .LBB2_41
; %bb.34:
	s_trap 2
	ds_read_b64 v[4:5], v0
	v_lshlrev_b64 v[6:7], 3, v[8:9]
	v_and_b32_e32 v0, 0xffff, v0
	s_movk_i32 s6, 0xa8
                                        ; implicit-def: $vgpr26_vgpr27
	s_waitcnt lgkmcnt(0)
	v_add_co_u32_e32 v4, vcc, v4, v6
	v_addc_co_u32_e32 v5, vcc, v5, v7, vcc
	flat_load_dwordx2 v[4:5], v[4:5]
	s_waitcnt vmcnt(0) lgkmcnt(0)
	v_mad_u64_u32 v[20:21], s[6:7], v0, s6, v[4:5]
	v_or_b32_e32 v0, 0x100, v62
	flat_load_dwordx4 v[6:9], v[20:21] offset:96
	s_waitcnt vmcnt(0) lgkmcnt(0)
	v_cmp_eq_u64_e32 vcc, 0, v[6:7]
	v_cndmask_b32_e32 v62, v0, v62, vcc
	v_and_b32_e32 v0, 16, v62
	v_cmp_ne_u32_e32 vcc, 0, v0
	s_and_saveexec_b64 s[6:7], vcc
	s_cbranch_execz .LBB2_36
; %bb.35:
	flat_load_dwordx2 v[22:23], v[20:21] offset:48
	flat_load_dwordx2 v[26:27], v[20:21] offset:120
	;; [unrolled: 1-line block ×3, first 2 shown]
.LBB2_36:
	s_or_b64 exec, exec, s[6:7]
	v_add_co_u32_e32 v0, vcc, 3, v8
	v_addc_co_u32_e32 v51, vcc, 0, v9, vcc
	v_and_b32_e32 v50, -4, v0
	v_and_b32_e32 v0, 8, v62
	v_cmp_ne_u32_e32 vcc, 0, v0
	s_and_saveexec_b64 s[6:7], vcc
	s_cbranch_execz .LBB2_40
; %bb.37:
	v_and_b32_e32 v0, 0x800, v62
	v_cmp_eq_u32_e32 vcc, 0, v0
	s_and_saveexec_b64 s[10:11], vcc
	s_cbranch_execz .LBB2_39
; %bb.38:
	s_trap 2
	ds_write_b64 v0, v[20:21]
.LBB2_39:
	s_or_b64 exec, exec, s[10:11]
	s_waitcnt vmcnt(0) lgkmcnt(0)
	flat_load_dwordx2 v[22:23], v[20:21] offset:56
	s_waitcnt vmcnt(0) lgkmcnt(0)
	flat_load_dwordx2 v[32:33], v[22:23] glc
	flat_load_dword v0, v[20:21] offset:72
	flat_load_dwordx2 v[24:25], v[20:21] offset:16
	s_waitcnt vmcnt(0) lgkmcnt(0)
	v_ashrrev_i32_e32 v30, 1, v0
.LBB2_40:
	s_or_b64 exec, exec, s[6:7]
.LBB2_41:
	s_or_b64 exec, exec, s[4:5]
	v_cmp_eq_u32_e64 s[4:5], 0, v61
	s_and_saveexec_b64 s[6:7], s[4:5]
	s_cbranch_execz .LBB2_43
; %bb.42:
	flat_load_dwordx2 v[4:5], v[2:3] offset:32
	v_mov_b32_e32 v8, v12
	v_mov_b32_e32 v9, v13
	ds_write2_b64 v0, v[8:9], v[10:11] offset1:1
	s_trap 2
	s_waitcnt vmcnt(0) lgkmcnt(0)
	ds_write_b64 v0, v[4:5]
	ds_write_b64 v0, v[18:19]
.LBB2_43:
	s_or_b64 exec, exec, s[6:7]
	v_mov_b32_e32 v28, 0
	v_cmp_lt_i64_e32 vcc, 0, v[34:35]
	v_mov_b32_e32 v29, 0
	s_and_saveexec_b64 s[56:57], vcc
	s_cbranch_execz .LBB2_1462
; %bb.44:
	buffer_store_dword v20, off, s[0:3], s33 offset:180 ; 4-byte Folded Spill
	s_nop 0
	buffer_store_dword v21, off, s[0:3], s33 offset:184 ; 4-byte Folded Spill
	flat_load_dword v0, v[2:3] offset:4
	v_mov_b32_e32 v2, 0
	v_and_b32_e32 v10, 0x1fffff00, v14
	v_lshlrev_b32_e32 v8, 4, v61
	v_mov_b32_e32 v11, v2
	buffer_store_dword v31, off, s[0:3], s33 offset:172 ; 4-byte Folded Spill
	s_trap 2
	buffer_store_dword v15, off, s[0:3], s33 offset:176 ; 4-byte Folded Spill
	buffer_store_dword v16, off, s[0:3], s33 offset:168 ; 4-byte Folded Spill
	;; [unrolled: 1-line block ×4, first 2 shown]
	s_nop 0
	buffer_store_dword v11, off, s[0:3], s33 offset:96 ; 4-byte Folded Spill
	s_ashr_i32 s18, s24, 31
	v_lshrrev_b32_e32 v21, 6, v16
	v_mov_b32_e32 v8, v34
	v_and_b32_e32 v5, 63, v61
	v_mov_b32_e32 v9, v35
	s_lshr_b32 s27, s18, 29
	v_lshlrev_b32_e32 v35, 10, v21
	s_movk_i32 s25, 0x400
	v_cmp_lt_u32_e64 s[20:21], v5, v1
	v_cmp_le_u32_e64 s[22:23], v5, v1
	s_add_i32 s27, s24, s27
	v_add_u32_e32 v1, 0xfffffc00, v35
	s_ashr_i32 s55, s54, 31
	s_ashr_i32 s28, s27, 4
	v_ashrrev_i32_e32 v36, 31, v1
	v_add_co_u32_e64 v39, s[24:25], s25, v1
	s_add_u32 s68, s54, -1
	v_addc_co_u32_e64 v20, s[24:25], 0, v36, s[24:25]
	s_addc_u32 s69, s55, -1
	s_add_i32 s70, s54, s54
	s_not_b32 s24, s54
	s_cmp_gt_i32 s54, 0
	s_cselect_b32 s24, s24, -1
	s_ashr_i32 s25, s27, 31
	s_add_i32 s71, s24, s70
	s_lshr_b32 s24, s25, 28
	s_add_i32 s28, s28, s24
	s_ashr_i32 s80, s71, 31
	s_ashr_i32 s81, s28, 4
	v_and_b32_e32 v3, 63, v31
	s_cmp_gt_i32 s54, 2
	v_lshrrev_b32_e32 v59, 6, v61
	v_lshlrev_b32_e32 v4, 1, v16
	s_cselect_b64 s[72:73], -1, 0
	s_add_i32 s27, s54, 1
	v_and_b32_e32 v31, 0x7f80, v4
	v_mov_b32_e32 v4, v2
	v_cmp_ge_u32_e32 vcc, v61, v16
	s_movk_i32 s26, 0x80
	v_cmp_eq_u32_e64 s[18:19], 0, v5
	buffer_store_dword v5, off, s[0:3], s33 offset:72 ; 4-byte Folded Spill
	s_waitcnt vmcnt(0) lgkmcnt(0)
	v_cmp_eq_u64_e64 s[12:13], 0, v[26:27]
	v_cmp_ne_u64_e64 s[14:15], 0, v[26:27]
	v_mov_b32_e32 v48, 0
	v_mov_b32_e32 v28, 0
	s_mov_b32 s59, 0
	v_ashrrev_i32_e32 v60, 31, v30
	v_cmp_eq_u32_e64 s[6:7], 64, v16
	v_cmp_ne_u32_e64 s[10:11], 64, v16
	v_cmp_ne_u32_sdwa s[60:61], v16, v15 src0_sel:DWORD src1_sel:WORD_0
	s_mov_b64 s[62:63], 0
	v_mov_b32_e32 v37, 1
	s_movk_i32 s64, 0x108
	s_mov_b32 s65, 0x7f800000
	s_movk_i32 s66, 0x7fff
	s_mov_b32 s67, 0xffff0000
	v_mov_b32_e32 v58, 0xc8
	v_mov_b32_e32 v49, 0
	;; [unrolled: 1-line block ×3, first 2 shown]
	v_lshlrev_b32_e32 v16, 9, v21
	v_and_b32_e32 v0, 1, v0
	v_cmp_eq_u32_e64 s[24:25], 1, v0
	s_xor_b64 s[74:75], s[24:25], -1
	s_cmp_ge_i32 s27, s54
	s_cselect_b32 s28, s54, 0
	s_xor_b64 s[76:77], vcc, -1
	s_sub_i32 s83, s27, s28
	s_add_i32 s82, s54, -2
	s_ashr_i32 s78, s55, 31
	v_mad_i64_i32 v[12:13], s[16:17], v10, s54, 0
	v_cmp_eq_u32_e64 s[16:17], 0, v3
	v_lshlrev_b32_e32 v3, 4, v5
	v_lshl_or_b32 v3, v59, 11, v3
	v_add_u32_e32 v5, 0xffffff80, v31
	buffer_store_dword v3, off, s[0:3], s33 offset:108 ; 4-byte Folded Spill
	s_nop 0
	buffer_store_dword v4, off, s[0:3], s33 offset:112 ; 4-byte Folded Spill
	v_ashrrev_i32_e32 v4, 31, v5
	v_add_co_u32_e32 v5, vcc, s26, v5
	s_ashr_i32 s84, s83, 31
	v_addc_co_u32_e32 v38, vcc, 0, v4, vcc
	buffer_store_dword v61, off, s[0:3], s33 offset:88 ; 4-byte Folded Spill
	buffer_store_dword v59, off, s[0:3], s33 offset:76 ; 4-byte Folded Spill
	;; [unrolled: 1-line block ×3, first 2 shown]
	s_nop 0
	buffer_store_dword v13, off, s[0:3], s33 offset:156 ; 4-byte Folded Spill
	buffer_store_dword v8, off, s[0:3], s33 offset:136 ; 4-byte Folded Spill
	s_nop 0
	buffer_store_dword v9, off, s[0:3], s33 offset:140 ; 4-byte Folded Spill
	buffer_store_dword v10, off, s[0:3], s33 offset:144 ; 4-byte Folded Spill
	;; [unrolled: 1-line block ×3, first 2 shown]
	s_branch .LBB2_47
.LBB2_45:                               ;   in Loop: Header=BB2_47 Depth=1
	s_or_b64 exec, exec, s[40:41]
.LBB2_46:                               ;   in Loop: Header=BB2_47 Depth=1
	s_or_b64 exec, exec, s[28:29]
	buffer_load_dword v48, off, s[0:3], s33 offset:116 ; 4-byte Folded Reload
	buffer_load_dword v49, off, s[0:3], s33 offset:120 ; 4-byte Folded Reload
	;; [unrolled: 1-line block ×8, first 2 shown]
	s_waitcnt vmcnt(0)
	v_add_co_u32_e32 v48, vcc, v48, v12
	v_addc_co_u32_e32 v49, vcc, v49, v13, vcc
	v_cmp_ge_i64_e32 vcc, v[48:49], v[8:9]
	s_or_b64 s[62:63], vcc, s[62:63]
	s_andn2_b64 exec, exec, s[62:63]
	s_cbranch_execz .LBB2_1461
.LBB2_47:                               ; =>This Loop Header: Depth=1
                                        ;     Child Loop BB2_57 Depth 2
                                        ;       Child Loop BB2_65 Depth 3
                                        ;       Child Loop BB2_89 Depth 3
	;; [unrolled: 1-line block ×9, first 2 shown]
                                        ;     Child Loop BB2_197 Depth 2
                                        ;       Child Loop BB2_203 Depth 3
                                        ;       Child Loop BB2_227 Depth 3
	;; [unrolled: 1-line block ×3, first 2 shown]
                                        ;     Child Loop BB2_269 Depth 2
                                        ;       Child Loop BB2_272 Depth 3
                                        ;         Child Loop BB2_280 Depth 4
                                        ;         Child Loop BB2_308 Depth 4
	;; [unrolled: 1-line block ×9, first 2 shown]
                                        ;       Child Loop BB2_500 Depth 3
                                        ;         Child Loop BB2_506 Depth 4
                                        ;         Child Loop BB2_534 Depth 4
	;; [unrolled: 1-line block ×3, first 2 shown]
                                        ;     Child Loop BB2_575 Depth 2
                                        ;       Child Loop BB2_583 Depth 3
                                        ;       Child Loop BB2_611 Depth 3
	;; [unrolled: 1-line block ×4, first 2 shown]
                                        ;         Child Loop BB2_686 Depth 4
                                        ;       Child Loop BB2_692 Depth 3
                                        ;         Child Loop BB2_725 Depth 4
                                        ;       Child Loop BB2_733 Depth 3
                                        ;       Child Loop BB2_753 Depth 3
                                        ;         Child Loop BB2_758 Depth 4
                                        ;       Child Loop BB2_771 Depth 3
                                        ;       Child Loop BB2_808 Depth 3
	;; [unrolled: 1-line block ×6, first 2 shown]
                                        ;     Child Loop BB2_921 Depth 2
                                        ;       Child Loop BB2_927 Depth 3
                                        ;       Child Loop BB2_955 Depth 3
	;; [unrolled: 1-line block ×3, first 2 shown]
                                        ;     Child Loop BB2_997 Depth 2
                                        ;       Child Loop BB2_1000 Depth 3
                                        ;         Child Loop BB2_1008 Depth 4
                                        ;         Child Loop BB2_1036 Depth 4
	;; [unrolled: 1-line block ×4, first 2 shown]
                                        ;           Child Loop BB2_1079 Depth 5
                                        ;         Child Loop BB2_1085 Depth 4
                                        ;           Child Loop BB2_1086 Depth 5
                                        ;         Child Loop BB2_1093 Depth 4
                                        ;         Child Loop BB2_1098 Depth 4
                                        ;           Child Loop BB2_1099 Depth 5
                                        ;         Child Loop BB2_1111 Depth 4
                                        ;         Child Loop BB2_1116 Depth 4
	;; [unrolled: 1-line block ×6, first 2 shown]
                                        ;       Child Loop BB2_1178 Depth 3
                                        ;         Child Loop BB2_1184 Depth 4
                                        ;         Child Loop BB2_1212 Depth 4
	;; [unrolled: 1-line block ×3, first 2 shown]
                                        ;     Child Loop BB2_1257 Depth 2
                                        ;       Child Loop BB2_1265 Depth 3
                                        ;       Child Loop BB2_1289 Depth 3
	;; [unrolled: 1-line block ×9, first 2 shown]
                                        ;     Child Loop BB2_1395 Depth 2
                                        ;       Child Loop BB2_1401 Depth 3
                                        ;       Child Loop BB2_1425 Depth 3
	;; [unrolled: 1-line block ×3, first 2 shown]
	v_sub_co_u32_e32 v14, vcc, v8, v48
	v_subb_co_u32_e32 v15, vcc, v9, v49, vcc
	buffer_store_dword v14, off, s[0:3], s33 offset:80 ; 4-byte Folded Spill
	s_nop 0
	buffer_store_dword v15, off, s[0:3], s33 offset:84 ; 4-byte Folded Spill
	v_cmp_lt_i64_e32 vcc, v[14:15], v[12:13]
	s_and_saveexec_b64 s[28:29], vcc
	s_cbranch_execz .LBB2_53
; %bb.48:                               ;   in Loop: Header=BB2_47 Depth=1
	buffer_load_dword v8, off, s[0:3], s33 offset:80 ; 4-byte Folded Reload
	buffer_load_dword v9, off, s[0:3], s33 offset:84 ; 4-byte Folded Reload
	v_mov_b32_e32 v3, s69
	s_waitcnt vmcnt(0)
	v_add_co_u32_e32 v0, vcc, s68, v8
	s_waitcnt vmcnt(0)
	v_addc_co_u32_e32 v10, vcc, v3, v9, vcc
	v_or_b32_e32 v3, s55, v10
	v_cmp_ne_u64_e32 vcc, 0, v[2:3]
                                        ; implicit-def: $vgpr8_vgpr9
	s_and_saveexec_b64 s[26:27], vcc
	s_xor_b64 s[40:41], exec, s[26:27]
	s_cbranch_execz .LBB2_50
; %bb.49:                               ;   in Loop: Header=BB2_47 Depth=1
	s_add_u32 s26, s54, s78
	s_mov_b32 s79, s78
	s_addc_u32 s27, s55, s78
	s_xor_b64 s[42:43], s[26:27], s[78:79]
	v_cvt_f32_u32_e32 v3, s42
	v_cvt_f32_u32_e32 v8, s43
	s_sub_u32 s44, 0, s42
	s_subb_u32 s45, 0, s43
	v_mac_f32_e32 v3, 0x4f800000, v8
	v_rcp_f32_e32 v3, v3
	v_mul_f32_e32 v3, 0x5f7ffffc, v3
	v_mul_f32_e32 v8, 0x2f800000, v3
	v_trunc_f32_e32 v8, v8
	v_mac_f32_e32 v3, 0xcf800000, v8
	v_cvt_u32_f32_e32 v8, v8
	v_cvt_u32_f32_e32 v3, v3
	v_readfirstlane_b32 s58, v8
	v_readfirstlane_b32 s26, v3
	s_mul_i32 s27, s44, s58
	s_mul_hi_u32 s88, s44, s26
	s_mul_i32 s79, s45, s26
	s_add_i32 s27, s88, s27
	s_add_i32 s27, s27, s79
	s_mul_i32 s89, s44, s26
	s_mul_i32 s88, s26, s27
	s_mul_hi_u32 s90, s26, s89
	s_mul_hi_u32 s79, s26, s27
	s_add_u32 s88, s90, s88
	s_addc_u32 s79, 0, s79
	s_mul_hi_u32 s91, s58, s89
	s_mul_i32 s89, s58, s89
	s_add_u32 s88, s88, s89
	s_mul_hi_u32 s90, s58, s27
	s_addc_u32 s79, s79, s91
	s_addc_u32 s88, s90, 0
	s_mul_i32 s27, s58, s27
	s_add_u32 s27, s79, s27
	s_addc_u32 s79, 0, s88
	s_add_u32 s88, s26, s27
	s_cselect_b64 s[26:27], -1, 0
	s_cmp_lg_u64 s[26:27], 0
	s_addc_u32 s58, s58, s79
	s_mul_i32 s26, s44, s58
	s_mul_hi_u32 s27, s44, s88
	s_add_i32 s26, s27, s26
	s_mul_i32 s45, s45, s88
	s_add_i32 s26, s26, s45
	s_mul_i32 s44, s44, s88
	s_mul_hi_u32 s45, s58, s44
	s_mul_i32 s79, s58, s44
	s_mul_i32 s90, s88, s26
	s_mul_hi_u32 s44, s88, s44
	s_mul_hi_u32 s89, s88, s26
	s_add_u32 s44, s44, s90
	s_addc_u32 s89, 0, s89
	s_add_u32 s44, s44, s79
	s_mul_hi_u32 s27, s58, s26
	s_addc_u32 s44, s89, s45
	s_addc_u32 s27, s27, 0
	s_mul_i32 s26, s58, s26
	s_add_u32 s26, s44, s26
	s_addc_u32 s44, 0, s27
	s_add_u32 s45, s88, s26
	s_cselect_b64 s[26:27], -1, 0
	v_ashrrev_i32_e32 v3, 31, v10
	s_cmp_lg_u64 s[26:27], 0
	v_add_co_u32_e32 v0, vcc, v0, v3
	s_addc_u32 s44, s58, s44
	v_xor_b32_e32 v0, v0, v3
	v_mad_u64_u32 v[8:9], s[26:27], v0, s44, 0
	v_mul_hi_u32 v11, v0, s45
	v_addc_co_u32_e32 v10, vcc, v10, v3, vcc
	v_xor_b32_e32 v12, v10, v3
	v_add_co_u32_e32 v13, vcc, v11, v8
	v_addc_co_u32_e32 v14, vcc, 0, v9, vcc
	v_mad_u64_u32 v[8:9], s[26:27], v12, s45, 0
	v_mad_u64_u32 v[10:11], s[26:27], v12, s44, 0
	v_add_co_u32_e32 v8, vcc, v13, v8
	v_addc_co_u32_e32 v8, vcc, v14, v9, vcc
	v_addc_co_u32_e32 v9, vcc, 0, v11, vcc
	v_add_co_u32_e32 v10, vcc, v8, v10
	v_addc_co_u32_e32 v11, vcc, 0, v9, vcc
	v_mul_lo_u32 v13, s43, v10
	v_mul_lo_u32 v14, s42, v11
	v_mad_u64_u32 v[8:9], s[26:27], s42, v10, 0
	v_xor_b32_e32 v3, s78, v3
	v_add3_u32 v9, v9, v14, v13
	v_sub_u32_e32 v13, v12, v9
	v_mov_b32_e32 v14, s43
	v_sub_co_u32_e32 v0, vcc, v0, v8
	v_subb_co_u32_e64 v8, s[26:27], v13, v14, vcc
	v_subrev_co_u32_e64 v13, s[26:27], s42, v0
	v_subbrev_co_u32_e64 v8, s[26:27], 0, v8, s[26:27]
	v_cmp_le_u32_e64 s[26:27], s43, v8
	v_cndmask_b32_e64 v14, 0, -1, s[26:27]
	v_cmp_le_u32_e64 s[26:27], s42, v13
	v_cndmask_b32_e64 v13, 0, -1, s[26:27]
	v_cmp_eq_u32_e64 s[26:27], s43, v8
	v_cndmask_b32_e64 v8, v14, v13, s[26:27]
	v_add_co_u32_e64 v13, s[26:27], 2, v10
	v_subb_co_u32_e32 v9, vcc, v12, v9, vcc
	v_addc_co_u32_e64 v14, s[26:27], 0, v11, s[26:27]
	v_cmp_le_u32_e32 vcc, s43, v9
	v_add_co_u32_e64 v15, s[26:27], 1, v10
	v_cndmask_b32_e64 v12, 0, -1, vcc
	v_cmp_le_u32_e32 vcc, s42, v0
	v_addc_co_u32_e64 v18, s[26:27], 0, v11, s[26:27]
	v_cndmask_b32_e64 v0, 0, -1, vcc
	v_cmp_eq_u32_e32 vcc, s43, v9
	v_cmp_ne_u32_e64 s[26:27], 0, v8
	v_cndmask_b32_e32 v0, v12, v0, vcc
	v_cndmask_b32_e64 v8, v18, v14, s[26:27]
	v_cmp_ne_u32_e32 vcc, 0, v0
	v_cndmask_b32_e32 v0, v11, v8, vcc
	v_cndmask_b32_e64 v8, v15, v13, s[26:27]
	v_cndmask_b32_e32 v8, v10, v8, vcc
	v_xor_b32_e32 v8, v8, v3
	v_xor_b32_e32 v0, v0, v3
	v_sub_co_u32_e32 v8, vcc, v8, v3
	v_subb_co_u32_e32 v9, vcc, v0, v3, vcc
                                        ; implicit-def: $vgpr0
.LBB2_50:                               ;   in Loop: Header=BB2_47 Depth=1
	s_andn2_saveexec_b64 s[26:27], s[40:41]
	s_cbranch_execz .LBB2_52
; %bb.51:                               ;   in Loop: Header=BB2_47 Depth=1
	v_cvt_f32_u32_e32 v3, s54
	s_sub_i32 s40, 0, s54
	v_rcp_iflag_f32_e32 v3, v3
	v_mul_f32_e32 v3, 0x4f7ffffe, v3
	v_cvt_u32_f32_e32 v3, v3
	v_mul_lo_u32 v8, s40, v3
	v_mul_hi_u32 v8, v3, v8
	v_add_u32_e32 v3, v3, v8
	v_mul_hi_u32 v3, v0, v3
	v_mul_lo_u32 v8, v3, s54
	v_add_u32_e32 v9, 1, v3
	v_sub_u32_e32 v0, v0, v8
	v_subrev_u32_e32 v8, s54, v0
	v_cmp_le_u32_e32 vcc, s54, v0
	v_cndmask_b32_e32 v0, v0, v8, vcc
	v_cndmask_b32_e32 v3, v3, v9, vcc
	v_add_u32_e32 v8, 1, v3
	v_cmp_le_u32_e32 vcc, s54, v0
	v_cndmask_b32_e32 v8, v3, v8, vcc
	v_mov_b32_e32 v9, v2
.LBB2_52:                               ;   in Loop: Header=BB2_47 Depth=1
	s_or_b64 exec, exec, s[26:27]
	v_add_co_u32_e32 v0, vcc, 7, v8
	v_addc_co_u32_e32 v9, vcc, 0, v9, vcc
	v_and_b32_e32 v8, -8, v0
	buffer_store_dword v8, off, s[0:3], s33 offset:92 ; 4-byte Folded Spill
	s_nop 0
	buffer_store_dword v9, off, s[0:3], s33 offset:96 ; 4-byte Folded Spill
.LBB2_53:                               ;   in Loop: Header=BB2_47 Depth=1
	s_or_b64 exec, exec, s[28:29]
	buffer_load_dword v13, off, s[0:3], s33 offset:92 ; 4-byte Folded Reload
	buffer_load_dword v14, off, s[0:3], s33 offset:96 ; 4-byte Folded Reload
	;; [unrolled: 1-line block ×4, first 2 shown]
	v_mov_b32_e32 v10, 0
	s_waitcnt vmcnt(0)
	v_mul_lo_u32 v3, v13, s80
	s_waitcnt vmcnt(1)
	v_add_co_u32_e32 v8, vcc, v48, v8
	s_waitcnt vmcnt(0)
	v_addc_co_u32_e32 v9, vcc, v49, v9, vcc
	buffer_store_dword v8, off, s[0:3], s33 offset:60 ; 4-byte Folded Spill
	s_nop 0
	buffer_store_dword v9, off, s[0:3], s33 offset:64 ; 4-byte Folded Spill
	buffer_load_dword v8, off, s[0:3], s33 offset:80 ; 4-byte Folded Reload
	s_nop 0
	buffer_load_dword v9, off, s[0:3], s33 offset:84 ; 4-byte Folded Reload
	v_mul_lo_u32 v0, v14, s71
	v_mad_u64_u32 v[11:12], s[26:27], v13, s71, 0
	v_add3_u32 v12, v12, v3, v0
	v_mov_b32_e32 v0, 0
	s_waitcnt vmcnt(0)
	v_sub_co_u32_e32 v8, vcc, v8, v11
	s_waitcnt vmcnt(0)
	v_subb_co_u32_e32 v9, vcc, v9, v12, vcc
	v_cmp_lt_i64_e32 vcc, v[13:14], v[8:9]
	v_cndmask_b32_e32 v3, v8, v13, vcc
	v_max_i32_e32 v52, 0, v3
	v_add_u32_e32 v8, 31, v52
	v_lshrrev_b32_e32 v8, 1, v8
	v_and_b32_e32 v8, 0x3ffffff0, v8
	v_max_i32_e32 v8, s81, v8
	v_cmp_lt_i32_e32 vcc, 0, v3
	s_and_b64 s[26:27], s[76:77], vcc
	s_mov_b64 s[28:29], exec
	s_and_b64 s[26:27], s[28:29], s[26:27]
	buffer_store_dword v48, off, s[0:3], s33 offset:116 ; 4-byte Folded Spill
	s_nop 0
	buffer_store_dword v49, off, s[0:3], s33 offset:120 ; 4-byte Folded Spill
	s_mov_b64 exec, s[26:27]
	s_cbranch_execz .LBB2_193
; %bb.54:                               ;   in Loop: Header=BB2_47 Depth=1
	v_lshlrev_b64 v[12:13], 1, v[11:12]
	s_mov_b32 s58, 1
	s_mov_b64 s[42:43], -1
	v_mov_b32_e32 v10, 0
	s_mov_b64 s[40:41], 0
	v_lshlrev_b32_e32 v11, 11, v21
	s_branch .LBB2_57
.LBB2_55:                               ;   in Loop: Header=BB2_57 Depth=2
	s_or_b64 exec, exec, s[44:45]
	v_add_co_u32_e32 v50, vcc, 2, v50
	v_addc_co_u32_e32 v51, vcc, 0, v51, vcc
	flat_store_dwordx2 v[22:23], v[50:51]
.LBB2_56:                               ;   in Loop: Header=BB2_57 Depth=2
	s_or_b64 exec, exec, s[26:27]
	v_add_u32_e32 v10, v8, v10
	v_cmp_ge_i32_e32 vcc, v10, v52
	s_xor_b64 s[26:27], s[42:43], -1
	s_or_b64 s[26:27], s[26:27], vcc
	s_and_b64 s[26:27], exec, s[26:27]
	s_or_b64 s[40:41], s[26:27], s[40:41]
	s_mov_b64 s[42:43], 0
	v_mov_b32_e32 v0, s58
	s_mov_b32 s58, 2
	s_andn2_b64 exec, exec, s[40:41]
	s_cbranch_execz .LBB2_192
.LBB2_57:                               ;   Parent Loop BB2_47 Depth=1
                                        ; =>  This Loop Header: Depth=2
                                        ;       Child Loop BB2_65 Depth 3
                                        ;       Child Loop BB2_89 Depth 3
	;; [unrolled: 1-line block ×9, first 2 shown]
	s_and_saveexec_b64 s[26:27], s[4:5]
	s_cbranch_execz .LBB2_59
; %bb.58:                               ;   in Loop: Header=BB2_57 Depth=2
	s_trap 2
	ds_read_b64 v[14:15], v0
	buffer_load_dword v17, off, s[0:3], s33 offset:60 ; 4-byte Folded Reload
	buffer_load_dword v18, off, s[0:3], s33 offset:64 ; 4-byte Folded Reload
	v_ashrrev_i32_e32 v11, 31, v10
	s_waitcnt vmcnt(0)
	v_lshlrev_b64 v[18:19], 1, v[17:18]
	s_waitcnt lgkmcnt(0)
	v_add_co_u32_e32 v0, vcc, v14, v18
	v_addc_co_u32_e32 v3, vcc, v15, v19, vcc
	v_add_co_u32_e32 v0, vcc, v0, v12
	v_lshlrev_b64 v[14:15], 1, v[10:11]
	v_addc_co_u32_e32 v3, vcc, v3, v13, vcc
	v_add_co_u32_e32 v14, vcc, v0, v14
	v_lshlrev_b32_e32 v11, 11, v21
	v_addc_co_u32_e32 v15, vcc, v3, v15, vcc
	v_mov_b32_e32 v3, v2
	ds_write_b64 v0, v[14:15]
	ds_write_b64 v0, v[2:3]
.LBB2_59:                               ;   in Loop: Header=BB2_57 Depth=2
	s_or_b64 exec, exec, s[26:27]
	v_sub_u32_e32 v0, v52, v10
	v_min_i32_e32 v8, v8, v0
	v_and_b32_e32 v0, 8, v62
	v_cmp_ne_u32_e32 vcc, 0, v0
	s_and_saveexec_b64 s[44:45], vcc
	s_cbranch_execz .LBB2_81
; %bb.60:                               ;   in Loop: Header=BB2_57 Depth=2
	s_waitcnt vmcnt(0) lgkmcnt(0)
	v_add_co_u32_e32 v18, vcc, 8, v32
	v_addc_co_u32_e32 v19, vcc, 0, v33, vcc
	v_add_co_u32_e32 v14, vcc, 2, v50
	v_addc_co_u32_e32 v15, vcc, 0, v51, vcc
	v_cmp_lt_u64_e32 vcc, v[18:19], v[14:15]
	s_and_saveexec_b64 s[88:89], vcc
	s_cbranch_execz .LBB2_72
; %bb.61:                               ;   in Loop: Header=BB2_57 Depth=2
	v_and_b32_e32 v0, 64, v62
	s_mov_b32 s79, 0
	v_cmp_eq_u32_e32 vcc, 0, v0
	s_mov_b64 s[90:91], 0
                                        ; implicit-def: $sgpr92_sgpr93
                                        ; implicit-def: $sgpr94_sgpr95
                                        ; implicit-def: $sgpr30_sgpr31
	s_branch .LBB2_65
.LBB2_62:                               ;   in Loop: Header=BB2_65 Depth=3
	s_waitcnt vmcnt(0) lgkmcnt(0)
	v_add_co_u32_e64 v18, s[26:27], 8, v32
	v_addc_co_u32_e64 v19, s[26:27], 0, v33, s[26:27]
	v_cmp_ge_u64_e64 s[26:27], v[18:19], v[14:15]
	s_or_b64 s[38:39], s[38:39], exec
	s_orn2_b64 s[36:37], s[26:27], exec
.LBB2_63:                               ;   in Loop: Header=BB2_65 Depth=3
	s_or_b64 exec, exec, s[50:51]
	s_andn2_b64 s[26:27], s[30:31], exec
	s_and_b64 s[30:31], s[38:39], exec
	s_or_b64 s[30:31], s[26:27], s[30:31]
	s_andn2_b64 s[26:27], s[94:95], exec
	s_and_b64 s[94:95], s[36:37], exec
	s_or_b64 s[94:95], s[26:27], s[94:95]
.LBB2_64:                               ;   in Loop: Header=BB2_65 Depth=3
	s_or_b64 exec, exec, s[34:35]
	s_and_b64 s[26:27], exec, s[94:95]
	s_or_b64 s[90:91], s[26:27], s[90:91]
	s_andn2_b64 s[26:27], s[92:93], exec
	s_and_b64 s[92:93], s[30:31], exec
	s_or_b64 s[92:93], s[26:27], s[92:93]
	s_andn2_b64 exec, exec, s[90:91]
	s_cbranch_execz .LBB2_69
.LBB2_65:                               ;   Parent Loop BB2_47 Depth=1
                                        ;     Parent Loop BB2_57 Depth=2
                                        ; =>    This Inner Loop Header: Depth=3
	s_sleep 1
	s_waitcnt vmcnt(0) lgkmcnt(0)
	flat_load_dwordx2 v[32:33], v[22:23] glc
	s_or_b64 s[30:31], s[30:31], exec
	s_or_b64 s[94:95], s[94:95], exec
                                        ; implicit-def: $vgpr0
	s_and_saveexec_b64 s[34:35], vcc
	s_cbranch_execz .LBB2_64
; %bb.66:                               ;   in Loop: Header=BB2_65 Depth=3
	s_cmpk_lt_i32 s79, 0x270f
	s_cselect_b64 s[48:49], -1, 0
	s_cmpk_gt_i32 s79, 0x270e
	s_mov_b64 s[36:37], -1
	s_cbranch_scc0 .LBB2_68
; %bb.67:                               ;   in Loop: Header=BB2_65 Depth=3
	s_trap 2
	ds_read_b64 v[18:19], v0
	s_andn2_b64 s[48:49], s[48:49], exec
	s_mov_b32 s79, 0
	s_mov_b64 s[38:39], 0
	s_waitcnt vmcnt(0) lgkmcnt(0)
	flat_load_dword v0, v[18:19] glc
	s_waitcnt vmcnt(0) lgkmcnt(0)
	buffer_wbinvl1_vol
	v_cmp_eq_u32_e64 s[26:27], 0, v0
	s_and_b64 s[26:27], s[26:27], exec
	s_or_b64 s[48:49], s[48:49], s[26:27]
	s_and_saveexec_b64 s[50:51], s[48:49]
	s_cbranch_execz .LBB2_63
	s_branch .LBB2_62
.LBB2_68:                               ;   in Loop: Header=BB2_65 Depth=3
	s_add_i32 s79, s79, 1
	s_mov_b64 s[38:39], -1
                                        ; implicit-def: $vgpr0
	s_and_saveexec_b64 s[50:51], s[48:49]
	s_cbranch_execz .LBB2_63
	s_branch .LBB2_62
.LBB2_69:                               ;   in Loop: Header=BB2_57 Depth=2
	s_or_b64 exec, exec, s[90:91]
	s_xor_b64 s[26:27], s[92:93], -1
	s_and_saveexec_b64 s[90:91], s[26:27]
	s_xor_b64 s[26:27], exec, s[90:91]
	s_cbranch_execz .LBB2_71
; %bb.70:                               ;   in Loop: Header=BB2_57 Depth=2
	v_or_b32_e32 v62, 64, v62
	s_waitcnt lgkmcnt(0)
	ds_write_b32 v0, v0
	s_trap 2
.LBB2_71:                               ;   in Loop: Header=BB2_57 Depth=2
	s_or_b64 exec, exec, s[26:27]
.LBB2_72:                               ;   in Loop: Header=BB2_57 Depth=2
	s_or_b64 exec, exec, s[88:89]
	v_and_b32_e32 v0, 0x100, v62
	v_cmp_ne_u32_e32 vcc, 0, v0
	v_and_b32_e32 v0, 7, v50
	s_mov_b64 s[26:27], -1
	;;#ASMSTART
	s_wakeup
	;;#ASMEND
                                        ; implicit-def: $vgpr18_vgpr19
	s_and_saveexec_b64 s[88:89], vcc
	s_cbranch_execz .LBB2_76
; %bb.73:                               ;   in Loop: Header=BB2_57 Depth=2
	v_mad_u64_u32 v[50:51], s[26:27], v0, 24, v[6:7]
	v_ashrrev_i32_e32 v9, 31, v8
	v_lshlrev_b64 v[18:19], 1, v[8:9]
	flat_load_dword v3, v[50:51]
	s_waitcnt vmcnt(0) lgkmcnt(0)
	v_cmp_ne_u32_e32 vcc, 1, v3
	v_cmp_eq_u32_e64 s[26:27], 1, v3
	flat_store_dwordx2 v[50:51], v[18:19] offset:8
                                        ; implicit-def: $vgpr18_vgpr19
	s_and_saveexec_b64 s[90:91], s[26:27]
	s_cbranch_execz .LBB2_75
; %bb.74:                               ;   in Loop: Header=BB2_57 Depth=2
	flat_load_dword v18, v[50:51] offset:4 glc
	s_waitcnt vmcnt(0) lgkmcnt(0)
	v_ashrrev_i32_e32 v19, 31, v18
	v_lshrrev_b64 v[18:19], 1, v[18:19]
.LBB2_75:                               ;   in Loop: Header=BB2_57 Depth=2
	s_or_b64 exec, exec, s[90:91]
	s_orn2_b64 s[26:27], vcc, exec
.LBB2_76:                               ;   in Loop: Header=BB2_57 Depth=2
	s_or_b64 exec, exec, s[88:89]
	s_and_saveexec_b64 s[88:89], s[26:27]
; %bb.77:                               ;   in Loop: Header=BB2_57 Depth=2
	v_mad_i64_i32 v[18:19], s[26:27], v0, v30, 0
; %bb.78:                               ;   in Loop: Header=BB2_57 Depth=2
	s_or_b64 exec, exec, s[88:89]
	v_lshlrev_b64 v[18:19], 1, v[18:19]
	v_add_co_u32_e32 v18, vcc, v24, v18
	v_addc_co_u32_e32 v19, vcc, v25, v19, vcc
	ds_write_b64 v0, v[18:19] offset:784
	v_and_b32_e32 v0, 0x2000, v62
	v_cmp_ne_u32_e32 vcc, 0, v0
	s_and_saveexec_b64 s[26:27], vcc
	s_cbranch_execz .LBB2_80
; %bb.79:                               ;   in Loop: Header=BB2_57 Depth=2
	ds_read_b64 v[18:19], v0 offset:872
	s_waitcnt lgkmcnt(0)
	v_add_co_u32_e32 v18, vcc, 1, v18
	v_addc_co_u32_e32 v19, vcc, 0, v19, vcc
	ds_write_b64 v0, v[18:19] offset:872
.LBB2_80:                               ;   in Loop: Header=BB2_57 Depth=2
	s_or_b64 exec, exec, s[26:27]
	v_mov_b32_e32 v51, v15
	v_mov_b32_e32 v50, v14
.LBB2_81:                               ;   in Loop: Header=BB2_57 Depth=2
	s_or_b64 exec, exec, s[44:45]
	s_and_saveexec_b64 s[26:27], s[10:11]
	s_cbranch_execz .LBB2_100
; %bb.82:                               ;   in Loop: Header=BB2_57 Depth=2
	s_and_saveexec_b64 s[44:45], s[60:61]
	s_xor_b64 s[44:45], exec, s[44:45]
	s_cbranch_execz .LBB2_97
; %bb.83:                               ;   in Loop: Header=BB2_57 Depth=2
	s_and_saveexec_b64 s[88:89], s[16:17]
	s_cbranch_execz .LBB2_96
; %bb.84:                               ;   in Loop: Header=BB2_57 Depth=2
	s_mov_b64 s[92:93], exec
	v_mbcnt_lo_u32_b32 v0, s92, 0
	v_mbcnt_hi_u32_b32 v0, s93, v0
	v_cmp_eq_u32_e32 vcc, 0, v0
	s_waitcnt vmcnt(0) lgkmcnt(0)
	buffer_wbinvl1_vol
	s_and_saveexec_b64 s[90:91], vcc
	s_cbranch_execz .LBB2_86
; %bb.85:                               ;   in Loop: Header=BB2_57 Depth=2
	s_bcnt1_i32_b64 s79, s[92:93]
	v_mov_b32_e32 v14, s79
	v_mov_b32_e32 v15, v2
	ds_add_u64 v0, v[14:15]
	s_trap 2
.LBB2_86:                               ;   in Loop: Header=BB2_57 Depth=2
	s_or_b64 exec, exec, s[90:91]
	s_trap 2
	ds_read_b64 v[14:15], v0
	s_waitcnt lgkmcnt(0)
	v_add_co_u32_e32 v28, vcc, v28, v21
	v_addc_co_u32_e32 v29, vcc, 0, v29, vcc
	v_cmp_lt_u64_e32 vcc, v[14:15], v[28:29]
	s_and_saveexec_b64 s[90:91], vcc
	s_cbranch_execz .LBB2_95
; %bb.87:                               ;   in Loop: Header=BB2_57 Depth=2
	s_mov_b32 s79, 0
	s_mov_b64 s[92:93], 0
                                        ; implicit-def: $sgpr94_sgpr95
                                        ; implicit-def: $sgpr30_sgpr31
	s_branch .LBB2_89
.LBB2_88:                               ;   in Loop: Header=BB2_89 Depth=3
	s_or_b64 exec, exec, s[36:37]
	s_and_b64 vcc, exec, vcc
	s_or_b64 s[92:93], vcc, s[92:93]
	s_andn2_b64 s[94:95], s[94:95], exec
	s_and_b64 vcc, s[30:31], exec
	s_or_b64 s[94:95], s[94:95], vcc
	s_andn2_b64 exec, exec, s[92:93]
	s_cbranch_execz .LBB2_93
.LBB2_89:                               ;   Parent Loop BB2_47 Depth=1
                                        ;     Parent Loop BB2_57 Depth=2
                                        ; =>    This Inner Loop Header: Depth=3
	s_add_i32 s79, s79, 1
	s_cmpk_lg_i32 s79, 0x2710
	s_cselect_b64 s[34:35], -1, 0
	s_and_b64 vcc, exec, s[34:35]
	s_cbranch_vccz .LBB2_91
; %bb.90:                               ;   in Loop: Header=BB2_89 Depth=3
	s_mov_b64 vcc, -1
	s_or_b64 s[30:31], s[30:31], exec
	s_and_saveexec_b64 s[36:37], s[34:35]
	s_cbranch_execz .LBB2_88
	s_branch .LBB2_92
.LBB2_91:                               ;   in Loop: Header=BB2_89 Depth=3
	s_trap 2
	ds_read_b64 v[14:15], v0
	s_andn2_b64 s[34:35], s[34:35], exec
	s_mov_b32 s79, 0
	s_waitcnt lgkmcnt(0)
	flat_load_dword v0, v[14:15] glc
	s_waitcnt vmcnt(0) lgkmcnt(0)
	buffer_wbinvl1_vol
	v_cmp_eq_u32_e32 vcc, 0, v0
	s_and_b64 vcc, vcc, exec
	s_or_b64 s[34:35], s[34:35], vcc
	s_mov_b64 vcc, -1
	s_or_b64 s[30:31], s[30:31], exec
	s_and_saveexec_b64 s[36:37], s[34:35]
	s_cbranch_execz .LBB2_88
.LBB2_92:                               ;   in Loop: Header=BB2_89 Depth=3
	s_sleep 1
	s_trap 2
	ds_read_b64 v[14:15], v0
	s_waitcnt lgkmcnt(0)
	s_andn2_b64 s[30:31], s[30:31], exec
	v_cmp_ge_u64_e32 vcc, v[14:15], v[28:29]
	s_orn2_b64 vcc, vcc, exec
	s_branch .LBB2_88
.LBB2_93:                               ;   in Loop: Header=BB2_57 Depth=2
	s_or_b64 exec, exec, s[92:93]
	s_and_saveexec_b64 s[92:93], s[94:95]
	s_xor_b64 s[92:93], exec, s[92:93]
	s_cbranch_execz .LBB2_95
; %bb.94:                               ;   in Loop: Header=BB2_57 Depth=2
	ds_write_b32 v0, v37
	s_trap 2
.LBB2_95:                               ;   in Loop: Header=BB2_57 Depth=2
	s_or_b64 exec, exec, s[90:91]
	;;#ASMSTART
	s_wakeup
	;;#ASMEND
.LBB2_96:                               ;   in Loop: Header=BB2_57 Depth=2
	s_or_b64 exec, exec, s[88:89]
.LBB2_97:                               ;   in Loop: Header=BB2_57 Depth=2
	s_andn2_saveexec_b64 s[44:45], s[44:45]
	s_cbranch_execz .LBB2_99
; %bb.98:                               ;   in Loop: Header=BB2_57 Depth=2
	s_waitcnt vmcnt(0) lgkmcnt(0)
	buffer_wbinvl1_vol
	s_barrier
.LBB2_99:                               ;   in Loop: Header=BB2_57 Depth=2
	s_or_b64 exec, exec, s[44:45]
.LBB2_100:                              ;   in Loop: Header=BB2_57 Depth=2
	s_or_b64 exec, exec, s[26:27]
	s_trap 2
	ds_read_b32 v0, v0
	v_and_b32_e32 v3, 0x4000, v62
	v_cmp_ne_u32_e32 vcc, 0, v3
	s_xor_b64 s[26:27], s[6:7], -1
	s_and_b64 s[44:45], s[26:27], vcc
	s_and_saveexec_b64 s[26:27], s[44:45]
	s_cbranch_execz .LBB2_119
; %bb.101:                              ;   in Loop: Header=BB2_57 Depth=2
	s_and_saveexec_b64 s[44:45], s[60:61]
	s_xor_b64 s[44:45], exec, s[44:45]
	s_cbranch_execz .LBB2_116
; %bb.102:                              ;   in Loop: Header=BB2_57 Depth=2
	s_and_saveexec_b64 s[88:89], s[16:17]
	s_cbranch_execz .LBB2_115
; %bb.103:                              ;   in Loop: Header=BB2_57 Depth=2
	s_mov_b64 s[92:93], exec
	v_mbcnt_lo_u32_b32 v3, s92, 0
	v_mbcnt_hi_u32_b32 v3, s93, v3
	v_cmp_eq_u32_e32 vcc, 0, v3
	s_waitcnt vmcnt(0) lgkmcnt(0)
	buffer_wbinvl1_vol
	s_and_saveexec_b64 s[90:91], vcc
	s_cbranch_execz .LBB2_105
; %bb.104:                              ;   in Loop: Header=BB2_57 Depth=2
	s_bcnt1_i32_b64 s79, s[92:93]
	v_mov_b32_e32 v14, s79
	v_mov_b32_e32 v15, v2
	ds_add_u64 v0, v[14:15]
	s_trap 2
.LBB2_105:                              ;   in Loop: Header=BB2_57 Depth=2
	s_or_b64 exec, exec, s[90:91]
	s_trap 2
	ds_read_b64 v[14:15], v0
	s_waitcnt lgkmcnt(0)
	v_add_co_u32_e32 v28, vcc, v28, v21
	v_addc_co_u32_e32 v29, vcc, 0, v29, vcc
	v_cmp_lt_u64_e32 vcc, v[14:15], v[28:29]
	s_and_saveexec_b64 s[90:91], vcc
	s_cbranch_execz .LBB2_114
; %bb.106:                              ;   in Loop: Header=BB2_57 Depth=2
	s_mov_b32 s79, 0
	s_mov_b64 s[92:93], 0
                                        ; implicit-def: $sgpr94_sgpr95
                                        ; implicit-def: $sgpr30_sgpr31
	s_branch .LBB2_108
.LBB2_107:                              ;   in Loop: Header=BB2_108 Depth=3
	s_or_b64 exec, exec, s[36:37]
	s_and_b64 vcc, exec, vcc
	s_or_b64 s[92:93], vcc, s[92:93]
	s_andn2_b64 s[94:95], s[94:95], exec
	s_and_b64 vcc, s[30:31], exec
	s_or_b64 s[94:95], s[94:95], vcc
	s_andn2_b64 exec, exec, s[92:93]
	s_cbranch_execz .LBB2_112
.LBB2_108:                              ;   Parent Loop BB2_47 Depth=1
                                        ;     Parent Loop BB2_57 Depth=2
                                        ; =>    This Inner Loop Header: Depth=3
	s_add_i32 s79, s79, 1
	s_cmpk_lg_i32 s79, 0x2710
	s_cselect_b64 s[34:35], -1, 0
	s_and_b64 vcc, exec, s[34:35]
	s_cbranch_vccz .LBB2_110
; %bb.109:                              ;   in Loop: Header=BB2_108 Depth=3
	s_mov_b64 vcc, -1
	s_or_b64 s[30:31], s[30:31], exec
	s_and_saveexec_b64 s[36:37], s[34:35]
	s_cbranch_execz .LBB2_107
	s_branch .LBB2_111
.LBB2_110:                              ;   in Loop: Header=BB2_108 Depth=3
	s_trap 2
	ds_read_b64 v[14:15], v0
	s_andn2_b64 s[34:35], s[34:35], exec
	s_mov_b32 s79, 0
	s_waitcnt lgkmcnt(0)
	flat_load_dword v3, v[14:15] glc
	s_waitcnt vmcnt(0) lgkmcnt(0)
	buffer_wbinvl1_vol
	v_cmp_eq_u32_e32 vcc, 0, v3
	s_and_b64 vcc, vcc, exec
	s_or_b64 s[34:35], s[34:35], vcc
	s_mov_b64 vcc, -1
	s_or_b64 s[30:31], s[30:31], exec
	s_and_saveexec_b64 s[36:37], s[34:35]
	s_cbranch_execz .LBB2_107
.LBB2_111:                              ;   in Loop: Header=BB2_108 Depth=3
	s_sleep 1
	s_trap 2
	ds_read_b64 v[14:15], v0
	s_waitcnt lgkmcnt(0)
	s_andn2_b64 s[30:31], s[30:31], exec
	v_cmp_ge_u64_e32 vcc, v[14:15], v[28:29]
	s_orn2_b64 vcc, vcc, exec
	s_branch .LBB2_107
.LBB2_112:                              ;   in Loop: Header=BB2_57 Depth=2
	s_or_b64 exec, exec, s[92:93]
	s_and_saveexec_b64 s[92:93], s[94:95]
	s_xor_b64 s[92:93], exec, s[92:93]
	s_cbranch_execz .LBB2_114
; %bb.113:                              ;   in Loop: Header=BB2_57 Depth=2
	ds_write_b32 v0, v37
	s_trap 2
.LBB2_114:                              ;   in Loop: Header=BB2_57 Depth=2
	s_or_b64 exec, exec, s[90:91]
	;;#ASMSTART
	s_wakeup
	;;#ASMEND
.LBB2_115:                              ;   in Loop: Header=BB2_57 Depth=2
	s_or_b64 exec, exec, s[88:89]
.LBB2_116:                              ;   in Loop: Header=BB2_57 Depth=2
	s_andn2_saveexec_b64 s[44:45], s[44:45]
	s_cbranch_execz .LBB2_118
; %bb.117:                              ;   in Loop: Header=BB2_57 Depth=2
	s_waitcnt vmcnt(0) lgkmcnt(0)
	buffer_wbinvl1_vol
	s_barrier
.LBB2_118:                              ;   in Loop: Header=BB2_57 Depth=2
	s_or_b64 exec, exec, s[44:45]
.LBB2_119:                              ;   in Loop: Header=BB2_57 Depth=2
	s_or_b64 exec, exec, s[26:27]
	s_trap 2
	s_waitcnt lgkmcnt(0)
	ds_read_b64 v[14:15], v0
	s_waitcnt lgkmcnt(0)
	v_cmp_eq_u64_e32 vcc, 0, v[14:15]
	s_cbranch_vccnz .LBB2_127
; %bb.120:                              ;   in Loop: Header=BB2_57 Depth=2
	s_trap 2
	ds_read_b64 v[18:19], v0
	s_waitcnt lgkmcnt(0)
	v_cmp_eq_u64_e32 vcc, 0, v[18:19]
	s_cbranch_vccnz .LBB2_127
; %bb.121:                              ;   in Loop: Header=BB2_57 Depth=2
	s_mov_b64 s[26:27], -1
	s_and_saveexec_b64 s[44:45], s[18:19]
	s_cbranch_execz .LBB2_123
; %bb.122:                              ;   in Loop: Header=BB2_57 Depth=2
	ds_read_b32 v3, v0 offset:720
	s_waitcnt lgkmcnt(0)
	v_and_b32_e32 v3, 15, v3
	v_cmp_eq_u32_e32 vcc, 0, v3
	s_orn2_b64 s[26:27], vcc, exec
.LBB2_123:                              ;   in Loop: Header=BB2_57 Depth=2
	s_or_b64 exec, exec, s[44:45]
	s_and_saveexec_b64 s[44:45], s[20:21]
	s_cbranch_execz .LBB2_125
; %bb.124:                              ;   in Loop: Header=BB2_57 Depth=2
	ds_read_b32 v3, v0 offset:784
	s_waitcnt lgkmcnt(0)
	v_and_b32_e32 v3, 15, v3
	v_cmp_eq_u32_e32 vcc, 0, v3
	s_and_b64 s[88:89], s[26:27], vcc
	s_andn2_b64 s[26:27], s[26:27], exec
	s_and_b64 s[88:89], s[88:89], exec
	s_or_b64 s[26:27], s[26:27], s[88:89]
.LBB2_125:                              ;   in Loop: Header=BB2_57 Depth=2
	s_or_b64 exec, exec, s[44:45]
	v_cmp_eq_u32_e32 vcc, 0, v0
	s_xor_b64 s[26:27], s[26:27], -1
	v_cndmask_b32_e32 v0, 0, v8, vcc
	v_cndmask_b32_e64 v9, 0, 1, s[26:27]
	v_lshlrev_b32_e32 v3, 1, v0
	s_mov_b64 s[88:89], -1
	v_cmp_ne_u32_e32 vcc, 0, v9
	v_mov_b32_e32 v9, 0
	s_cbranch_vccz .LBB2_128
; %bb.126:                              ;   in Loop: Header=BB2_57 Depth=2
	v_mov_b32_e32 v11, v61
	s_and_saveexec_b64 s[26:27], s[88:89]
	s_cbranch_execnz .LBB2_139
	s_branch .LBB2_147
.LBB2_127:                              ;   in Loop: Header=BB2_57 Depth=2
	s_mov_b64 s[26:27], 0
	s_and_saveexec_b64 s[44:45], s[10:11]
	s_cbranch_execnz .LBB2_148
	s_branch .LBB2_166
.LBB2_128:                              ;   in Loop: Header=BB2_57 Depth=2
	v_ashrrev_i32_e32 v9, 31, v3
	v_lshrrev_b32_e32 v9, 21, v9
	v_add_u32_e32 v9, v3, v9
	v_ashrrev_i32_e32 v9, 11, v9
	v_sub_u32_e32 v49, v9, v59
	v_cmp_lt_i32_e32 vcc, 0, v49
	s_and_saveexec_b64 s[26:27], vcc
	s_cbranch_execz .LBB2_132
; %bb.129:                              ;   in Loop: Header=BB2_57 Depth=2
	buffer_load_dword v40, off, s[0:3], s33 offset:108 ; 4-byte Folded Reload
	buffer_load_dword v41, off, s[0:3], s33 offset:112 ; 4-byte Folded Reload
	s_mov_b64 s[44:45], 0
.LBB2_130:                              ;   Parent Loop BB2_47 Depth=1
                                        ;     Parent Loop BB2_57 Depth=2
                                        ; =>    This Inner Loop Header: Depth=3
	s_waitcnt vmcnt(0)
	v_add_co_u32_e32 v53, vcc, v14, v40
	v_addc_co_u32_e32 v54, vcc, v15, v41, vcc
	global_load_dwordx4 v[42:45], v[53:54], off glc slc
	s_nop 0
	global_load_dwordx4 v[53:56], v[53:54], off offset:1024 glc slc
	v_add_co_u32_e32 v46, vcc, v18, v40
	v_addc_co_u32_e32 v47, vcc, v19, v41, vcc
	v_add_co_u32_e32 v40, vcc, v40, v11
	v_sub_u32_e32 v49, v49, v21
	v_addc_co_u32_e32 v41, vcc, 0, v41, vcc
	v_cmp_gt_i32_e32 vcc, 1, v49
	s_or_b64 s[44:45], vcc, s[44:45]
	s_waitcnt vmcnt(1)
	global_store_dwordx4 v[46:47], v[42:45], off glc slc
	s_waitcnt vmcnt(1)
	global_store_dwordx4 v[46:47], v[53:56], off offset:1024 glc slc
	s_andn2_b64 exec, exec, s[44:45]
	s_cbranch_execnz .LBB2_130
; %bb.131:                              ;   in Loop: Header=BB2_57 Depth=2
	s_or_b64 exec, exec, s[44:45]
.LBB2_132:                              ;   in Loop: Header=BB2_57 Depth=2
	s_or_b64 exec, exec, s[26:27]
	v_lshlrev_b32_e32 v48, 11, v9
	v_cmp_ne_u32_e32 vcc, v3, v48
	s_mov_b64 s[88:89], 0
	v_mov_b32_e32 v9, 0
                                        ; implicit-def: $vgpr11
	s_and_saveexec_b64 s[44:45], vcc
	s_cbranch_execz .LBB2_138
; %bb.133:                              ;   in Loop: Header=BB2_57 Depth=2
	buffer_load_dword v11, off, s[0:3], s33 offset:72 ; 4-byte Folded Reload
	v_lshlrev_b32_e32 v9, 6, v49
	v_sub_u32_e32 v53, v3, v48
	s_waitcnt vmcnt(0)
	v_sub_u32_e32 v9, v11, v9
	v_ashrrev_i32_e32 v11, 31, v9
	v_lshrrev_b32_e32 v11, 26, v11
	v_add_u32_e32 v11, v9, v11
	v_ashrrev_i32_e32 v55, 6, v11
	v_and_b32_e32 v11, 0xffffffc0, v11
	v_sub_u32_e32 v11, v9, v11
	v_lshlrev_b32_e32 v9, 4, v11
	v_lshl_add_u32 v34, v55, 10, v9
	v_ashrrev_i32_e32 v9, 31, v53
	v_lshrrev_b32_e32 v9, 22, v9
	v_add_u32_e32 v9, v53, v9
	v_ashrrev_i32_e32 v40, 10, v9
	v_and_b32_e32 v9, 0xfffffc00, v9
	v_sub_u32_e32 v49, v53, v9
	v_cmp_lt_i32_e32 vcc, 15, v49
	v_sub_u32_e32 v54, v53, v34
	v_addc_co_u32_e64 v53, s[26:27], 0, v40, vcc
	v_sub_u32_e32 v53, v53, v55
	v_cmp_lt_i32_e64 s[26:27], 15, v54
	s_and_saveexec_b64 s[88:89], s[26:27]
	s_cbranch_execz .LBB2_137
; %bb.134:                              ;   in Loop: Header=BB2_57 Depth=2
	v_add_u32_e32 v55, v34, v48
	v_ashrrev_i32_e32 v40, 31, v55
	s_mov_b64 s[90:91], 0
.LBB2_135:                              ;   Parent Loop BB2_47 Depth=1
                                        ;     Parent Loop BB2_57 Depth=2
                                        ; =>    This Inner Loop Header: Depth=3
	v_add_co_u32_e64 v41, s[26:27], v14, v55
	v_addc_co_u32_e64 v42, s[26:27], v15, v40, s[26:27]
	global_load_dwordx4 v[41:44], v[41:42], off glc slc
	v_add_co_u32_e64 v45, s[26:27], v18, v55
	v_addc_co_u32_e64 v46, s[26:27], v19, v40, s[26:27]
	v_add_co_u32_e64 v55, s[26:27], v55, v35
	v_sub_u32_e32 v54, v54, v35
	v_addc_co_u32_e64 v40, s[26:27], 0, v40, s[26:27]
	v_cmp_gt_i32_e64 s[26:27], 16, v54
	v_sub_u32_e32 v53, v53, v21
	s_or_b64 s[90:91], s[26:27], s[90:91]
	s_waitcnt vmcnt(0)
	global_store_dwordx4 v[45:46], v[41:44], off glc slc
	s_andn2_b64 exec, exec, s[90:91]
	s_cbranch_execnz .LBB2_135
; %bb.136:                              ;   in Loop: Header=BB2_57 Depth=2
	s_or_b64 exec, exec, s[90:91]
.LBB2_137:                              ;   in Loop: Header=BB2_57 Depth=2
	s_or_b64 exec, exec, s[88:89]
	v_and_b32_e32 v3, 14, v3
	v_sub_u32_e32 v34, v49, v3
	v_cndmask_b32_e32 v34, 0, v34, vcc
	v_cndmask_b32_e32 v3, v49, v3, vcc
	v_cmp_lt_i32_e32 vcc, 0, v53
	v_add3_u32 v9, v9, v48, v34
	v_cndmask_b32_e32 v34, 0, v21, vcc
	v_sub_u32_e32 v34, v34, v53
	v_cmp_ne_u32_e32 vcc, 0, v3
	v_lshl_add_u32 v11, v34, 6, v11
	s_and_b64 s[88:89], vcc, exec
.LBB2_138:                              ;   in Loop: Header=BB2_57 Depth=2
	s_or_b64 exec, exec, s[44:45]
	s_and_saveexec_b64 s[26:27], s[88:89]
	s_cbranch_execz .LBB2_147
.LBB2_139:                              ;   in Loop: Header=BB2_57 Depth=2
	v_ashrrev_i32_e32 v34, 31, v11
	v_ashrrev_i32_e32 v49, 31, v3
	v_lshrrev_b32_e32 v34, 26, v34
	v_lshrrev_b32_e32 v49, 23, v49
	v_add_u32_e32 v34, v11, v34
	v_add_u32_e32 v49, v3, v49
	v_ashrrev_i32_e32 v48, 6, v34
	v_ashrrev_i32_e32 v53, 9, v49
	v_sub_u32_e32 v49, v53, v48
	v_cmp_lt_i32_e32 vcc, 0, v49
	s_and_saveexec_b64 s[44:45], vcc
	s_cbranch_execz .LBB2_143
; %bb.140:                              ;   in Loop: Header=BB2_57 Depth=2
	v_and_b32_e32 v34, 0x7fffffc0, v34
	v_sub_u32_e32 v34, v11, v34
	v_lshlrev_b32_e32 v34, 1, v34
	v_lshlrev_b32_e32 v54, 9, v48
	v_add3_u32 v54, v34, v9, v54
	v_mov_b32_e32 v41, v19
	v_mov_b32_e32 v43, v15
	v_ashrrev_i32_e32 v55, 31, v54
	s_mov_b64 s[88:89], 0
	v_mov_b32_e32 v40, v18
	v_mov_b32_e32 v42, v14
.LBB2_141:                              ;   Parent Loop BB2_47 Depth=1
                                        ;     Parent Loop BB2_57 Depth=2
                                        ; =>    This Inner Loop Header: Depth=3
	v_add_co_u32_e32 v44, vcc, v54, v42
	v_addc_co_u32_e32 v45, vcc, v55, v43, vcc
	flat_load_ushort v34, v[44:45] glc slc
	flat_load_ushort v46, v[44:45] offset:128 glc slc
	flat_load_ushort v47, v[44:45] offset:256 glc slc
	;; [unrolled: 1-line block ×3, first 2 shown]
	v_add_co_u32_e32 v44, vcc, v54, v40
	v_addc_co_u32_e32 v45, vcc, v55, v41, vcc
	v_add_co_u32_e32 v42, vcc, v42, v16
	v_addc_co_u32_e32 v43, vcc, 0, v43, vcc
	v_add_co_u32_e32 v40, vcc, v40, v16
	v_sub_u32_e32 v49, v49, v21
	v_addc_co_u32_e32 v41, vcc, 0, v41, vcc
	v_cmp_gt_i32_e32 vcc, 1, v49
	s_or_b64 s[88:89], vcc, s[88:89]
	s_waitcnt vmcnt(0) lgkmcnt(0)
	flat_store_short v[44:45], v34 glc slc
	flat_store_short v[44:45], v46 offset:128 glc slc
	flat_store_short v[44:45], v47 offset:256 glc slc
	;; [unrolled: 1-line block ×3, first 2 shown]
	s_andn2_b64 exec, exec, s[88:89]
	s_cbranch_execnz .LBB2_141
; %bb.142:                              ;   in Loop: Header=BB2_57 Depth=2
	s_or_b64 exec, exec, s[88:89]
.LBB2_143:                              ;   in Loop: Header=BB2_57 Depth=2
	s_or_b64 exec, exec, s[44:45]
	v_lshlrev_b32_e32 v34, 9, v53
	v_cmp_ne_u32_e32 vcc, v3, v34
	s_and_b64 exec, exec, vcc
	s_cbranch_execz .LBB2_147
; %bb.144:                              ;   in Loop: Header=BB2_57 Depth=2
	v_lshlrev_b32_e32 v48, 6, v48
	v_sub_u32_e32 v11, v11, v48
	v_lshlrev_b32_e32 v48, 6, v49
	v_sub_u32_e32 v11, v11, v48
	v_ashrrev_i32_e32 v48, 31, v11
	v_lshrrev_b32_e32 v48, 26, v48
	v_add_u32_e32 v48, v11, v48
	v_and_b32_e32 v49, 0x7fffffc0, v48
	v_sub_u32_e32 v11, v11, v49
	v_lshlrev_b32_e32 v48, 1, v48
	v_and_b32_e32 v48, 0xffffff80, v48
	v_lshlrev_b32_e32 v11, 1, v11
	v_add3_u32 v11, v48, v11, v34
	v_sub_u32_e32 v3, v3, v11
	v_cmp_lt_i32_e32 vcc, 1, v3
	s_and_b64 exec, exec, vcc
	s_cbranch_execz .LBB2_147
; %bb.145:                              ;   in Loop: Header=BB2_57 Depth=2
	v_add_u32_e32 v9, v11, v9
	v_ashrrev_i32_e32 v11, 31, v9
	s_mov_b64 s[44:45], 0
.LBB2_146:                              ;   Parent Loop BB2_47 Depth=1
                                        ;     Parent Loop BB2_57 Depth=2
                                        ; =>    This Inner Loop Header: Depth=3
	v_add_co_u32_e32 v48, vcc, v14, v9
	v_addc_co_u32_e32 v49, vcc, v15, v11, vcc
	flat_load_ushort v34, v[48:49] glc slc
	v_add_co_u32_e32 v48, vcc, v18, v9
	v_addc_co_u32_e32 v49, vcc, v19, v11, vcc
	v_add_co_u32_e32 v9, vcc, v9, v31
	v_sub_u32_e32 v3, v3, v31
	v_addc_co_u32_e32 v11, vcc, 0, v11, vcc
	v_cmp_gt_i32_e32 vcc, 2, v3
	s_or_b64 s[44:45], vcc, s[44:45]
	s_waitcnt vmcnt(0) lgkmcnt(0)
	flat_store_short v[48:49], v34 glc slc
	s_andn2_b64 exec, exec, s[44:45]
	s_cbranch_execnz .LBB2_146
.LBB2_147:                              ;   in Loop: Header=BB2_57 Depth=2
	s_or_b64 exec, exec, s[26:27]
	v_cmp_lt_i32_e64 s[26:27], 0, v0
	v_lshlrev_b32_e32 v11, 11, v21
	s_and_saveexec_b64 s[44:45], s[10:11]
	s_cbranch_execz .LBB2_166
.LBB2_148:                              ;   in Loop: Header=BB2_57 Depth=2
	s_and_saveexec_b64 s[88:89], s[60:61]
	s_xor_b64 s[88:89], exec, s[88:89]
	s_cbranch_execz .LBB2_163
; %bb.149:                              ;   in Loop: Header=BB2_57 Depth=2
	s_and_saveexec_b64 s[90:91], s[16:17]
	s_cbranch_execz .LBB2_162
; %bb.150:                              ;   in Loop: Header=BB2_57 Depth=2
	s_mov_b64 s[94:95], exec
	v_mbcnt_lo_u32_b32 v0, s94, 0
	v_mbcnt_hi_u32_b32 v0, s95, v0
	v_cmp_eq_u32_e32 vcc, 0, v0
	s_waitcnt vmcnt(0) lgkmcnt(0)
	buffer_wbinvl1_vol
	s_and_saveexec_b64 s[92:93], vcc
	s_cbranch_execz .LBB2_152
; %bb.151:                              ;   in Loop: Header=BB2_57 Depth=2
	s_bcnt1_i32_b64 s79, s[94:95]
	v_mov_b32_e32 v14, s79
	v_mov_b32_e32 v15, v2
	ds_add_u64 v0, v[14:15]
	s_trap 2
.LBB2_152:                              ;   in Loop: Header=BB2_57 Depth=2
	s_or_b64 exec, exec, s[92:93]
	s_trap 2
	ds_read_b64 v[14:15], v0
	s_waitcnt lgkmcnt(0)
	v_add_co_u32_e32 v28, vcc, v28, v21
	v_addc_co_u32_e32 v29, vcc, 0, v29, vcc
	v_cmp_lt_u64_e32 vcc, v[14:15], v[28:29]
	s_and_saveexec_b64 s[92:93], vcc
	s_cbranch_execz .LBB2_161
; %bb.153:                              ;   in Loop: Header=BB2_57 Depth=2
	s_mov_b32 s79, 0
	s_mov_b64 s[94:95], 0
                                        ; implicit-def: $sgpr30_sgpr31
                                        ; implicit-def: $sgpr34_sgpr35
	s_branch .LBB2_155
.LBB2_154:                              ;   in Loop: Header=BB2_155 Depth=3
	s_or_b64 exec, exec, s[38:39]
	s_and_b64 vcc, exec, vcc
	s_or_b64 s[94:95], vcc, s[94:95]
	s_andn2_b64 vcc, s[30:31], exec
	s_and_b64 s[30:31], s[34:35], exec
	s_or_b64 s[30:31], vcc, s[30:31]
	s_andn2_b64 exec, exec, s[94:95]
	s_cbranch_execz .LBB2_159
.LBB2_155:                              ;   Parent Loop BB2_47 Depth=1
                                        ;     Parent Loop BB2_57 Depth=2
                                        ; =>    This Inner Loop Header: Depth=3
	s_add_i32 s79, s79, 1
	s_cmpk_lg_i32 s79, 0x2710
	s_cselect_b64 s[36:37], -1, 0
	s_and_b64 vcc, exec, s[36:37]
	s_cbranch_vccz .LBB2_157
; %bb.156:                              ;   in Loop: Header=BB2_155 Depth=3
	s_mov_b64 vcc, -1
	s_or_b64 s[34:35], s[34:35], exec
	s_and_saveexec_b64 s[38:39], s[36:37]
	s_cbranch_execz .LBB2_154
	s_branch .LBB2_158
.LBB2_157:                              ;   in Loop: Header=BB2_155 Depth=3
	s_trap 2
	ds_read_b64 v[14:15], v0
	s_andn2_b64 s[36:37], s[36:37], exec
	s_mov_b32 s79, 0
	s_waitcnt lgkmcnt(0)
	flat_load_dword v0, v[14:15] glc
	s_waitcnt vmcnt(0) lgkmcnt(0)
	buffer_wbinvl1_vol
	v_cmp_eq_u32_e32 vcc, 0, v0
	s_and_b64 vcc, vcc, exec
	s_or_b64 s[36:37], s[36:37], vcc
	s_mov_b64 vcc, -1
	s_or_b64 s[34:35], s[34:35], exec
	s_and_saveexec_b64 s[38:39], s[36:37]
	s_cbranch_execz .LBB2_154
.LBB2_158:                              ;   in Loop: Header=BB2_155 Depth=3
	s_sleep 1
	s_trap 2
	ds_read_b64 v[14:15], v0
	s_waitcnt lgkmcnt(0)
	s_andn2_b64 s[34:35], s[34:35], exec
	v_cmp_ge_u64_e32 vcc, v[14:15], v[28:29]
	s_orn2_b64 vcc, vcc, exec
	s_branch .LBB2_154
.LBB2_159:                              ;   in Loop: Header=BB2_57 Depth=2
	s_or_b64 exec, exec, s[94:95]
	s_and_saveexec_b64 s[94:95], s[30:31]
	s_xor_b64 s[94:95], exec, s[94:95]
	s_cbranch_execz .LBB2_161
; %bb.160:                              ;   in Loop: Header=BB2_57 Depth=2
	ds_write_b32 v0, v37
	s_trap 2
.LBB2_161:                              ;   in Loop: Header=BB2_57 Depth=2
	s_or_b64 exec, exec, s[92:93]
	;;#ASMSTART
	s_wakeup
	;;#ASMEND
.LBB2_162:                              ;   in Loop: Header=BB2_57 Depth=2
	s_or_b64 exec, exec, s[90:91]
.LBB2_163:                              ;   in Loop: Header=BB2_57 Depth=2
	s_andn2_saveexec_b64 s[88:89], s[88:89]
	s_cbranch_execz .LBB2_165
; %bb.164:                              ;   in Loop: Header=BB2_57 Depth=2
	s_waitcnt vmcnt(0) lgkmcnt(0)
	buffer_wbinvl1_vol
	s_barrier
.LBB2_165:                              ;   in Loop: Header=BB2_57 Depth=2
	s_or_b64 exec, exec, s[88:89]
.LBB2_166:                              ;   in Loop: Header=BB2_57 Depth=2
	s_or_b64 exec, exec, s[44:45]
	v_and_b32_e32 v0, 16, v62
	s_and_saveexec_b64 s[44:45], s[24:25]
	s_xor_b64 s[44:45], exec, s[44:45]
	s_cbranch_execz .LBB2_171
; %bb.167:                              ;   in Loop: Header=BB2_57 Depth=2
	v_and_b32_e32 v3, 16, v62
	v_cmp_ne_u32_e32 vcc, 0, v3
	v_and_b32_e32 v0, 16, v62
	s_and_b64 s[88:89], vcc, s[26:27]
	s_and_saveexec_b64 s[26:27], s[88:89]
	s_cbranch_execz .LBB2_169
; %bb.168:                              ;   in Loop: Header=BB2_57 Depth=2
	v_mov_b32_e32 v0, 1
	s_waitcnt vmcnt(0) lgkmcnt(0)
	buffer_wbinvl1_vol
.LBB2_169:                              ;   in Loop: Header=BB2_57 Depth=2
	s_or_b64 exec, exec, s[26:27]
	s_andn2_saveexec_b64 s[26:27], s[44:45]
	s_cbranch_execnz .LBB2_172
.LBB2_170:                              ;   in Loop: Header=BB2_57 Depth=2
	s_or_b64 exec, exec, s[26:27]
	v_cmp_ne_u32_e32 vcc, 0, v0
	s_and_saveexec_b64 s[26:27], vcc
	s_cbranch_execz .LBB2_56
	s_branch .LBB2_190
.LBB2_171:                              ;   in Loop: Header=BB2_57 Depth=2
	s_andn2_saveexec_b64 s[26:27], s[44:45]
	s_cbranch_execz .LBB2_170
.LBB2_172:                              ;   in Loop: Header=BB2_57 Depth=2
	s_and_saveexec_b64 s[44:45], s[60:61]
	s_xor_b64 s[44:45], exec, s[44:45]
	s_cbranch_execz .LBB2_187
; %bb.173:                              ;   in Loop: Header=BB2_57 Depth=2
	s_and_saveexec_b64 s[88:89], s[16:17]
	s_cbranch_execz .LBB2_186
; %bb.174:                              ;   in Loop: Header=BB2_57 Depth=2
	s_mov_b64 s[92:93], exec
	v_mbcnt_lo_u32_b32 v3, s92, 0
	v_mbcnt_hi_u32_b32 v3, s93, v3
	v_cmp_eq_u32_e32 vcc, 0, v3
	;;#ASMSTART
	s_waitcnt lgkmcnt(0) vmcnt(0)
	;;#ASMEND
	s_and_saveexec_b64 s[90:91], vcc
	s_cbranch_execz .LBB2_176
; %bb.175:                              ;   in Loop: Header=BB2_57 Depth=2
	s_bcnt1_i32_b64 s79, s[92:93]
	v_mov_b32_e32 v14, s79
	v_mov_b32_e32 v15, v2
	s_waitcnt lgkmcnt(0)
	ds_add_u64 v0, v[14:15]
	s_trap 2
.LBB2_176:                              ;   in Loop: Header=BB2_57 Depth=2
	s_or_b64 exec, exec, s[90:91]
	s_trap 2
	ds_read_b64 v[14:15], v0
	s_waitcnt lgkmcnt(0)
	v_add_co_u32_e32 v28, vcc, v28, v21
	v_addc_co_u32_e32 v29, vcc, 0, v29, vcc
	v_cmp_lt_u64_e32 vcc, v[14:15], v[28:29]
	s_and_saveexec_b64 s[90:91], vcc
	s_cbranch_execz .LBB2_185
; %bb.177:                              ;   in Loop: Header=BB2_57 Depth=2
	s_mov_b32 s79, 0
	s_mov_b64 s[92:93], 0
                                        ; implicit-def: $sgpr94_sgpr95
                                        ; implicit-def: $sgpr30_sgpr31
	s_branch .LBB2_179
.LBB2_178:                              ;   in Loop: Header=BB2_179 Depth=3
	s_or_b64 exec, exec, s[36:37]
	s_and_b64 vcc, exec, vcc
	s_or_b64 s[92:93], vcc, s[92:93]
	s_andn2_b64 s[94:95], s[94:95], exec
	s_and_b64 vcc, s[30:31], exec
	s_or_b64 s[94:95], s[94:95], vcc
	s_andn2_b64 exec, exec, s[92:93]
	s_cbranch_execz .LBB2_183
.LBB2_179:                              ;   Parent Loop BB2_47 Depth=1
                                        ;     Parent Loop BB2_57 Depth=2
                                        ; =>    This Inner Loop Header: Depth=3
	s_add_i32 s79, s79, 1
	s_cmpk_lg_i32 s79, 0x2710
	s_cselect_b64 s[34:35], -1, 0
	s_and_b64 vcc, exec, s[34:35]
	s_cbranch_vccz .LBB2_181
; %bb.180:                              ;   in Loop: Header=BB2_179 Depth=3
	s_mov_b64 vcc, -1
	s_or_b64 s[30:31], s[30:31], exec
	s_and_saveexec_b64 s[36:37], s[34:35]
	s_cbranch_execz .LBB2_178
	s_branch .LBB2_182
.LBB2_181:                              ;   in Loop: Header=BB2_179 Depth=3
	s_trap 2
	ds_read_b64 v[14:15], v0
	s_andn2_b64 s[34:35], s[34:35], exec
	s_mov_b32 s79, 0
	s_waitcnt vmcnt(0) lgkmcnt(0)
	flat_load_dword v3, v[14:15] glc
	s_waitcnt vmcnt(0) lgkmcnt(0)
	buffer_wbinvl1_vol
	v_cmp_eq_u32_e32 vcc, 0, v3
	s_and_b64 vcc, vcc, exec
	s_or_b64 s[34:35], s[34:35], vcc
	s_mov_b64 vcc, -1
	s_or_b64 s[30:31], s[30:31], exec
	s_and_saveexec_b64 s[36:37], s[34:35]
	s_cbranch_execz .LBB2_178
.LBB2_182:                              ;   in Loop: Header=BB2_179 Depth=3
	s_sleep 1
	s_trap 2
	ds_read_b64 v[14:15], v0
	s_waitcnt lgkmcnt(0)
	s_andn2_b64 s[30:31], s[30:31], exec
	v_cmp_ge_u64_e32 vcc, v[14:15], v[28:29]
	s_orn2_b64 vcc, vcc, exec
	s_branch .LBB2_178
.LBB2_183:                              ;   in Loop: Header=BB2_57 Depth=2
	s_or_b64 exec, exec, s[92:93]
	s_and_saveexec_b64 s[92:93], s[94:95]
	s_xor_b64 s[92:93], exec, s[92:93]
	s_cbranch_execz .LBB2_185
; %bb.184:                              ;   in Loop: Header=BB2_57 Depth=2
	ds_write_b32 v0, v37
	s_trap 2
.LBB2_185:                              ;   in Loop: Header=BB2_57 Depth=2
	s_or_b64 exec, exec, s[90:91]
	;;#ASMSTART
	s_wakeup
	;;#ASMEND
.LBB2_186:                              ;   in Loop: Header=BB2_57 Depth=2
	s_or_b64 exec, exec, s[88:89]
.LBB2_187:                              ;   in Loop: Header=BB2_57 Depth=2
	s_andn2_saveexec_b64 s[44:45], s[44:45]
	s_cbranch_execz .LBB2_189
; %bb.188:                              ;   in Loop: Header=BB2_57 Depth=2
	;;#ASMSTART
	s_waitcnt lgkmcnt(0) vmcnt(0)
	;;#ASMEND
	s_waitcnt vmcnt(0) lgkmcnt(0)
	s_barrier
.LBB2_189:                              ;   in Loop: Header=BB2_57 Depth=2
	s_or_b64 exec, exec, s[44:45]
	s_or_b64 exec, exec, s[26:27]
	v_cmp_ne_u32_e32 vcc, 0, v0
	s_and_saveexec_b64 s[26:27], vcc
	s_cbranch_execz .LBB2_56
.LBB2_190:                              ;   in Loop: Header=BB2_57 Depth=2
	s_and_saveexec_b64 s[44:45], s[14:15]
	s_cbranch_execz .LBB2_55
; %bb.191:                              ;   in Loop: Header=BB2_57 Depth=2
	flat_store_dword v[26:27], v37
	s_branch .LBB2_55
.LBB2_192:                              ;   in Loop: Header=BB2_47 Depth=1
	s_or_b64 exec, exec, s[40:41]
.LBB2_193:                              ;   in Loop: Header=BB2_47 Depth=1
	s_or_b64 exec, exec, s[28:29]
	v_cmp_gt_i32_e32 vcc, 2, v0
	s_and_saveexec_b64 s[28:29], vcc
	s_cbranch_execz .LBB2_265
; %bb.194:                              ;   in Loop: Header=BB2_47 Depth=1
	v_cmp_eq_u32_e64 s[42:43], 0, v0
	s_mov_b64 s[40:41], 0
	s_branch .LBB2_197
.LBB2_195:                              ;   in Loop: Header=BB2_197 Depth=2
	s_or_b64 exec, exec, s[42:43]
	v_add_co_u32_e32 v50, vcc, 2, v50
	v_addc_co_u32_e32 v51, vcc, 0, v51, vcc
	flat_store_dwordx2 v[22:23], v[50:51]
.LBB2_196:                              ;   in Loop: Header=BB2_197 Depth=2
	s_or_b64 exec, exec, s[26:27]
	v_add_u32_e32 v10, v8, v10
	s_mov_b64 s[42:43], 0
	s_andn2_b64 exec, exec, s[40:41]
	s_cbranch_execz .LBB2_264
.LBB2_197:                              ;   Parent Loop BB2_47 Depth=1
                                        ; =>  This Loop Header: Depth=2
                                        ;       Child Loop BB2_203 Depth 3
                                        ;       Child Loop BB2_227 Depth 3
	;; [unrolled: 1-line block ×3, first 2 shown]
	v_sub_u32_e32 v0, v52, v10
	v_min_i32_e32 v8, v8, v0
	v_and_b32_e32 v0, 8, v62
	v_cmp_ne_u32_e32 vcc, 0, v0
	s_and_saveexec_b64 s[44:45], vcc
	s_cbranch_execz .LBB2_219
; %bb.198:                              ;   in Loop: Header=BB2_197 Depth=2
	s_waitcnt vmcnt(0) lgkmcnt(0)
	v_add_co_u32_e32 v13, vcc, 8, v32
	v_addc_co_u32_e32 v14, vcc, 0, v33, vcc
	v_add_co_u32_e32 v11, vcc, 2, v50
	v_addc_co_u32_e32 v12, vcc, 0, v51, vcc
	v_cmp_lt_u64_e32 vcc, v[13:14], v[11:12]
	s_and_saveexec_b64 s[88:89], vcc
	s_cbranch_execz .LBB2_210
; %bb.199:                              ;   in Loop: Header=BB2_197 Depth=2
	v_and_b32_e32 v0, 64, v62
	s_mov_b32 s58, 0
	v_cmp_eq_u32_e32 vcc, 0, v0
	s_mov_b64 s[90:91], 0
                                        ; implicit-def: $sgpr92_sgpr93
                                        ; implicit-def: $sgpr94_sgpr95
                                        ; implicit-def: $sgpr30_sgpr31
	s_branch .LBB2_203
.LBB2_200:                              ;   in Loop: Header=BB2_203 Depth=3
	s_waitcnt vmcnt(0) lgkmcnt(0)
	v_add_co_u32_e64 v13, s[26:27], 8, v32
	v_addc_co_u32_e64 v14, s[26:27], 0, v33, s[26:27]
	v_cmp_ge_u64_e64 s[26:27], v[13:14], v[11:12]
	s_or_b64 s[38:39], s[38:39], exec
	s_orn2_b64 s[36:37], s[26:27], exec
.LBB2_201:                              ;   in Loop: Header=BB2_203 Depth=3
	s_or_b64 exec, exec, s[50:51]
	s_andn2_b64 s[26:27], s[30:31], exec
	s_and_b64 s[30:31], s[38:39], exec
	s_or_b64 s[30:31], s[26:27], s[30:31]
	s_andn2_b64 s[26:27], s[94:95], exec
	s_and_b64 s[94:95], s[36:37], exec
	s_or_b64 s[94:95], s[26:27], s[94:95]
.LBB2_202:                              ;   in Loop: Header=BB2_203 Depth=3
	s_or_b64 exec, exec, s[34:35]
	s_and_b64 s[26:27], exec, s[94:95]
	s_or_b64 s[90:91], s[26:27], s[90:91]
	s_andn2_b64 s[26:27], s[92:93], exec
	s_and_b64 s[92:93], s[30:31], exec
	s_or_b64 s[92:93], s[26:27], s[92:93]
	s_andn2_b64 exec, exec, s[90:91]
	s_cbranch_execz .LBB2_207
.LBB2_203:                              ;   Parent Loop BB2_47 Depth=1
                                        ;     Parent Loop BB2_197 Depth=2
                                        ; =>    This Inner Loop Header: Depth=3
	s_sleep 1
	s_waitcnt vmcnt(0) lgkmcnt(0)
	flat_load_dwordx2 v[32:33], v[22:23] glc
	s_or_b64 s[30:31], s[30:31], exec
	s_or_b64 s[94:95], s[94:95], exec
                                        ; implicit-def: $vgpr0
	s_and_saveexec_b64 s[34:35], vcc
	s_cbranch_execz .LBB2_202
; %bb.204:                              ;   in Loop: Header=BB2_203 Depth=3
	s_cmpk_lt_i32 s58, 0x270f
	s_cselect_b64 s[48:49], -1, 0
	s_cmpk_gt_i32 s58, 0x270e
	s_mov_b64 s[36:37], -1
	s_cbranch_scc0 .LBB2_206
; %bb.205:                              ;   in Loop: Header=BB2_203 Depth=3
	s_trap 2
	ds_read_b64 v[13:14], v0
	s_andn2_b64 s[48:49], s[48:49], exec
	s_mov_b32 s58, 0
	s_mov_b64 s[38:39], 0
	s_waitcnt vmcnt(0) lgkmcnt(0)
	flat_load_dword v0, v[13:14] glc
	s_waitcnt vmcnt(0) lgkmcnt(0)
	buffer_wbinvl1_vol
	v_cmp_eq_u32_e64 s[26:27], 0, v0
	s_and_b64 s[26:27], s[26:27], exec
	s_or_b64 s[48:49], s[48:49], s[26:27]
	s_and_saveexec_b64 s[50:51], s[48:49]
	s_cbranch_execz .LBB2_201
	s_branch .LBB2_200
.LBB2_206:                              ;   in Loop: Header=BB2_203 Depth=3
	s_add_i32 s58, s58, 1
	s_mov_b64 s[38:39], -1
                                        ; implicit-def: $vgpr0
	s_and_saveexec_b64 s[50:51], s[48:49]
	s_cbranch_execz .LBB2_201
	s_branch .LBB2_200
.LBB2_207:                              ;   in Loop: Header=BB2_197 Depth=2
	s_or_b64 exec, exec, s[90:91]
	s_xor_b64 s[26:27], s[92:93], -1
	s_and_saveexec_b64 s[90:91], s[26:27]
	s_xor_b64 s[26:27], exec, s[90:91]
	s_cbranch_execz .LBB2_209
; %bb.208:                              ;   in Loop: Header=BB2_197 Depth=2
	v_or_b32_e32 v62, 64, v62
	s_waitcnt lgkmcnt(0)
	ds_write_b32 v0, v0
	s_trap 2
.LBB2_209:                              ;   in Loop: Header=BB2_197 Depth=2
	s_or_b64 exec, exec, s[26:27]
.LBB2_210:                              ;   in Loop: Header=BB2_197 Depth=2
	s_or_b64 exec, exec, s[88:89]
	v_and_b32_e32 v0, 0x100, v62
	v_cmp_ne_u32_e32 vcc, 0, v0
	v_and_b32_e32 v0, 7, v50
	s_mov_b64 s[26:27], -1
	;;#ASMSTART
	s_wakeup
	;;#ASMEND
                                        ; implicit-def: $vgpr13_vgpr14
	s_and_saveexec_b64 s[88:89], vcc
	s_cbranch_execz .LBB2_214
; %bb.211:                              ;   in Loop: Header=BB2_197 Depth=2
	v_mad_u64_u32 v[18:19], s[26:27], v0, 24, v[6:7]
	v_ashrrev_i32_e32 v9, 31, v8
	v_lshlrev_b64 v[13:14], 1, v[8:9]
	flat_load_dword v3, v[18:19]
	s_waitcnt vmcnt(0) lgkmcnt(0)
	v_cmp_ne_u32_e32 vcc, 1, v3
	v_cmp_eq_u32_e64 s[26:27], 1, v3
	flat_store_dwordx2 v[18:19], v[13:14] offset:8
                                        ; implicit-def: $vgpr13_vgpr14
	s_and_saveexec_b64 s[90:91], s[26:27]
	s_cbranch_execz .LBB2_213
; %bb.212:                              ;   in Loop: Header=BB2_197 Depth=2
	flat_load_dword v13, v[18:19] offset:4 glc
	s_waitcnt vmcnt(0) lgkmcnt(0)
	v_ashrrev_i32_e32 v14, 31, v13
	v_lshrrev_b64 v[13:14], 1, v[13:14]
.LBB2_213:                              ;   in Loop: Header=BB2_197 Depth=2
	s_or_b64 exec, exec, s[90:91]
	s_orn2_b64 s[26:27], vcc, exec
.LBB2_214:                              ;   in Loop: Header=BB2_197 Depth=2
	s_or_b64 exec, exec, s[88:89]
	s_and_saveexec_b64 s[88:89], s[26:27]
; %bb.215:                              ;   in Loop: Header=BB2_197 Depth=2
	v_mad_i64_i32 v[13:14], s[26:27], v0, v30, 0
; %bb.216:                              ;   in Loop: Header=BB2_197 Depth=2
	s_or_b64 exec, exec, s[88:89]
	v_lshlrev_b64 v[13:14], 1, v[13:14]
	v_add_co_u32_e32 v13, vcc, v24, v13
	v_addc_co_u32_e32 v14, vcc, v25, v14, vcc
	ds_write_b64 v0, v[13:14] offset:784
	v_and_b32_e32 v0, 0x2000, v62
	v_cmp_ne_u32_e32 vcc, 0, v0
	s_and_saveexec_b64 s[26:27], vcc
	s_cbranch_execz .LBB2_218
; %bb.217:                              ;   in Loop: Header=BB2_197 Depth=2
	ds_read_b64 v[13:14], v0 offset:872
	s_waitcnt lgkmcnt(0)
	v_add_co_u32_e32 v13, vcc, 1, v13
	v_addc_co_u32_e32 v14, vcc, 0, v14, vcc
	ds_write_b64 v0, v[13:14] offset:872
.LBB2_218:                              ;   in Loop: Header=BB2_197 Depth=2
	s_or_b64 exec, exec, s[26:27]
	v_mov_b32_e32 v51, v12
	v_mov_b32_e32 v50, v11
.LBB2_219:                              ;   in Loop: Header=BB2_197 Depth=2
	s_or_b64 exec, exec, s[44:45]
	s_xor_b64 s[26:27], s[42:43], -1
	s_and_b64 s[26:27], exec, s[26:27]
	s_or_b64 s[40:41], s[26:27], s[40:41]
	s_and_saveexec_b64 s[26:27], s[10:11]
	s_cbranch_execz .LBB2_238
; %bb.220:                              ;   in Loop: Header=BB2_197 Depth=2
	s_and_saveexec_b64 s[42:43], s[60:61]
	s_xor_b64 s[42:43], exec, s[42:43]
	s_cbranch_execz .LBB2_235
; %bb.221:                              ;   in Loop: Header=BB2_197 Depth=2
	s_and_saveexec_b64 s[44:45], s[16:17]
	s_cbranch_execz .LBB2_234
; %bb.222:                              ;   in Loop: Header=BB2_197 Depth=2
	s_mov_b64 s[90:91], exec
	v_mbcnt_lo_u32_b32 v0, s90, 0
	v_mbcnt_hi_u32_b32 v0, s91, v0
	v_cmp_eq_u32_e32 vcc, 0, v0
	s_waitcnt vmcnt(0) lgkmcnt(0)
	buffer_wbinvl1_vol
	s_and_saveexec_b64 s[88:89], vcc
	s_cbranch_execz .LBB2_224
; %bb.223:                              ;   in Loop: Header=BB2_197 Depth=2
	s_bcnt1_i32_b64 s58, s[90:91]
	v_mov_b32_e32 v11, s58
	v_mov_b32_e32 v12, v2
	ds_add_u64 v0, v[11:12]
	s_trap 2
.LBB2_224:                              ;   in Loop: Header=BB2_197 Depth=2
	s_or_b64 exec, exec, s[88:89]
	s_trap 2
	ds_read_b64 v[11:12], v0
	s_waitcnt lgkmcnt(0)
	v_add_co_u32_e32 v28, vcc, v28, v21
	v_addc_co_u32_e32 v29, vcc, 0, v29, vcc
	v_cmp_lt_u64_e32 vcc, v[11:12], v[28:29]
	s_and_saveexec_b64 s[88:89], vcc
	s_cbranch_execz .LBB2_233
; %bb.225:                              ;   in Loop: Header=BB2_197 Depth=2
	s_mov_b32 s58, 0
	s_mov_b64 s[90:91], 0
                                        ; implicit-def: $sgpr92_sgpr93
                                        ; implicit-def: $sgpr94_sgpr95
	s_branch .LBB2_227
.LBB2_226:                              ;   in Loop: Header=BB2_227 Depth=3
	s_or_b64 exec, exec, s[34:35]
	s_and_b64 vcc, exec, vcc
	s_or_b64 s[90:91], vcc, s[90:91]
	s_andn2_b64 s[92:93], s[92:93], exec
	s_and_b64 vcc, s[94:95], exec
	s_or_b64 s[92:93], s[92:93], vcc
	s_andn2_b64 exec, exec, s[90:91]
	s_cbranch_execz .LBB2_231
.LBB2_227:                              ;   Parent Loop BB2_47 Depth=1
                                        ;     Parent Loop BB2_197 Depth=2
                                        ; =>    This Inner Loop Header: Depth=3
	s_add_i32 s58, s58, 1
	s_cmpk_lg_i32 s58, 0x2710
	s_cselect_b64 s[30:31], -1, 0
	s_and_b64 vcc, exec, s[30:31]
	s_cbranch_vccz .LBB2_229
; %bb.228:                              ;   in Loop: Header=BB2_227 Depth=3
	s_mov_b64 vcc, -1
	s_or_b64 s[94:95], s[94:95], exec
	s_and_saveexec_b64 s[34:35], s[30:31]
	s_cbranch_execz .LBB2_226
	s_branch .LBB2_230
.LBB2_229:                              ;   in Loop: Header=BB2_227 Depth=3
	s_trap 2
	ds_read_b64 v[11:12], v0
	s_andn2_b64 s[30:31], s[30:31], exec
	s_mov_b32 s58, 0
	s_waitcnt lgkmcnt(0)
	flat_load_dword v0, v[11:12] glc
	s_waitcnt vmcnt(0) lgkmcnt(0)
	buffer_wbinvl1_vol
	v_cmp_eq_u32_e32 vcc, 0, v0
	s_and_b64 vcc, vcc, exec
	s_or_b64 s[30:31], s[30:31], vcc
	s_mov_b64 vcc, -1
	s_or_b64 s[94:95], s[94:95], exec
	s_and_saveexec_b64 s[34:35], s[30:31]
	s_cbranch_execz .LBB2_226
.LBB2_230:                              ;   in Loop: Header=BB2_227 Depth=3
	s_sleep 1
	s_trap 2
	ds_read_b64 v[11:12], v0
	s_waitcnt lgkmcnt(0)
	s_andn2_b64 s[94:95], s[94:95], exec
	v_cmp_ge_u64_e32 vcc, v[11:12], v[28:29]
	s_orn2_b64 vcc, vcc, exec
	s_branch .LBB2_226
.LBB2_231:                              ;   in Loop: Header=BB2_197 Depth=2
	s_or_b64 exec, exec, s[90:91]
	s_and_saveexec_b64 s[90:91], s[92:93]
	s_xor_b64 s[90:91], exec, s[90:91]
	s_cbranch_execz .LBB2_233
; %bb.232:                              ;   in Loop: Header=BB2_197 Depth=2
	ds_write_b32 v0, v37
	s_trap 2
.LBB2_233:                              ;   in Loop: Header=BB2_197 Depth=2
	s_or_b64 exec, exec, s[88:89]
	;;#ASMSTART
	s_wakeup
	;;#ASMEND
.LBB2_234:                              ;   in Loop: Header=BB2_197 Depth=2
	s_or_b64 exec, exec, s[44:45]
.LBB2_235:                              ;   in Loop: Header=BB2_197 Depth=2
	s_andn2_saveexec_b64 s[42:43], s[42:43]
	s_cbranch_execz .LBB2_237
; %bb.236:                              ;   in Loop: Header=BB2_197 Depth=2
	s_waitcnt vmcnt(0) lgkmcnt(0)
	buffer_wbinvl1_vol
	s_barrier
.LBB2_237:                              ;   in Loop: Header=BB2_197 Depth=2
	s_or_b64 exec, exec, s[42:43]
.LBB2_238:                              ;   in Loop: Header=BB2_197 Depth=2
	s_or_b64 exec, exec, s[26:27]
	v_and_b32_e32 v0, 16, v62
	s_and_saveexec_b64 s[26:27], s[24:25]
	s_xor_b64 s[26:27], exec, s[26:27]
	s_cbranch_execz .LBB2_243
; %bb.239:                              ;   in Loop: Header=BB2_197 Depth=2
	s_trap 2
	ds_read_b32 v0, v0
	v_cmp_lt_i32_e32 vcc, 0, v8
	v_and_b32_e32 v3, 16, v62
	s_waitcnt lgkmcnt(0)
	v_readfirstlane_b32 s42, v0
	s_cmp_eq_u32 s42, 0
	s_cselect_b64 s[42:43], -1, 0
	s_and_b64 s[42:43], vcc, s[42:43]
	v_cmp_ne_u32_e32 vcc, 0, v3
	v_and_b32_e32 v0, 16, v62
	s_and_b64 s[44:45], vcc, s[42:43]
	s_and_saveexec_b64 s[42:43], s[44:45]
	s_cbranch_execz .LBB2_241
; %bb.240:                              ;   in Loop: Header=BB2_197 Depth=2
	v_mov_b32_e32 v0, 1
	s_waitcnt vmcnt(0)
	buffer_wbinvl1_vol
.LBB2_241:                              ;   in Loop: Header=BB2_197 Depth=2
	s_or_b64 exec, exec, s[42:43]
	s_andn2_saveexec_b64 s[26:27], s[26:27]
	s_cbranch_execnz .LBB2_244
.LBB2_242:                              ;   in Loop: Header=BB2_197 Depth=2
	s_or_b64 exec, exec, s[26:27]
	v_cmp_ne_u32_e32 vcc, 0, v0
	s_and_saveexec_b64 s[26:27], vcc
	s_cbranch_execz .LBB2_196
	s_branch .LBB2_262
.LBB2_243:                              ;   in Loop: Header=BB2_197 Depth=2
	s_andn2_saveexec_b64 s[26:27], s[26:27]
	s_cbranch_execz .LBB2_242
.LBB2_244:                              ;   in Loop: Header=BB2_197 Depth=2
	s_and_saveexec_b64 s[42:43], s[60:61]
	s_xor_b64 s[42:43], exec, s[42:43]
	s_cbranch_execz .LBB2_259
; %bb.245:                              ;   in Loop: Header=BB2_197 Depth=2
	s_and_saveexec_b64 s[44:45], s[16:17]
	s_cbranch_execz .LBB2_258
; %bb.246:                              ;   in Loop: Header=BB2_197 Depth=2
	s_mov_b64 s[90:91], exec
	v_mbcnt_lo_u32_b32 v3, s90, 0
	v_mbcnt_hi_u32_b32 v3, s91, v3
	v_cmp_eq_u32_e32 vcc, 0, v3
	;;#ASMSTART
	s_waitcnt lgkmcnt(0) vmcnt(0)
	;;#ASMEND
	s_and_saveexec_b64 s[88:89], vcc
	s_cbranch_execz .LBB2_248
; %bb.247:                              ;   in Loop: Header=BB2_197 Depth=2
	s_bcnt1_i32_b64 s58, s[90:91]
	v_mov_b32_e32 v11, s58
	v_mov_b32_e32 v12, v2
	s_waitcnt lgkmcnt(0)
	ds_add_u64 v0, v[11:12]
	s_trap 2
.LBB2_248:                              ;   in Loop: Header=BB2_197 Depth=2
	s_or_b64 exec, exec, s[88:89]
	s_trap 2
	ds_read_b64 v[11:12], v0
	s_waitcnt lgkmcnt(0)
	v_add_co_u32_e32 v28, vcc, v28, v21
	v_addc_co_u32_e32 v29, vcc, 0, v29, vcc
	v_cmp_lt_u64_e32 vcc, v[11:12], v[28:29]
	s_and_saveexec_b64 s[88:89], vcc
	s_cbranch_execz .LBB2_257
; %bb.249:                              ;   in Loop: Header=BB2_197 Depth=2
	s_mov_b32 s58, 0
	s_mov_b64 s[90:91], 0
                                        ; implicit-def: $sgpr92_sgpr93
                                        ; implicit-def: $sgpr94_sgpr95
	s_branch .LBB2_251
.LBB2_250:                              ;   in Loop: Header=BB2_251 Depth=3
	s_or_b64 exec, exec, s[34:35]
	s_and_b64 vcc, exec, vcc
	s_or_b64 s[90:91], vcc, s[90:91]
	s_andn2_b64 s[92:93], s[92:93], exec
	s_and_b64 vcc, s[94:95], exec
	s_or_b64 s[92:93], s[92:93], vcc
	s_andn2_b64 exec, exec, s[90:91]
	s_cbranch_execz .LBB2_255
.LBB2_251:                              ;   Parent Loop BB2_47 Depth=1
                                        ;     Parent Loop BB2_197 Depth=2
                                        ; =>    This Inner Loop Header: Depth=3
	s_add_i32 s58, s58, 1
	s_cmpk_lg_i32 s58, 0x2710
	s_cselect_b64 s[30:31], -1, 0
	s_and_b64 vcc, exec, s[30:31]
	s_cbranch_vccz .LBB2_253
; %bb.252:                              ;   in Loop: Header=BB2_251 Depth=3
	s_mov_b64 vcc, -1
	s_or_b64 s[94:95], s[94:95], exec
	s_and_saveexec_b64 s[34:35], s[30:31]
	s_cbranch_execz .LBB2_250
	s_branch .LBB2_254
.LBB2_253:                              ;   in Loop: Header=BB2_251 Depth=3
	s_trap 2
	ds_read_b64 v[11:12], v0
	s_andn2_b64 s[30:31], s[30:31], exec
	s_mov_b32 s58, 0
	s_waitcnt vmcnt(0) lgkmcnt(0)
	flat_load_dword v3, v[11:12] glc
	s_waitcnt vmcnt(0) lgkmcnt(0)
	buffer_wbinvl1_vol
	v_cmp_eq_u32_e32 vcc, 0, v3
	s_and_b64 vcc, vcc, exec
	s_or_b64 s[30:31], s[30:31], vcc
	s_mov_b64 vcc, -1
	s_or_b64 s[94:95], s[94:95], exec
	s_and_saveexec_b64 s[34:35], s[30:31]
	s_cbranch_execz .LBB2_250
.LBB2_254:                              ;   in Loop: Header=BB2_251 Depth=3
	s_sleep 1
	s_trap 2
	ds_read_b64 v[11:12], v0
	s_waitcnt lgkmcnt(0)
	s_andn2_b64 s[94:95], s[94:95], exec
	v_cmp_ge_u64_e32 vcc, v[11:12], v[28:29]
	s_orn2_b64 vcc, vcc, exec
	s_branch .LBB2_250
.LBB2_255:                              ;   in Loop: Header=BB2_197 Depth=2
	s_or_b64 exec, exec, s[90:91]
	s_and_saveexec_b64 s[90:91], s[92:93]
	s_xor_b64 s[90:91], exec, s[90:91]
	s_cbranch_execz .LBB2_257
; %bb.256:                              ;   in Loop: Header=BB2_197 Depth=2
	ds_write_b32 v0, v37
	s_trap 2
.LBB2_257:                              ;   in Loop: Header=BB2_197 Depth=2
	s_or_b64 exec, exec, s[88:89]
	;;#ASMSTART
	s_wakeup
	;;#ASMEND
.LBB2_258:                              ;   in Loop: Header=BB2_197 Depth=2
	s_or_b64 exec, exec, s[44:45]
.LBB2_259:                              ;   in Loop: Header=BB2_197 Depth=2
	s_andn2_saveexec_b64 s[42:43], s[42:43]
	s_cbranch_execz .LBB2_261
; %bb.260:                              ;   in Loop: Header=BB2_197 Depth=2
	;;#ASMSTART
	s_waitcnt lgkmcnt(0) vmcnt(0)
	;;#ASMEND
	s_waitcnt vmcnt(0) lgkmcnt(0)
	s_barrier
.LBB2_261:                              ;   in Loop: Header=BB2_197 Depth=2
	s_or_b64 exec, exec, s[42:43]
	s_or_b64 exec, exec, s[26:27]
	v_cmp_ne_u32_e32 vcc, 0, v0
	s_and_saveexec_b64 s[26:27], vcc
	s_cbranch_execz .LBB2_196
.LBB2_262:                              ;   in Loop: Header=BB2_197 Depth=2
	s_and_saveexec_b64 s[42:43], s[14:15]
	s_cbranch_execz .LBB2_195
; %bb.263:                              ;   in Loop: Header=BB2_197 Depth=2
	flat_store_dword v[26:27], v37
	s_branch .LBB2_195
.LBB2_264:                              ;   in Loop: Header=BB2_47 Depth=1
	s_or_b64 exec, exec, s[40:41]
.LBB2_265:                              ;   in Loop: Header=BB2_47 Depth=1
	s_or_b64 exec, exec, s[28:29]
	v_cndmask_b32_e64 v0, 0, 1, s[72:73]
	v_cmp_ne_u32_e64 s[26:27], 1, v0
	s_andn2_b64 vcc, exec, s[72:73]
	s_cbranch_vccnz .LBB2_572
; %bb.266:                              ;   in Loop: Header=BB2_47 Depth=1
	s_mov_b32 s79, 2
	s_branch .LBB2_269
.LBB2_267:                              ;   in Loop: Header=BB2_269 Depth=2
	s_or_b64 exec, exec, s[42:43]
.LBB2_268:                              ;   in Loop: Header=BB2_269 Depth=2
	s_or_b64 exec, exec, s[40:41]
	s_add_i32 s79, s79, 1
	s_cmp_eq_u32 s79, s54
	s_cbranch_scc1 .LBB2_572
.LBB2_269:                              ;   Parent Loop BB2_47 Depth=1
                                        ; =>  This Loop Header: Depth=2
                                        ;       Child Loop BB2_272 Depth 3
                                        ;         Child Loop BB2_280 Depth 4
                                        ;         Child Loop BB2_308 Depth 4
	;; [unrolled: 1-line block ×9, first 2 shown]
                                        ;       Child Loop BB2_500 Depth 3
                                        ;         Child Loop BB2_506 Depth 4
                                        ;         Child Loop BB2_534 Depth 4
	;; [unrolled: 1-line block ×3, first 2 shown]
	buffer_load_dword v12, off, s[0:3], s33 offset:92 ; 4-byte Folded Reload
	buffer_load_dword v13, off, s[0:3], s33 offset:96 ; 4-byte Folded Reload
	buffer_load_dword v10, off, s[0:3], s33 offset:80 ; 4-byte Folded Reload
	buffer_load_dword v11, off, s[0:3], s33 offset:84 ; 4-byte Folded Reload
	s_sub_i32 s28, s70, s79
	s_cmp_ge_i32 s28, s54
	s_cselect_b32 s29, s54, 0
	s_sub_i32 s28, s28, s29
	s_ashr_i32 s40, s28, 31
	v_mov_b32_e32 v42, 0
	s_waitcnt vmcnt(0)
	v_mul_lo_u32 v3, v12, s40
	v_mul_lo_u32 v0, v13, s28
	v_mad_u64_u32 v[8:9], s[28:29], v12, s28, 0
	v_add3_u32 v9, v9, v3, v0
	v_sub_co_u32_e32 v10, vcc, v10, v8
	v_subb_co_u32_e32 v11, vcc, v11, v9, vcc
	v_cmp_lt_i64_e32 vcc, v[12:13], v[10:11]
	v_cndmask_b32_e32 v0, v10, v12, vcc
	v_max_i32_e32 v52, 0, v0
	v_add_u32_e32 v3, 31, v52
	v_lshrrev_b32_e32 v3, 1, v3
	v_and_b32_e32 v3, 0x3ffffff0, v3
	v_cmp_lt_i32_e32 vcc, 0, v0
	v_max_i32_e32 v40, s81, v3
	s_and_b64 s[28:29], s[76:77], vcc
	v_mov_b32_e32 v0, 0
	s_and_saveexec_b64 s[42:43], s[28:29]
	s_cbranch_execz .LBB2_497
; %bb.270:                              ;   in Loop: Header=BB2_269 Depth=2
	v_lshlrev_b64 v[44:45], 1, v[8:9]
	s_mov_b32 s85, 1
	s_mov_b64 s[88:89], -1
	v_mov_b32_e32 v42, 0
	s_mov_b64 s[44:45], 0
	s_branch .LBB2_272
.LBB2_271:                              ;   in Loop: Header=BB2_272 Depth=3
	s_or_b64 exec, exec, s[28:29]
	v_add_u32_e32 v42, v40, v42
	v_cmp_ge_i32_e32 vcc, v42, v52
	s_xor_b64 s[28:29], s[88:89], -1
	s_or_b64 s[28:29], s[28:29], vcc
	s_and_b64 s[28:29], exec, s[28:29]
	s_or_b64 s[44:45], s[28:29], s[44:45]
	s_mov_b64 s[88:89], 0
	v_mov_b32_e32 v0, s85
	s_mov_b32 s85, 2
	s_andn2_b64 exec, exec, s[44:45]
	s_cbranch_execz .LBB2_496
.LBB2_272:                              ;   Parent Loop BB2_47 Depth=1
                                        ;     Parent Loop BB2_269 Depth=2
                                        ; =>    This Loop Header: Depth=3
                                        ;         Child Loop BB2_280 Depth 4
                                        ;         Child Loop BB2_308 Depth 4
	;; [unrolled: 1-line block ×9, first 2 shown]
	s_and_saveexec_b64 s[28:29], s[4:5]
	s_cbranch_execz .LBB2_274
; %bb.273:                              ;   in Loop: Header=BB2_272 Depth=3
	s_trap 2
	ds_read_b64 v[8:9], v0
	buffer_load_dword v10, off, s[0:3], s33 offset:60 ; 4-byte Folded Reload
	buffer_load_dword v11, off, s[0:3], s33 offset:64 ; 4-byte Folded Reload
	v_ashrrev_i32_e32 v43, 31, v42
	s_waitcnt vmcnt(0)
	v_lshlrev_b64 v[10:11], 1, v[10:11]
	s_waitcnt lgkmcnt(0)
	v_add_co_u32_e32 v0, vcc, v8, v10
	v_addc_co_u32_e32 v3, vcc, v9, v11, vcc
	v_add_co_u32_e32 v0, vcc, v0, v44
	v_lshlrev_b64 v[8:9], 1, v[42:43]
	v_addc_co_u32_e32 v3, vcc, v3, v45, vcc
	v_add_co_u32_e32 v8, vcc, v0, v8
	v_addc_co_u32_e32 v9, vcc, v3, v9, vcc
	v_mov_b32_e32 v3, v2
	ds_write_b64 v0, v[8:9]
	ds_write_b64 v0, v[2:3]
.LBB2_274:                              ;   in Loop: Header=BB2_272 Depth=3
	s_or_b64 exec, exec, s[28:29]
	v_sub_u32_e32 v0, v52, v42
	v_min_i32_e32 v40, v40, v0
	v_and_b32_e32 v0, 12, v62
	v_cmp_ne_u32_e32 vcc, 0, v0
	s_and_saveexec_b64 s[40:41], vcc
	s_cbranch_execz .LBB2_300
; %bb.275:                              ;   in Loop: Header=BB2_272 Depth=3
	v_and_b32_e32 v0, 8, v62
	s_waitcnt vmcnt(0) lgkmcnt(0)
	v_add_co_u32_e32 v10, vcc, v32, v0
	v_addc_co_u32_e32 v11, vcc, 0, v33, vcc
	v_add_co_u32_e32 v8, vcc, 2, v50
	v_addc_co_u32_e32 v9, vcc, 0, v51, vcc
	v_cmp_lt_u64_e32 vcc, v[10:11], v[8:9]
	s_and_saveexec_b64 s[90:91], vcc
	s_cbranch_execz .LBB2_287
; %bb.276:                              ;   in Loop: Header=BB2_272 Depth=3
	v_and_b32_e32 v3, 64, v62
	s_mov_b32 s58, 0
	v_cmp_eq_u32_e32 vcc, 0, v3
	s_mov_b64 s[92:93], 0
                                        ; implicit-def: $sgpr94_sgpr95
                                        ; implicit-def: $sgpr30_sgpr31
                                        ; implicit-def: $sgpr34_sgpr35
	s_branch .LBB2_280
.LBB2_277:                              ;   in Loop: Header=BB2_280 Depth=4
	s_waitcnt vmcnt(0) lgkmcnt(0)
	v_add_co_u32_e64 v10, s[28:29], v32, v0
	v_addc_co_u32_e64 v11, s[28:29], 0, v33, s[28:29]
	v_cmp_ge_u64_e64 s[28:29], v[10:11], v[8:9]
	s_or_b64 s[48:49], s[48:49], exec
	s_orn2_b64 s[38:39], s[28:29], exec
.LBB2_278:                              ;   in Loop: Header=BB2_280 Depth=4
	s_or_b64 exec, exec, s[52:53]
	s_andn2_b64 s[28:29], s[34:35], exec
	s_and_b64 s[34:35], s[48:49], exec
	s_or_b64 s[34:35], s[28:29], s[34:35]
	s_andn2_b64 s[28:29], s[30:31], exec
	s_and_b64 s[30:31], s[38:39], exec
	s_or_b64 s[30:31], s[28:29], s[30:31]
.LBB2_279:                              ;   in Loop: Header=BB2_280 Depth=4
	s_or_b64 exec, exec, s[36:37]
	s_and_b64 s[28:29], exec, s[30:31]
	s_or_b64 s[92:93], s[28:29], s[92:93]
	s_andn2_b64 s[28:29], s[94:95], exec
	s_and_b64 s[94:95], s[34:35], exec
	s_or_b64 s[94:95], s[28:29], s[94:95]
	s_andn2_b64 exec, exec, s[92:93]
	s_cbranch_execz .LBB2_284
.LBB2_280:                              ;   Parent Loop BB2_47 Depth=1
                                        ;     Parent Loop BB2_269 Depth=2
                                        ;       Parent Loop BB2_272 Depth=3
                                        ; =>      This Inner Loop Header: Depth=4
	s_sleep 1
	s_waitcnt vmcnt(0) lgkmcnt(0)
	flat_load_dwordx2 v[32:33], v[22:23] glc
	s_or_b64 s[34:35], s[34:35], exec
	s_or_b64 s[30:31], s[30:31], exec
                                        ; implicit-def: $vgpr3
	s_and_saveexec_b64 s[36:37], vcc
	s_cbranch_execz .LBB2_279
; %bb.281:                              ;   in Loop: Header=BB2_280 Depth=4
	s_cmpk_lt_i32 s58, 0x270f
	s_cselect_b64 s[50:51], -1, 0
	s_cmpk_gt_i32 s58, 0x270e
	s_mov_b64 s[38:39], -1
	s_cbranch_scc0 .LBB2_283
; %bb.282:                              ;   in Loop: Header=BB2_280 Depth=4
	s_trap 2
	ds_read_b64 v[10:11], v0
	s_andn2_b64 s[50:51], s[50:51], exec
	s_mov_b32 s58, 0
	s_mov_b64 s[48:49], 0
	s_waitcnt vmcnt(0) lgkmcnt(0)
	flat_load_dword v3, v[10:11] glc
	s_waitcnt vmcnt(0) lgkmcnt(0)
	buffer_wbinvl1_vol
	v_cmp_eq_u32_e64 s[28:29], 0, v3
	s_and_b64 s[28:29], s[28:29], exec
	s_or_b64 s[50:51], s[50:51], s[28:29]
	s_and_saveexec_b64 s[52:53], s[50:51]
	s_cbranch_execz .LBB2_278
	s_branch .LBB2_277
.LBB2_283:                              ;   in Loop: Header=BB2_280 Depth=4
	s_add_i32 s58, s58, 1
	s_mov_b64 s[48:49], -1
                                        ; implicit-def: $vgpr3
	s_and_saveexec_b64 s[52:53], s[50:51]
	s_cbranch_execz .LBB2_278
	s_branch .LBB2_277
.LBB2_284:                              ;   in Loop: Header=BB2_272 Depth=3
	s_or_b64 exec, exec, s[92:93]
	s_xor_b64 s[28:29], s[94:95], -1
	s_and_saveexec_b64 s[92:93], s[28:29]
	s_xor_b64 s[28:29], exec, s[92:93]
	s_cbranch_execz .LBB2_286
; %bb.285:                              ;   in Loop: Header=BB2_272 Depth=3
	v_or_b32_e32 v62, 64, v62
	s_waitcnt lgkmcnt(0)
	ds_write_b32 v0, v3
	s_trap 2
.LBB2_286:                              ;   in Loop: Header=BB2_272 Depth=3
	s_or_b64 exec, exec, s[28:29]
.LBB2_287:                              ;   in Loop: Header=BB2_272 Depth=3
	s_or_b64 exec, exec, s[90:91]
	v_and_b32_e32 v3, 0x108, v62
	v_cmp_ne_u32_e32 vcc, s64, v3
	;;#ASMSTART
	s_wakeup
	;;#ASMEND
                                        ; implicit-def: $vgpr10_vgpr11
	s_and_saveexec_b64 s[28:29], vcc
	s_xor_b64 s[28:29], exec, s[28:29]
; %bb.288:                              ;   in Loop: Header=BB2_272 Depth=3
	v_and_b32_e32 v10, 7, v50
	v_mov_b32_e32 v11, v2
                                        ; implicit-def: $vgpr50_vgpr51
; %bb.289:                              ;   in Loop: Header=BB2_272 Depth=3
	s_andn2_saveexec_b64 s[28:29], s[28:29]
	s_cbranch_execz .LBB2_291
; %bb.290:                              ;   in Loop: Header=BB2_272 Depth=3
	v_and_b32_e32 v10, 7, v50
	v_mad_u64_u32 v[12:13], s[90:91], v10, 24, v[6:7]
	v_ashrrev_i32_e32 v41, 31, v40
	v_lshlrev_b64 v[14:15], 1, v[40:41]
	v_mov_b32_e32 v11, v2
	flat_store_dwordx2 v[12:13], v[14:15] offset:8
.LBB2_291:                              ;   in Loop: Header=BB2_272 Depth=3
	s_or_b64 exec, exec, s[28:29]
	v_and_b32_e32 v3, 0x100, v62
	v_cmp_ne_u32_e32 vcc, 0, v3
	s_mov_b64 s[28:29], -1
                                        ; implicit-def: $vgpr12_vgpr13
	s_and_saveexec_b64 s[90:91], vcc
	s_cbranch_execz .LBB2_295
; %bb.292:                              ;   in Loop: Header=BB2_272 Depth=3
	v_mad_u64_u32 v[14:15], s[28:29], v10, 24, v[6:7]
	v_mov_b32_e32 v3, v15
	v_mad_u64_u32 v[12:13], s[28:29], v11, 24, v[3:4]
	v_mov_b32_e32 v15, v12
	flat_load_dword v3, v[14:15]
                                        ; implicit-def: $vgpr12_vgpr13
	s_waitcnt vmcnt(0) lgkmcnt(0)
	v_cmp_ne_u32_e32 vcc, 1, v3
	v_cmp_eq_u32_e64 s[28:29], 1, v3
	s_and_saveexec_b64 s[92:93], s[28:29]
	s_cbranch_execz .LBB2_294
; %bb.293:                              ;   in Loop: Header=BB2_272 Depth=3
	flat_load_dword v12, v[14:15] offset:4 glc
	s_waitcnt vmcnt(0) lgkmcnt(0)
	v_ashrrev_i32_e32 v13, 31, v12
	v_lshrrev_b64 v[12:13], 1, v[12:13]
.LBB2_294:                              ;   in Loop: Header=BB2_272 Depth=3
	s_or_b64 exec, exec, s[92:93]
	s_orn2_b64 s[28:29], vcc, exec
.LBB2_295:                              ;   in Loop: Header=BB2_272 Depth=3
	s_or_b64 exec, exec, s[90:91]
	s_and_saveexec_b64 s[90:91], s[28:29]
	s_cbranch_execz .LBB2_297
; %bb.296:                              ;   in Loop: Header=BB2_272 Depth=3
	v_mul_lo_u32 v3, v11, v30
	v_mul_lo_u32 v11, v10, v60
	v_mad_u64_u32 v[12:13], s[28:29], v10, v30, 0
	v_add3_u32 v13, v13, v11, v3
.LBB2_297:                              ;   in Loop: Header=BB2_272 Depth=3
	s_or_b64 exec, exec, s[90:91]
	v_lshlrev_b64 v[10:11], 1, v[12:13]
	v_cmp_eq_u32_e32 vcc, 0, v0
	v_mov_b32_e32 v0, 0x90
	v_cndmask_b32_e32 v0, v58, v0, vcc
	v_add_co_u32_e32 v10, vcc, v24, v10
	v_addc_co_u32_e32 v11, vcc, v25, v11, vcc
	v_add_u32_e32 v0, v0, v0
	ds_write_b64 v0, v[10:11] offset:584
	v_and_b32_e32 v0, 0x2000, v62
	v_cmp_ne_u32_e32 vcc, 0, v0
	s_and_saveexec_b64 s[28:29], vcc
	s_cbranch_execz .LBB2_299
; %bb.298:                              ;   in Loop: Header=BB2_272 Depth=3
	ds_read_b64 v[10:11], v0 offset:872
	s_waitcnt lgkmcnt(0)
	v_add_co_u32_e32 v10, vcc, 1, v10
	v_addc_co_u32_e32 v11, vcc, 0, v11, vcc
	ds_write_b64 v0, v[10:11] offset:872
.LBB2_299:                              ;   in Loop: Header=BB2_272 Depth=3
	s_or_b64 exec, exec, s[28:29]
	v_mov_b32_e32 v51, v9
	v_mov_b32_e32 v50, v8
.LBB2_300:                              ;   in Loop: Header=BB2_272 Depth=3
	s_or_b64 exec, exec, s[40:41]
	s_and_saveexec_b64 s[28:29], s[10:11]
	s_cbranch_execz .LBB2_319
; %bb.301:                              ;   in Loop: Header=BB2_272 Depth=3
	s_and_saveexec_b64 s[40:41], s[60:61]
	s_xor_b64 s[40:41], exec, s[40:41]
	s_cbranch_execz .LBB2_316
; %bb.302:                              ;   in Loop: Header=BB2_272 Depth=3
	s_and_saveexec_b64 s[90:91], s[16:17]
	s_cbranch_execz .LBB2_315
; %bb.303:                              ;   in Loop: Header=BB2_272 Depth=3
	s_mov_b64 s[94:95], exec
	v_mbcnt_lo_u32_b32 v0, s94, 0
	v_mbcnt_hi_u32_b32 v0, s95, v0
	v_cmp_eq_u32_e32 vcc, 0, v0
	s_waitcnt vmcnt(0) lgkmcnt(0)
	buffer_wbinvl1_vol
	s_and_saveexec_b64 s[92:93], vcc
	s_cbranch_execz .LBB2_305
; %bb.304:                              ;   in Loop: Header=BB2_272 Depth=3
	s_bcnt1_i32_b64 s58, s[94:95]
	v_mov_b32_e32 v8, s58
	v_mov_b32_e32 v9, v2
	ds_add_u64 v0, v[8:9]
	s_trap 2
.LBB2_305:                              ;   in Loop: Header=BB2_272 Depth=3
	s_or_b64 exec, exec, s[92:93]
	s_trap 2
	ds_read_b64 v[8:9], v0
	s_waitcnt lgkmcnt(0)
	v_add_co_u32_e32 v28, vcc, v28, v21
	v_addc_co_u32_e32 v29, vcc, 0, v29, vcc
	v_cmp_lt_u64_e32 vcc, v[8:9], v[28:29]
	s_and_saveexec_b64 s[92:93], vcc
	s_cbranch_execz .LBB2_314
; %bb.306:                              ;   in Loop: Header=BB2_272 Depth=3
	s_mov_b32 s58, 0
	s_mov_b64 s[94:95], 0
                                        ; implicit-def: $sgpr30_sgpr31
                                        ; implicit-def: $sgpr34_sgpr35
	s_branch .LBB2_308
.LBB2_307:                              ;   in Loop: Header=BB2_308 Depth=4
	s_or_b64 exec, exec, s[38:39]
	s_and_b64 vcc, exec, vcc
	s_or_b64 s[94:95], vcc, s[94:95]
	s_andn2_b64 vcc, s[30:31], exec
	s_and_b64 s[30:31], s[34:35], exec
	s_or_b64 s[30:31], vcc, s[30:31]
	s_andn2_b64 exec, exec, s[94:95]
	s_cbranch_execz .LBB2_312
.LBB2_308:                              ;   Parent Loop BB2_47 Depth=1
                                        ;     Parent Loop BB2_269 Depth=2
                                        ;       Parent Loop BB2_272 Depth=3
                                        ; =>      This Inner Loop Header: Depth=4
	s_add_i32 s58, s58, 1
	s_cmpk_lg_i32 s58, 0x2710
	s_cselect_b64 s[36:37], -1, 0
	s_and_b64 vcc, exec, s[36:37]
	s_cbranch_vccz .LBB2_310
; %bb.309:                              ;   in Loop: Header=BB2_308 Depth=4
	s_mov_b64 vcc, -1
	s_or_b64 s[34:35], s[34:35], exec
	s_and_saveexec_b64 s[38:39], s[36:37]
	s_cbranch_execz .LBB2_307
	s_branch .LBB2_311
.LBB2_310:                              ;   in Loop: Header=BB2_308 Depth=4
	s_trap 2
	ds_read_b64 v[8:9], v0
	s_andn2_b64 s[36:37], s[36:37], exec
	s_mov_b32 s58, 0
	s_waitcnt lgkmcnt(0)
	flat_load_dword v0, v[8:9] glc
	s_waitcnt vmcnt(0) lgkmcnt(0)
	buffer_wbinvl1_vol
	v_cmp_eq_u32_e32 vcc, 0, v0
	s_and_b64 vcc, vcc, exec
	s_or_b64 s[36:37], s[36:37], vcc
	s_mov_b64 vcc, -1
	s_or_b64 s[34:35], s[34:35], exec
	s_and_saveexec_b64 s[38:39], s[36:37]
	s_cbranch_execz .LBB2_307
.LBB2_311:                              ;   in Loop: Header=BB2_308 Depth=4
	s_sleep 1
	s_trap 2
	ds_read_b64 v[8:9], v0
	s_waitcnt lgkmcnt(0)
	s_andn2_b64 s[34:35], s[34:35], exec
	v_cmp_ge_u64_e32 vcc, v[8:9], v[28:29]
	s_orn2_b64 vcc, vcc, exec
	s_branch .LBB2_307
.LBB2_312:                              ;   in Loop: Header=BB2_272 Depth=3
	s_or_b64 exec, exec, s[94:95]
	s_and_saveexec_b64 s[94:95], s[30:31]
	s_xor_b64 s[94:95], exec, s[94:95]
	s_cbranch_execz .LBB2_314
; %bb.313:                              ;   in Loop: Header=BB2_272 Depth=3
	ds_write_b32 v0, v37
	s_trap 2
.LBB2_314:                              ;   in Loop: Header=BB2_272 Depth=3
	s_or_b64 exec, exec, s[92:93]
	;;#ASMSTART
	s_wakeup
	;;#ASMEND
.LBB2_315:                              ;   in Loop: Header=BB2_272 Depth=3
	s_or_b64 exec, exec, s[90:91]
.LBB2_316:                              ;   in Loop: Header=BB2_272 Depth=3
	s_andn2_saveexec_b64 s[40:41], s[40:41]
	s_cbranch_execz .LBB2_318
; %bb.317:                              ;   in Loop: Header=BB2_272 Depth=3
	s_waitcnt vmcnt(0) lgkmcnt(0)
	buffer_wbinvl1_vol
	s_barrier
.LBB2_318:                              ;   in Loop: Header=BB2_272 Depth=3
	s_or_b64 exec, exec, s[40:41]
.LBB2_319:                              ;   in Loop: Header=BB2_272 Depth=3
	s_or_b64 exec, exec, s[28:29]
	s_trap 2
	ds_read_b32 v0, v0
	v_and_b32_e32 v3, 0x4000, v62
	v_cmp_ne_u32_e32 vcc, 0, v3
	s_xor_b64 s[28:29], s[6:7], -1
	s_and_b64 s[40:41], s[28:29], vcc
	s_and_saveexec_b64 s[28:29], s[40:41]
	s_cbranch_execz .LBB2_338
; %bb.320:                              ;   in Loop: Header=BB2_272 Depth=3
	s_and_saveexec_b64 s[40:41], s[60:61]
	s_xor_b64 s[40:41], exec, s[40:41]
	s_cbranch_execz .LBB2_335
; %bb.321:                              ;   in Loop: Header=BB2_272 Depth=3
	s_and_saveexec_b64 s[90:91], s[16:17]
	s_cbranch_execz .LBB2_334
; %bb.322:                              ;   in Loop: Header=BB2_272 Depth=3
	s_mov_b64 s[94:95], exec
	v_mbcnt_lo_u32_b32 v3, s94, 0
	v_mbcnt_hi_u32_b32 v3, s95, v3
	v_cmp_eq_u32_e32 vcc, 0, v3
	s_waitcnt vmcnt(0) lgkmcnt(0)
	buffer_wbinvl1_vol
	s_and_saveexec_b64 s[92:93], vcc
	s_cbranch_execz .LBB2_324
; %bb.323:                              ;   in Loop: Header=BB2_272 Depth=3
	s_bcnt1_i32_b64 s58, s[94:95]
	v_mov_b32_e32 v8, s58
	v_mov_b32_e32 v9, v2
	ds_add_u64 v0, v[8:9]
	s_trap 2
.LBB2_324:                              ;   in Loop: Header=BB2_272 Depth=3
	s_or_b64 exec, exec, s[92:93]
	s_trap 2
	ds_read_b64 v[8:9], v0
	s_waitcnt lgkmcnt(0)
	v_add_co_u32_e32 v28, vcc, v28, v21
	v_addc_co_u32_e32 v29, vcc, 0, v29, vcc
	v_cmp_lt_u64_e32 vcc, v[8:9], v[28:29]
	s_and_saveexec_b64 s[92:93], vcc
	s_cbranch_execz .LBB2_333
; %bb.325:                              ;   in Loop: Header=BB2_272 Depth=3
	s_mov_b32 s58, 0
	s_mov_b64 s[94:95], 0
                                        ; implicit-def: $sgpr30_sgpr31
                                        ; implicit-def: $sgpr34_sgpr35
	s_branch .LBB2_327
.LBB2_326:                              ;   in Loop: Header=BB2_327 Depth=4
	s_or_b64 exec, exec, s[38:39]
	s_and_b64 vcc, exec, vcc
	s_or_b64 s[94:95], vcc, s[94:95]
	s_andn2_b64 vcc, s[30:31], exec
	s_and_b64 s[30:31], s[34:35], exec
	s_or_b64 s[30:31], vcc, s[30:31]
	s_andn2_b64 exec, exec, s[94:95]
	s_cbranch_execz .LBB2_331
.LBB2_327:                              ;   Parent Loop BB2_47 Depth=1
                                        ;     Parent Loop BB2_269 Depth=2
                                        ;       Parent Loop BB2_272 Depth=3
                                        ; =>      This Inner Loop Header: Depth=4
	s_add_i32 s58, s58, 1
	s_cmpk_lg_i32 s58, 0x2710
	s_cselect_b64 s[36:37], -1, 0
	s_and_b64 vcc, exec, s[36:37]
	s_cbranch_vccz .LBB2_329
; %bb.328:                              ;   in Loop: Header=BB2_327 Depth=4
	s_mov_b64 vcc, -1
	s_or_b64 s[34:35], s[34:35], exec
	s_and_saveexec_b64 s[38:39], s[36:37]
	s_cbranch_execz .LBB2_326
	s_branch .LBB2_330
.LBB2_329:                              ;   in Loop: Header=BB2_327 Depth=4
	s_trap 2
	ds_read_b64 v[8:9], v0
	s_andn2_b64 s[36:37], s[36:37], exec
	s_mov_b32 s58, 0
	s_waitcnt lgkmcnt(0)
	flat_load_dword v3, v[8:9] glc
	s_waitcnt vmcnt(0) lgkmcnt(0)
	buffer_wbinvl1_vol
	v_cmp_eq_u32_e32 vcc, 0, v3
	s_and_b64 vcc, vcc, exec
	s_or_b64 s[36:37], s[36:37], vcc
	s_mov_b64 vcc, -1
	s_or_b64 s[34:35], s[34:35], exec
	s_and_saveexec_b64 s[38:39], s[36:37]
	s_cbranch_execz .LBB2_326
.LBB2_330:                              ;   in Loop: Header=BB2_327 Depth=4
	s_sleep 1
	s_trap 2
	ds_read_b64 v[8:9], v0
	s_waitcnt lgkmcnt(0)
	s_andn2_b64 s[34:35], s[34:35], exec
	v_cmp_ge_u64_e32 vcc, v[8:9], v[28:29]
	s_orn2_b64 vcc, vcc, exec
	s_branch .LBB2_326
.LBB2_331:                              ;   in Loop: Header=BB2_272 Depth=3
	s_or_b64 exec, exec, s[94:95]
	s_and_saveexec_b64 s[94:95], s[30:31]
	s_xor_b64 s[94:95], exec, s[94:95]
	s_cbranch_execz .LBB2_333
; %bb.332:                              ;   in Loop: Header=BB2_272 Depth=3
	ds_write_b32 v0, v37
	s_trap 2
.LBB2_333:                              ;   in Loop: Header=BB2_272 Depth=3
	s_or_b64 exec, exec, s[92:93]
	;;#ASMSTART
	s_wakeup
	;;#ASMEND
.LBB2_334:                              ;   in Loop: Header=BB2_272 Depth=3
	s_or_b64 exec, exec, s[90:91]
.LBB2_335:                              ;   in Loop: Header=BB2_272 Depth=3
	s_andn2_saveexec_b64 s[40:41], s[40:41]
	s_cbranch_execz .LBB2_337
; %bb.336:                              ;   in Loop: Header=BB2_272 Depth=3
	s_waitcnt vmcnt(0) lgkmcnt(0)
	buffer_wbinvl1_vol
	s_barrier
.LBB2_337:                              ;   in Loop: Header=BB2_272 Depth=3
	s_or_b64 exec, exec, s[40:41]
.LBB2_338:                              ;   in Loop: Header=BB2_272 Depth=3
	s_or_b64 exec, exec, s[28:29]
	s_trap 2
	s_waitcnt lgkmcnt(0)
	ds_read_b64 v[46:47], v0
	s_waitcnt lgkmcnt(0)
	v_cmp_eq_u64_e32 vcc, 0, v[46:47]
	s_cbranch_vccnz .LBB2_346
; %bb.339:                              ;   in Loop: Header=BB2_272 Depth=3
	s_trap 2
	ds_read_b64 v[56:57], v0
	s_waitcnt lgkmcnt(0)
	v_cmp_eq_u64_e32 vcc, 0, v[56:57]
	s_cbranch_vccnz .LBB2_346
; %bb.340:                              ;   in Loop: Header=BB2_272 Depth=3
	s_trap 2
	ds_read_b64 v[8:9], v0
	s_mov_b64 s[28:29], -1
	s_waitcnt lgkmcnt(0)
	v_readfirstlane_b32 s34, v8
	s_and_saveexec_b64 s[40:41], s[22:23]
	s_cbranch_execz .LBB2_342
; %bb.341:                              ;   in Loop: Header=BB2_272 Depth=3
	ds_read_b32 v3, v0 offset:720
	s_waitcnt lgkmcnt(0)
	v_and_b32_e32 v3, 15, v3
	v_cmp_eq_u32_e32 vcc, 0, v3
	s_orn2_b64 s[28:29], vcc, exec
.LBB2_342:                              ;   in Loop: Header=BB2_272 Depth=3
	s_or_b64 exec, exec, s[40:41]
	s_and_saveexec_b64 s[40:41], s[20:21]
	s_cbranch_execz .LBB2_344
; %bb.343:                              ;   in Loop: Header=BB2_272 Depth=3
	ds_read_b32 v3, v0 offset:784
	s_waitcnt lgkmcnt(0)
	v_and_b32_e32 v3, 15, v3
	v_cmp_eq_u32_e32 vcc, 0, v3
	s_and_b64 s[90:91], s[28:29], vcc
	s_andn2_b64 s[28:29], s[28:29], exec
	s_and_b64 s[90:91], s[90:91], exec
	s_or_b64 s[28:29], s[28:29], s[90:91]
.LBB2_344:                              ;   in Loop: Header=BB2_272 Depth=3
	s_or_b64 exec, exec, s[40:41]
	v_cmp_eq_u32_e32 vcc, 0, v0
	s_xor_b64 s[28:29], s[28:29], -1
	v_cndmask_b32_e32 v3, 0, v40, vcc
	v_cndmask_b32_e64 v0, 0, 1, s[28:29]
	v_lshlrev_b32_e32 v53, 1, v3
	s_mov_b64 s[92:93], -1
	v_cmp_ne_u32_e32 vcc, 0, v0
	v_mov_b32_e32 v14, 0
	s_cbranch_vccz .LBB2_347
; %bb.345:                              ;   in Loop: Header=BB2_272 Depth=3
	s_waitcnt vmcnt(0)
	v_mov_b32_e32 v15, v61
	s_and_saveexec_b64 s[40:41], s[92:93]
	s_cbranch_execnz .LBB2_422
	s_branch .LBB2_450
.LBB2_346:                              ;   in Loop: Header=BB2_272 Depth=3
	s_mov_b64 s[28:29], 0
	s_and_saveexec_b64 s[40:41], s[10:11]
	s_cbranch_execnz .LBB2_451
	s_branch .LBB2_469
.LBB2_347:                              ;   in Loop: Header=BB2_272 Depth=3
	buffer_load_dword v0, off, s[0:3], s33 offset:68 ; 4-byte Folded Reload
	v_ashrrev_i32_e32 v8, 31, v53
	v_lshrrev_b32_e32 v8, 22, v8
	v_add_u32_e32 v8, v53, v8
	v_and_b32_e32 v41, 0xfffffc00, v8
	v_ashrrev_i32_e32 v9, 10, v8
	v_sub_u32_e32 v48, v53, v41
	s_waitcnt vmcnt(0)
	v_sub_u32_e32 v8, v9, v59
	v_cmp_lt_i32_e32 vcc, 15, v48
	v_addc_co_u32_e64 v43, s[28:29], 0, v8, vcc
	s_waitcnt vmcnt(0)
	v_sub_u32_e32 v0, v53, v0
	v_cmp_lt_i32_e64 s[28:29], 15, v0
	s_and_saveexec_b64 s[90:91], s[28:29]
	s_cbranch_execz .LBB2_383
; %bb.348:                              ;   in Loop: Header=BB2_272 Depth=3
	s_trap 2
	buffer_load_dword v10, off, s[0:3], s33 offset:68 ; 4-byte Folded Reload
	ds_read_b64 v[8:9], v0
	s_and_b32 s58, s34, 1
	s_cmp_eq_u64 s[58:59], 0
	s_mov_b64 s[92:93], 0
	s_waitcnt vmcnt(0)
	v_add_co_u32_e64 v18, s[28:29], v46, v10
	v_addc_co_u32_e64 v19, s[28:29], 0, v47, s[28:29]
	s_waitcnt lgkmcnt(0)
	v_add_co_u32_e64 v58, s[28:29], v8, v10
	v_addc_co_u32_e64 v59, s[28:29], 0, v9, s[28:29]
	v_add_co_u32_e64 v60, s[28:29], v56, v10
	v_addc_co_u32_e64 v61, s[28:29], 0, v57, s[28:29]
	s_cselect_b64 s[28:29], -1, 0
	s_branch .LBB2_350
.LBB2_349:                              ;   in Loop: Header=BB2_350 Depth=4
	s_or_b64 exec, exec, s[94:95]
	v_lshrrev_b32_e32 v12, 16, v12
	v_and_or_b32 v9, v9, s67, v12
	v_lshrrev_b32_e32 v12, 16, v49
	v_add_co_u32_e64 v18, s[40:41], v18, v35
	v_and_or_b32 v8, v8, s67, v12
	v_lshrrev_b32_e32 v12, 16, v13
	v_addc_co_u32_e64 v19, s[40:41], 0, v19, s[40:41]
	v_and_or_b32 v10, v10, s67, v12
	v_lshrrev_b32_e32 v12, 16, v14
	v_add_co_u32_e64 v58, s[40:41], v58, v35
	v_and_or_b32 v11, v11, s67, v12
	v_addc_co_u32_e64 v59, s[40:41], 0, v59, s[40:41]
	global_store_dwordx4 v[60:61], v[8:11], off glc slc
	v_add_co_u32_e64 v60, s[40:41], v60, v35
	v_addc_co_u32_e64 v61, s[40:41], 0, v61, s[40:41]
	v_sub_u32_e32 v0, v0, v35
	v_cmp_gt_i32_e64 s[40:41], 16, v0
	s_or_b64 s[92:93], s[40:41], s[92:93]
	v_sub_u32_e32 v43, v43, v21
	s_andn2_b64 exec, exec, s[92:93]
	s_cbranch_execz .LBB2_382
.LBB2_350:                              ;   Parent Loop BB2_47 Depth=1
                                        ;     Parent Loop BB2_269 Depth=2
                                        ;       Parent Loop BB2_272 Depth=3
                                        ; =>      This Inner Loop Header: Depth=4
	global_load_dwordx4 v[8:11], v[58:59], off glc slc
	global_load_dwordx4 v[12:15], v[18:19], off glc slc
	s_waitcnt vmcnt(1)
	v_lshlrev_b32_e32 v34, 16, v8
	s_waitcnt vmcnt(0)
	v_lshlrev_b32_e32 v49, 16, v12
	v_max_f32_e32 v34, v34, v34
	v_max_f32_e32 v49, v49, v49
	v_min_f32_e32 v54, v49, v34
	v_max_f32_e32 v34, v49, v34
	v_cndmask_b32_e64 v54, v34, v54, s[28:29]
	v_and_b32_e32 v34, 0x7f800000, v54
	v_cmp_ne_u32_e64 s[40:41], s65, v34
                                        ; implicit-def: $vgpr49
	s_and_saveexec_b64 s[94:95], s[40:41]
	s_xor_b64 s[40:41], exec, s[94:95]
; %bb.351:                              ;   in Loop: Header=BB2_350 Depth=4
	v_bfe_u32 v34, v54, 16, 1
	v_add3_u32 v49, v54, v34, s66
                                        ; implicit-def: $vgpr54
; %bb.352:                              ;   in Loop: Header=BB2_350 Depth=4
	s_andn2_saveexec_b64 s[94:95], s[40:41]
; %bb.353:                              ;   in Loop: Header=BB2_350 Depth=4
	v_or_b32_e32 v34, 0x10000, v54
	v_cmp_eq_u32_sdwa s[40:41], v54, v2 src0_sel:WORD_0 src1_sel:DWORD
	v_cndmask_b32_e64 v49, v34, v54, s[40:41]
; %bb.354:                              ;   in Loop: Header=BB2_350 Depth=4
	s_or_b64 exec, exec, s[94:95]
	v_and_b32_e32 v8, 0xffff0000, v8
	v_and_b32_e32 v12, 0xffff0000, v12
	v_max_f32_e32 v8, v8, v8
	v_max_f32_e32 v12, v12, v12
	v_min_f32_e32 v34, v12, v8
	v_max_f32_e32 v8, v12, v8
	v_cndmask_b32_e64 v12, v8, v34, s[28:29]
	v_and_b32_e32 v8, 0x7f800000, v12
	v_cmp_ne_u32_e64 s[40:41], s65, v8
                                        ; implicit-def: $vgpr8
	s_and_saveexec_b64 s[94:95], s[40:41]
	s_xor_b64 s[40:41], exec, s[94:95]
; %bb.355:                              ;   in Loop: Header=BB2_350 Depth=4
	v_bfe_u32 v8, v12, 16, 1
	v_add3_u32 v8, v12, v8, s66
                                        ; implicit-def: $vgpr12
; %bb.356:                              ;   in Loop: Header=BB2_350 Depth=4
	s_andn2_saveexec_b64 s[94:95], s[40:41]
; %bb.357:                              ;   in Loop: Header=BB2_350 Depth=4
	v_or_b32_e32 v8, 0x10000, v12
	v_cmp_eq_u32_sdwa s[40:41], v12, v2 src0_sel:WORD_0 src1_sel:DWORD
	v_cndmask_b32_e64 v8, v8, v12, s[40:41]
; %bb.358:                              ;   in Loop: Header=BB2_350 Depth=4
	s_or_b64 exec, exec, s[94:95]
	v_lshlrev_b32_e32 v12, 16, v9
	v_lshlrev_b32_e32 v34, 16, v13
	v_max_f32_e32 v12, v12, v12
	v_max_f32_e32 v34, v34, v34
	v_min_f32_e32 v54, v34, v12
	v_max_f32_e32 v12, v34, v12
	v_cndmask_b32_e64 v54, v12, v54, s[28:29]
	v_and_b32_e32 v12, 0x7f800000, v54
	v_cmp_ne_u32_e64 s[40:41], s65, v12
                                        ; implicit-def: $vgpr12
	s_and_saveexec_b64 s[94:95], s[40:41]
	s_xor_b64 s[40:41], exec, s[94:95]
; %bb.359:                              ;   in Loop: Header=BB2_350 Depth=4
	v_bfe_u32 v12, v54, 16, 1
	v_add3_u32 v12, v54, v12, s66
                                        ; implicit-def: $vgpr54
; %bb.360:                              ;   in Loop: Header=BB2_350 Depth=4
	s_andn2_saveexec_b64 s[94:95], s[40:41]
; %bb.361:                              ;   in Loop: Header=BB2_350 Depth=4
	v_or_b32_e32 v12, 0x10000, v54
	v_cmp_eq_u32_sdwa s[40:41], v54, v2 src0_sel:WORD_0 src1_sel:DWORD
	v_cndmask_b32_e64 v12, v12, v54, s[40:41]
; %bb.362:                              ;   in Loop: Header=BB2_350 Depth=4
	s_or_b64 exec, exec, s[94:95]
	v_and_b32_e32 v13, 0xffff0000, v13
	v_and_b32_e32 v9, 0xffff0000, v9
	v_max_f32_e32 v9, v9, v9
	v_max_f32_e32 v13, v13, v13
	v_min_f32_e32 v34, v13, v9
	v_max_f32_e32 v9, v13, v9
	v_cndmask_b32_e64 v13, v9, v34, s[28:29]
	v_and_b32_e32 v9, 0x7f800000, v13
	v_cmp_ne_u32_e64 s[40:41], s65, v9
                                        ; implicit-def: $vgpr9
	s_and_saveexec_b64 s[94:95], s[40:41]
	s_xor_b64 s[40:41], exec, s[94:95]
; %bb.363:                              ;   in Loop: Header=BB2_350 Depth=4
	v_bfe_u32 v9, v13, 16, 1
	v_add3_u32 v9, v13, v9, s66
                                        ; implicit-def: $vgpr13
; %bb.364:                              ;   in Loop: Header=BB2_350 Depth=4
	s_andn2_saveexec_b64 s[94:95], s[40:41]
; %bb.365:                              ;   in Loop: Header=BB2_350 Depth=4
	v_or_b32_e32 v9, 0x10000, v13
	v_cmp_eq_u32_sdwa s[40:41], v13, v2 src0_sel:WORD_0 src1_sel:DWORD
	v_cndmask_b32_e64 v9, v9, v13, s[40:41]
; %bb.366:                              ;   in Loop: Header=BB2_350 Depth=4
	s_or_b64 exec, exec, s[94:95]
	v_lshlrev_b32_e32 v13, 16, v10
	v_lshlrev_b32_e32 v34, 16, v14
	v_max_f32_e32 v13, v13, v13
	v_max_f32_e32 v34, v34, v34
	v_min_f32_e32 v54, v34, v13
	v_max_f32_e32 v13, v34, v13
	v_cndmask_b32_e64 v54, v13, v54, s[28:29]
	v_and_b32_e32 v13, 0x7f800000, v54
	v_cmp_ne_u32_e64 s[40:41], s65, v13
                                        ; implicit-def: $vgpr13
	s_and_saveexec_b64 s[94:95], s[40:41]
	s_xor_b64 s[40:41], exec, s[94:95]
; %bb.367:                              ;   in Loop: Header=BB2_350 Depth=4
	v_bfe_u32 v13, v54, 16, 1
	v_add3_u32 v13, v54, v13, s66
                                        ; implicit-def: $vgpr54
; %bb.368:                              ;   in Loop: Header=BB2_350 Depth=4
	s_andn2_saveexec_b64 s[94:95], s[40:41]
; %bb.369:                              ;   in Loop: Header=BB2_350 Depth=4
	v_or_b32_e32 v13, 0x10000, v54
	v_cmp_eq_u32_sdwa s[40:41], v54, v2 src0_sel:WORD_0 src1_sel:DWORD
	v_cndmask_b32_e64 v13, v13, v54, s[40:41]
; %bb.370:                              ;   in Loop: Header=BB2_350 Depth=4
	s_or_b64 exec, exec, s[94:95]
	v_and_b32_e32 v14, 0xffff0000, v14
	v_and_b32_e32 v10, 0xffff0000, v10
	v_max_f32_e32 v10, v10, v10
	v_max_f32_e32 v14, v14, v14
	v_min_f32_e32 v34, v14, v10
	v_max_f32_e32 v10, v14, v10
	v_cndmask_b32_e64 v14, v10, v34, s[28:29]
	v_and_b32_e32 v10, 0x7f800000, v14
	v_cmp_ne_u32_e64 s[40:41], s65, v10
                                        ; implicit-def: $vgpr10
	s_and_saveexec_b64 s[94:95], s[40:41]
	s_xor_b64 s[40:41], exec, s[94:95]
; %bb.371:                              ;   in Loop: Header=BB2_350 Depth=4
	v_bfe_u32 v10, v14, 16, 1
	v_add3_u32 v10, v14, v10, s66
                                        ; implicit-def: $vgpr14
; %bb.372:                              ;   in Loop: Header=BB2_350 Depth=4
	s_andn2_saveexec_b64 s[94:95], s[40:41]
; %bb.373:                              ;   in Loop: Header=BB2_350 Depth=4
	v_or_b32_e32 v10, 0x10000, v14
	v_cmp_eq_u32_sdwa s[40:41], v14, v2 src0_sel:WORD_0 src1_sel:DWORD
	v_cndmask_b32_e64 v10, v10, v14, s[40:41]
; %bb.374:                              ;   in Loop: Header=BB2_350 Depth=4
	s_or_b64 exec, exec, s[94:95]
	v_lshlrev_b32_e32 v14, 16, v11
	v_lshlrev_b32_e32 v34, 16, v15
	v_max_f32_e32 v14, v14, v14
	v_max_f32_e32 v34, v34, v34
	v_min_f32_e32 v54, v34, v14
	v_max_f32_e32 v14, v34, v14
	v_cndmask_b32_e64 v54, v14, v54, s[28:29]
	v_and_b32_e32 v14, 0x7f800000, v54
	v_cmp_ne_u32_e64 s[40:41], s65, v14
                                        ; implicit-def: $vgpr14
	s_and_saveexec_b64 s[94:95], s[40:41]
	s_xor_b64 s[40:41], exec, s[94:95]
; %bb.375:                              ;   in Loop: Header=BB2_350 Depth=4
	v_bfe_u32 v14, v54, 16, 1
	v_add3_u32 v14, v54, v14, s66
                                        ; implicit-def: $vgpr54
; %bb.376:                              ;   in Loop: Header=BB2_350 Depth=4
	s_andn2_saveexec_b64 s[94:95], s[40:41]
; %bb.377:                              ;   in Loop: Header=BB2_350 Depth=4
	v_or_b32_e32 v14, 0x10000, v54
	v_cmp_eq_u32_sdwa s[40:41], v54, v2 src0_sel:WORD_0 src1_sel:DWORD
	v_cndmask_b32_e64 v14, v14, v54, s[40:41]
; %bb.378:                              ;   in Loop: Header=BB2_350 Depth=4
	s_or_b64 exec, exec, s[94:95]
	v_and_b32_e32 v15, 0xffff0000, v15
	v_and_b32_e32 v11, 0xffff0000, v11
	v_max_f32_e32 v11, v11, v11
	v_max_f32_e32 v15, v15, v15
	v_min_f32_e32 v34, v15, v11
	v_max_f32_e32 v11, v15, v11
	v_cndmask_b32_e64 v15, v11, v34, s[28:29]
	v_and_b32_e32 v11, 0x7f800000, v15
	v_cmp_ne_u32_e64 s[40:41], s65, v11
                                        ; implicit-def: $vgpr11
	s_and_saveexec_b64 s[94:95], s[40:41]
	s_xor_b64 s[40:41], exec, s[94:95]
; %bb.379:                              ;   in Loop: Header=BB2_350 Depth=4
	v_bfe_u32 v11, v15, 16, 1
	v_add3_u32 v11, v15, v11, s66
                                        ; implicit-def: $vgpr15
; %bb.380:                              ;   in Loop: Header=BB2_350 Depth=4
	s_andn2_saveexec_b64 s[94:95], s[40:41]
	s_cbranch_execz .LBB2_349
; %bb.381:                              ;   in Loop: Header=BB2_350 Depth=4
	v_or_b32_e32 v11, 0x10000, v15
	v_cmp_eq_u32_sdwa s[40:41], v15, v2 src0_sel:WORD_0 src1_sel:DWORD
	v_cndmask_b32_e64 v11, v11, v15, s[40:41]
	s_branch .LBB2_349
.LBB2_382:                              ;   in Loop: Header=BB2_272 Depth=3
	s_or_b64 exec, exec, s[92:93]
	buffer_load_dword v61, off, s[0:3], s33 offset:88 ; 4-byte Folded Reload
	buffer_load_dword v59, off, s[0:3], s33 offset:76 ; 4-byte Folded Reload
	v_ashrrev_i32_e32 v60, 31, v30
	v_mov_b32_e32 v58, 0xc8
.LBB2_383:                              ;   in Loop: Header=BB2_272 Depth=3
	s_or_b64 exec, exec, s[90:91]
	v_and_b32_e32 v8, 14, v53
	v_cndmask_b32_e32 v0, v48, v8, vcc
	v_mov_b32_e32 v14, 0
	v_cmp_ne_u32_e64 s[28:29], 0, v0
	s_mov_b64 s[92:93], 0
                                        ; implicit-def: $vgpr53
                                        ; implicit-def: $vgpr15
	s_and_saveexec_b64 s[90:91], s[28:29]
	s_cbranch_execz .LBB2_421
; %bb.384:                              ;   in Loop: Header=BB2_272 Depth=3
	buffer_load_dword v9, off, s[0:3], s33 offset:72 ; 4-byte Folded Reload
	v_sub_u32_e32 v8, v48, v8
	v_cndmask_b32_e32 v8, 0, v8, vcc
	v_cmp_lt_i32_e32 vcc, 0, v43
	v_add_u32_e32 v53, v8, v41
	v_cndmask_b32_e32 v8, 0, v21, vcc
	v_sub_u32_e32 v8, v8, v43
	s_waitcnt vmcnt(0)
	v_lshl_or_b32 v8, v8, 6, v9
	v_ashrrev_i32_e32 v9, 31, v8
	v_lshrrev_b32_e32 v9, 26, v9
	v_add_u32_e32 v9, v8, v9
	v_ashrrev_i32_e32 v10, 6, v9
	v_and_b32_e32 v9, 0xffffffc0, v9
	v_sub_u32_e32 v41, v8, v9
	v_ashrrev_i32_e32 v9, 31, v0
	v_lshrrev_b32_e32 v9, 22, v9
	v_add_u32_e32 v9, v0, v9
	v_and_b32_e32 v48, 0xfffffc00, v9
	v_lshlrev_b32_e32 v8, 4, v41
	v_sub_u32_e32 v49, v0, v48
	v_lshl_add_u32 v8, v10, 10, v8
	v_ashrrev_i32_e32 v11, 10, v9
	v_cmp_lt_i32_e32 vcc, 15, v49
	v_sub_u32_e32 v54, v0, v8
	v_addc_co_u32_e64 v9, s[28:29], 0, v11, vcc
	v_sub_u32_e32 v43, v9, v10
	v_cmp_lt_i32_e64 s[28:29], 15, v54
	s_and_saveexec_b64 s[92:93], s[28:29]
	s_cbranch_execz .LBB2_420
; %bb.385:                              ;   in Loop: Header=BB2_272 Depth=3
	v_add_u32_e32 v10, v8, v53
	s_trap 2
	ds_read_b64 v[8:9], v0
	v_ashrrev_i32_e32 v11, 31, v10
	v_add_co_u32_e64 v18, s[28:29], v10, v46
	v_addc_co_u32_e64 v19, s[28:29], v11, v47, s[28:29]
	s_waitcnt lgkmcnt(0)
	v_add_co_u32_e64 v58, s[28:29], v8, v10
	v_addc_co_u32_e64 v59, s[28:29], v9, v11, s[28:29]
	v_add_co_u32_e64 v60, s[28:29], v10, v56
	s_and_b32 s58, s34, 1
	v_addc_co_u32_e64 v61, s[28:29], v11, v57, s[28:29]
	s_cmp_eq_u64 s[58:59], 0
	s_mov_b64 s[94:95], 0
	s_cselect_b64 s[28:29], -1, 0
	s_branch .LBB2_387
.LBB2_386:                              ;   in Loop: Header=BB2_387 Depth=4
	s_or_b64 exec, exec, s[30:31]
	v_lshrrev_b32_e32 v12, 16, v12
	v_and_or_b32 v9, v9, s67, v12
	v_lshrrev_b32_e32 v12, 16, v55
	v_add_co_u32_e64 v18, s[40:41], v18, v35
	v_and_or_b32 v8, v8, s67, v12
	v_lshrrev_b32_e32 v12, 16, v13
	v_addc_co_u32_e64 v19, s[40:41], 0, v19, s[40:41]
	v_and_or_b32 v10, v10, s67, v12
	v_lshrrev_b32_e32 v12, 16, v14
	v_add_co_u32_e64 v58, s[40:41], v58, v35
	v_and_or_b32 v11, v11, s67, v12
	v_addc_co_u32_e64 v59, s[40:41], 0, v59, s[40:41]
	global_store_dwordx4 v[60:61], v[8:11], off glc slc
	v_add_co_u32_e64 v60, s[40:41], v60, v35
	v_addc_co_u32_e64 v61, s[40:41], 0, v61, s[40:41]
	v_sub_u32_e32 v54, v54, v35
	v_cmp_gt_i32_e64 s[40:41], 16, v54
	s_or_b64 s[94:95], s[40:41], s[94:95]
	v_sub_u32_e32 v43, v43, v21
	s_andn2_b64 exec, exec, s[94:95]
	s_cbranch_execz .LBB2_419
.LBB2_387:                              ;   Parent Loop BB2_47 Depth=1
                                        ;     Parent Loop BB2_269 Depth=2
                                        ;       Parent Loop BB2_272 Depth=3
                                        ; =>      This Inner Loop Header: Depth=4
	global_load_dwordx4 v[8:11], v[58:59], off glc slc
	global_load_dwordx4 v[12:15], v[18:19], off glc slc
	s_waitcnt vmcnt(1)
	v_lshlrev_b32_e32 v34, 16, v8
	s_waitcnt vmcnt(0)
	v_lshlrev_b32_e32 v55, 16, v12
	v_max_f32_e32 v34, v34, v34
	v_max_f32_e32 v55, v55, v55
	v_min_f32_e32 v17, v55, v34
	v_max_f32_e32 v34, v55, v34
	v_cndmask_b32_e64 v34, v34, v17, s[28:29]
	v_and_b32_e32 v17, 0x7f800000, v34
	v_cmp_ne_u32_e64 s[40:41], s65, v17
                                        ; implicit-def: $vgpr55
	s_and_saveexec_b64 s[30:31], s[40:41]
	s_xor_b64 s[40:41], exec, s[30:31]
; %bb.388:                              ;   in Loop: Header=BB2_387 Depth=4
	v_bfe_u32 v17, v34, 16, 1
	v_add3_u32 v55, v34, v17, s66
                                        ; implicit-def: $vgpr34
; %bb.389:                              ;   in Loop: Header=BB2_387 Depth=4
	s_andn2_saveexec_b64 s[30:31], s[40:41]
; %bb.390:                              ;   in Loop: Header=BB2_387 Depth=4
	v_or_b32_e32 v17, 0x10000, v34
	v_cmp_eq_u32_sdwa s[40:41], v34, v2 src0_sel:WORD_0 src1_sel:DWORD
	v_cndmask_b32_e64 v55, v17, v34, s[40:41]
; %bb.391:                              ;   in Loop: Header=BB2_387 Depth=4
	s_or_b64 exec, exec, s[30:31]
	v_and_b32_e32 v8, 0xffff0000, v8
	v_and_b32_e32 v12, 0xffff0000, v12
	v_max_f32_e32 v8, v8, v8
	v_max_f32_e32 v12, v12, v12
	v_min_f32_e32 v17, v12, v8
	v_max_f32_e32 v8, v12, v8
	v_cndmask_b32_e64 v12, v8, v17, s[28:29]
	v_and_b32_e32 v8, 0x7f800000, v12
	v_cmp_ne_u32_e64 s[40:41], s65, v8
                                        ; implicit-def: $vgpr8
	s_and_saveexec_b64 s[30:31], s[40:41]
	s_xor_b64 s[40:41], exec, s[30:31]
; %bb.392:                              ;   in Loop: Header=BB2_387 Depth=4
	v_bfe_u32 v8, v12, 16, 1
	v_add3_u32 v8, v12, v8, s66
                                        ; implicit-def: $vgpr12
; %bb.393:                              ;   in Loop: Header=BB2_387 Depth=4
	s_andn2_saveexec_b64 s[30:31], s[40:41]
; %bb.394:                              ;   in Loop: Header=BB2_387 Depth=4
	v_or_b32_e32 v8, 0x10000, v12
	v_cmp_eq_u32_sdwa s[40:41], v12, v2 src0_sel:WORD_0 src1_sel:DWORD
	v_cndmask_b32_e64 v8, v8, v12, s[40:41]
; %bb.395:                              ;   in Loop: Header=BB2_387 Depth=4
	s_or_b64 exec, exec, s[30:31]
	v_lshlrev_b32_e32 v12, 16, v9
	v_lshlrev_b32_e32 v17, 16, v13
	v_max_f32_e32 v12, v12, v12
	v_max_f32_e32 v17, v17, v17
	v_min_f32_e32 v34, v17, v12
	v_max_f32_e32 v12, v17, v12
	v_cndmask_b32_e64 v34, v12, v34, s[28:29]
	v_and_b32_e32 v12, 0x7f800000, v34
	v_cmp_ne_u32_e64 s[40:41], s65, v12
                                        ; implicit-def: $vgpr12
	s_and_saveexec_b64 s[30:31], s[40:41]
	s_xor_b64 s[40:41], exec, s[30:31]
; %bb.396:                              ;   in Loop: Header=BB2_387 Depth=4
	v_bfe_u32 v12, v34, 16, 1
	v_add3_u32 v12, v34, v12, s66
                                        ; implicit-def: $vgpr34
; %bb.397:                              ;   in Loop: Header=BB2_387 Depth=4
	s_andn2_saveexec_b64 s[30:31], s[40:41]
; %bb.398:                              ;   in Loop: Header=BB2_387 Depth=4
	v_or_b32_e32 v12, 0x10000, v34
	v_cmp_eq_u32_sdwa s[40:41], v34, v2 src0_sel:WORD_0 src1_sel:DWORD
	v_cndmask_b32_e64 v12, v12, v34, s[40:41]
; %bb.399:                              ;   in Loop: Header=BB2_387 Depth=4
	s_or_b64 exec, exec, s[30:31]
	v_and_b32_e32 v13, 0xffff0000, v13
	v_and_b32_e32 v9, 0xffff0000, v9
	v_max_f32_e32 v9, v9, v9
	v_max_f32_e32 v13, v13, v13
	v_min_f32_e32 v17, v13, v9
	v_max_f32_e32 v9, v13, v9
	v_cndmask_b32_e64 v13, v9, v17, s[28:29]
	v_and_b32_e32 v9, 0x7f800000, v13
	v_cmp_ne_u32_e64 s[40:41], s65, v9
                                        ; implicit-def: $vgpr9
	s_and_saveexec_b64 s[30:31], s[40:41]
	s_xor_b64 s[40:41], exec, s[30:31]
; %bb.400:                              ;   in Loop: Header=BB2_387 Depth=4
	v_bfe_u32 v9, v13, 16, 1
	v_add3_u32 v9, v13, v9, s66
                                        ; implicit-def: $vgpr13
; %bb.401:                              ;   in Loop: Header=BB2_387 Depth=4
	s_andn2_saveexec_b64 s[30:31], s[40:41]
; %bb.402:                              ;   in Loop: Header=BB2_387 Depth=4
	v_or_b32_e32 v9, 0x10000, v13
	v_cmp_eq_u32_sdwa s[40:41], v13, v2 src0_sel:WORD_0 src1_sel:DWORD
	v_cndmask_b32_e64 v9, v9, v13, s[40:41]
; %bb.403:                              ;   in Loop: Header=BB2_387 Depth=4
	s_or_b64 exec, exec, s[30:31]
	v_lshlrev_b32_e32 v13, 16, v10
	v_lshlrev_b32_e32 v17, 16, v14
	v_max_f32_e32 v13, v13, v13
	v_max_f32_e32 v17, v17, v17
	v_min_f32_e32 v34, v17, v13
	v_max_f32_e32 v13, v17, v13
	v_cndmask_b32_e64 v34, v13, v34, s[28:29]
	v_and_b32_e32 v13, 0x7f800000, v34
	v_cmp_ne_u32_e64 s[40:41], s65, v13
                                        ; implicit-def: $vgpr13
	s_and_saveexec_b64 s[30:31], s[40:41]
	s_xor_b64 s[40:41], exec, s[30:31]
; %bb.404:                              ;   in Loop: Header=BB2_387 Depth=4
	v_bfe_u32 v13, v34, 16, 1
	v_add3_u32 v13, v34, v13, s66
                                        ; implicit-def: $vgpr34
; %bb.405:                              ;   in Loop: Header=BB2_387 Depth=4
	s_andn2_saveexec_b64 s[30:31], s[40:41]
; %bb.406:                              ;   in Loop: Header=BB2_387 Depth=4
	v_or_b32_e32 v13, 0x10000, v34
	v_cmp_eq_u32_sdwa s[40:41], v34, v2 src0_sel:WORD_0 src1_sel:DWORD
	v_cndmask_b32_e64 v13, v13, v34, s[40:41]
; %bb.407:                              ;   in Loop: Header=BB2_387 Depth=4
	s_or_b64 exec, exec, s[30:31]
	v_and_b32_e32 v14, 0xffff0000, v14
	v_and_b32_e32 v10, 0xffff0000, v10
	v_max_f32_e32 v10, v10, v10
	v_max_f32_e32 v14, v14, v14
	v_min_f32_e32 v17, v14, v10
	v_max_f32_e32 v10, v14, v10
	v_cndmask_b32_e64 v14, v10, v17, s[28:29]
	v_and_b32_e32 v10, 0x7f800000, v14
	v_cmp_ne_u32_e64 s[40:41], s65, v10
                                        ; implicit-def: $vgpr10
	s_and_saveexec_b64 s[30:31], s[40:41]
	s_xor_b64 s[40:41], exec, s[30:31]
; %bb.408:                              ;   in Loop: Header=BB2_387 Depth=4
	v_bfe_u32 v10, v14, 16, 1
	v_add3_u32 v10, v14, v10, s66
                                        ; implicit-def: $vgpr14
; %bb.409:                              ;   in Loop: Header=BB2_387 Depth=4
	s_andn2_saveexec_b64 s[30:31], s[40:41]
; %bb.410:                              ;   in Loop: Header=BB2_387 Depth=4
	v_or_b32_e32 v10, 0x10000, v14
	v_cmp_eq_u32_sdwa s[40:41], v14, v2 src0_sel:WORD_0 src1_sel:DWORD
	v_cndmask_b32_e64 v10, v10, v14, s[40:41]
; %bb.411:                              ;   in Loop: Header=BB2_387 Depth=4
	s_or_b64 exec, exec, s[30:31]
	v_lshlrev_b32_e32 v14, 16, v11
	v_lshlrev_b32_e32 v17, 16, v15
	v_max_f32_e32 v14, v14, v14
	v_max_f32_e32 v17, v17, v17
	v_min_f32_e32 v34, v17, v14
	v_max_f32_e32 v14, v17, v14
	v_cndmask_b32_e64 v34, v14, v34, s[28:29]
	v_and_b32_e32 v14, 0x7f800000, v34
	v_cmp_ne_u32_e64 s[40:41], s65, v14
                                        ; implicit-def: $vgpr14
	s_and_saveexec_b64 s[30:31], s[40:41]
	s_xor_b64 s[40:41], exec, s[30:31]
; %bb.412:                              ;   in Loop: Header=BB2_387 Depth=4
	v_bfe_u32 v14, v34, 16, 1
	v_add3_u32 v14, v34, v14, s66
                                        ; implicit-def: $vgpr34
; %bb.413:                              ;   in Loop: Header=BB2_387 Depth=4
	s_andn2_saveexec_b64 s[30:31], s[40:41]
; %bb.414:                              ;   in Loop: Header=BB2_387 Depth=4
	v_or_b32_e32 v14, 0x10000, v34
	v_cmp_eq_u32_sdwa s[40:41], v34, v2 src0_sel:WORD_0 src1_sel:DWORD
	v_cndmask_b32_e64 v14, v14, v34, s[40:41]
; %bb.415:                              ;   in Loop: Header=BB2_387 Depth=4
	s_or_b64 exec, exec, s[30:31]
	v_and_b32_e32 v15, 0xffff0000, v15
	v_and_b32_e32 v11, 0xffff0000, v11
	v_max_f32_e32 v11, v11, v11
	v_max_f32_e32 v15, v15, v15
	v_min_f32_e32 v17, v15, v11
	v_max_f32_e32 v11, v15, v11
	v_cndmask_b32_e64 v15, v11, v17, s[28:29]
	v_and_b32_e32 v11, 0x7f800000, v15
	v_cmp_ne_u32_e64 s[40:41], s65, v11
                                        ; implicit-def: $vgpr11
	s_and_saveexec_b64 s[30:31], s[40:41]
	s_xor_b64 s[40:41], exec, s[30:31]
; %bb.416:                              ;   in Loop: Header=BB2_387 Depth=4
	v_bfe_u32 v11, v15, 16, 1
	v_add3_u32 v11, v15, v11, s66
                                        ; implicit-def: $vgpr15
; %bb.417:                              ;   in Loop: Header=BB2_387 Depth=4
	s_andn2_saveexec_b64 s[30:31], s[40:41]
	s_cbranch_execz .LBB2_386
; %bb.418:                              ;   in Loop: Header=BB2_387 Depth=4
	v_or_b32_e32 v11, 0x10000, v15
	v_cmp_eq_u32_sdwa s[40:41], v15, v2 src0_sel:WORD_0 src1_sel:DWORD
	v_cndmask_b32_e64 v11, v11, v15, s[40:41]
	s_branch .LBB2_386
.LBB2_419:                              ;   in Loop: Header=BB2_272 Depth=3
	s_or_b64 exec, exec, s[94:95]
	buffer_load_dword v61, off, s[0:3], s33 offset:88 ; 4-byte Folded Reload
	buffer_load_dword v59, off, s[0:3], s33 offset:76 ; 4-byte Folded Reload
	v_ashrrev_i32_e32 v60, 31, v30
	v_mov_b32_e32 v58, 0xc8
.LBB2_420:                              ;   in Loop: Header=BB2_272 Depth=3
	s_or_b64 exec, exec, s[92:93]
	v_and_b32_e32 v0, 14, v0
	v_sub_u32_e32 v8, v49, v0
	v_cndmask_b32_e32 v8, 0, v8, vcc
	v_add3_u32 v14, v48, v53, v8
	v_cndmask_b32_e32 v53, v49, v0, vcc
	v_cmp_lt_i32_e32 vcc, 0, v43
	v_cndmask_b32_e32 v0, 0, v21, vcc
	v_sub_u32_e32 v0, v0, v43
	v_cmp_ne_u32_e32 vcc, 0, v53
	v_lshl_add_u32 v15, v0, 6, v41
	s_and_b64 s[92:93], vcc, exec
.LBB2_421:                              ;   in Loop: Header=BB2_272 Depth=3
	s_or_b64 exec, exec, s[90:91]
	s_and_saveexec_b64 s[40:41], s[92:93]
	s_cbranch_execz .LBB2_450
.LBB2_422:                              ;   in Loop: Header=BB2_272 Depth=3
	v_ashrrev_i32_e32 v0, 31, v15
	v_ashrrev_i32_e32 v9, 31, v53
	v_lshrrev_b32_e32 v0, 26, v0
	v_lshrrev_b32_e32 v9, 23, v9
	v_add_u32_e32 v8, v15, v0
	v_add_u32_e32 v9, v53, v9
	v_ashrrev_i32_e32 v0, 6, v8
	v_ashrrev_i32_e32 v19, 9, v9
	v_sub_u32_e32 v18, v19, v0
	v_cmp_lt_i32_e32 vcc, 0, v18
	s_and_saveexec_b64 s[90:91], vcc
	s_cbranch_execz .LBB2_442
; %bb.423:                              ;   in Loop: Header=BB2_272 Depth=3
	v_and_b32_e32 v8, 0x7fffffc0, v8
	v_sub_u32_e32 v8, v15, v8
	s_trap 2
	ds_read_b64 v[10:11], v0
	v_lshlrev_b32_e32 v8, 1, v8
	v_lshlrev_b32_e32 v9, 9, v0
	v_add3_u32 v12, v8, v14, v9
	v_ashrrev_i32_e32 v13, 31, v12
	v_add_co_u32_e32 v8, vcc, v12, v46
	v_addc_co_u32_e32 v9, vcc, v13, v47, vcc
	s_waitcnt lgkmcnt(0)
	v_add_co_u32_e32 v10, vcc, v10, v12
	v_addc_co_u32_e32 v11, vcc, v11, v13, vcc
	v_add_co_u32_e32 v12, vcc, v12, v56
	s_and_b32 s58, s34, 1
	v_addc_co_u32_e32 v13, vcc, v13, v57, vcc
	s_cmp_eq_u64 s[58:59], 0
	s_mov_b64 s[92:93], 0
	s_cselect_b64 vcc, -1, 0
	s_branch .LBB2_425
.LBB2_424:                              ;   in Loop: Header=BB2_425 Depth=4
	s_or_b64 exec, exec, s[94:95]
	v_add_co_u32_e64 v8, s[28:29], v8, v16
	v_addc_co_u32_e64 v9, s[28:29], 0, v9, s[28:29]
	v_add_co_u32_e64 v10, s[28:29], v10, v16
	v_addc_co_u32_e64 v11, s[28:29], 0, v11, s[28:29]
	v_sub_u32_e32 v18, v18, v21
	v_cmp_gt_i32_e64 s[28:29], 1, v18
	flat_store_short_d16_hi v[12:13], v48 glc slc
	flat_store_short_d16_hi v[12:13], v55 offset:128 glc slc
	flat_store_short_d16_hi v[12:13], v41 offset:256 glc slc
	;; [unrolled: 1-line block ×3, first 2 shown]
	s_or_b64 s[92:93], s[28:29], s[92:93]
	v_add_co_u32_e64 v12, s[28:29], v12, v16
	v_addc_co_u32_e64 v13, s[28:29], 0, v13, s[28:29]
	s_andn2_b64 exec, exec, s[92:93]
	s_cbranch_execz .LBB2_441
.LBB2_425:                              ;   Parent Loop BB2_47 Depth=1
                                        ;     Parent Loop BB2_269 Depth=2
                                        ;       Parent Loop BB2_272 Depth=3
                                        ; =>      This Inner Loop Header: Depth=4
	flat_load_ushort v17, v[8:9] glc slc
	flat_load_ushort v34, v[10:11] glc slc
	flat_load_ushort v41, v[8:9] offset:256 glc slc
	flat_load_ushort v49, v[8:9] offset:384 glc slc
	;; [unrolled: 1-line block ×6, first 2 shown]
	s_waitcnt vmcnt(0) lgkmcnt(0)
	v_lshlrev_b32_e32 v17, 16, v17
	v_lshlrev_b32_e32 v34, 16, v34
	v_max_f32_e32 v34, v34, v34
	v_max_f32_e32 v17, v17, v17
	v_min_f32_e32 v48, v17, v34
	v_max_f32_e32 v17, v17, v34
	v_cndmask_b32_e32 v34, v17, v48, vcc
	v_and_b32_e32 v17, 0x7f800000, v34
	v_cmp_ne_u32_e64 s[28:29], s65, v17
                                        ; implicit-def: $vgpr48
	s_and_saveexec_b64 s[94:95], s[28:29]
	s_xor_b64 s[28:29], exec, s[94:95]
; %bb.426:                              ;   in Loop: Header=BB2_425 Depth=4
	v_bfe_u32 v17, v34, 16, 1
	v_add3_u32 v48, v34, v17, s66
                                        ; implicit-def: $vgpr34
; %bb.427:                              ;   in Loop: Header=BB2_425 Depth=4
	s_andn2_saveexec_b64 s[94:95], s[28:29]
; %bb.428:                              ;   in Loop: Header=BB2_425 Depth=4
	v_or_b32_e32 v17, 0x10000, v34
	v_cmp_eq_u32_sdwa s[28:29], v34, v2 src0_sel:WORD_0 src1_sel:DWORD
	v_cndmask_b32_e64 v48, v17, v34, s[28:29]
; %bb.429:                              ;   in Loop: Header=BB2_425 Depth=4
	s_or_b64 exec, exec, s[94:95]
	v_lshlrev_b32_e32 v17, 16, v55
	v_lshlrev_b32_e32 v34, 16, v58
	v_max_f32_e32 v34, v34, v34
	v_max_f32_e32 v17, v17, v17
	v_min_f32_e32 v55, v17, v34
	v_max_f32_e32 v17, v17, v34
	v_cndmask_b32_e32 v34, v17, v55, vcc
	v_and_b32_e32 v17, 0x7f800000, v34
	v_cmp_ne_u32_e64 s[28:29], s65, v17
                                        ; implicit-def: $vgpr55
	s_and_saveexec_b64 s[94:95], s[28:29]
	s_xor_b64 s[28:29], exec, s[94:95]
; %bb.430:                              ;   in Loop: Header=BB2_425 Depth=4
	v_bfe_u32 v17, v34, 16, 1
	v_add3_u32 v55, v34, v17, s66
                                        ; implicit-def: $vgpr34
; %bb.431:                              ;   in Loop: Header=BB2_425 Depth=4
	s_andn2_saveexec_b64 s[94:95], s[28:29]
; %bb.432:                              ;   in Loop: Header=BB2_425 Depth=4
	v_or_b32_e32 v17, 0x10000, v34
	v_cmp_eq_u32_sdwa s[28:29], v34, v2 src0_sel:WORD_0 src1_sel:DWORD
	v_cndmask_b32_e64 v55, v17, v34, s[28:29]
; %bb.433:                              ;   in Loop: Header=BB2_425 Depth=4
	s_or_b64 exec, exec, s[94:95]
	v_lshlrev_b32_e32 v17, 16, v41
	v_lshlrev_b32_e32 v34, 16, v43
	v_max_f32_e32 v34, v34, v34
	v_max_f32_e32 v17, v17, v17
	v_min_f32_e32 v41, v17, v34
	v_max_f32_e32 v17, v17, v34
	v_cndmask_b32_e32 v34, v17, v41, vcc
	v_and_b32_e32 v17, 0x7f800000, v34
	v_cmp_ne_u32_e64 s[28:29], s65, v17
                                        ; implicit-def: $vgpr41
	s_and_saveexec_b64 s[94:95], s[28:29]
	s_xor_b64 s[28:29], exec, s[94:95]
; %bb.434:                              ;   in Loop: Header=BB2_425 Depth=4
	v_bfe_u32 v17, v34, 16, 1
	v_add3_u32 v41, v34, v17, s66
                                        ; implicit-def: $vgpr34
; %bb.435:                              ;   in Loop: Header=BB2_425 Depth=4
	s_andn2_saveexec_b64 s[94:95], s[28:29]
; %bb.436:                              ;   in Loop: Header=BB2_425 Depth=4
	v_or_b32_e32 v17, 0x10000, v34
	v_cmp_eq_u32_sdwa s[28:29], v34, v2 src0_sel:WORD_0 src1_sel:DWORD
	v_cndmask_b32_e64 v41, v17, v34, s[28:29]
; %bb.437:                              ;   in Loop: Header=BB2_425 Depth=4
	s_or_b64 exec, exec, s[94:95]
	v_lshlrev_b32_e32 v17, 16, v49
	v_lshlrev_b32_e32 v34, 16, v54
	v_max_f32_e32 v34, v34, v34
	v_max_f32_e32 v17, v17, v17
	v_min_f32_e32 v49, v17, v34
	v_max_f32_e32 v17, v17, v34
	v_cndmask_b32_e32 v34, v17, v49, vcc
	v_and_b32_e32 v17, 0x7f800000, v34
	v_cmp_ne_u32_e64 s[28:29], s65, v17
                                        ; implicit-def: $vgpr49
	s_and_saveexec_b64 s[94:95], s[28:29]
	s_xor_b64 s[28:29], exec, s[94:95]
; %bb.438:                              ;   in Loop: Header=BB2_425 Depth=4
	v_bfe_u32 v17, v34, 16, 1
	v_add3_u32 v49, v34, v17, s66
                                        ; implicit-def: $vgpr34
; %bb.439:                              ;   in Loop: Header=BB2_425 Depth=4
	s_andn2_saveexec_b64 s[94:95], s[28:29]
	s_cbranch_execz .LBB2_424
; %bb.440:                              ;   in Loop: Header=BB2_425 Depth=4
	v_or_b32_e32 v17, 0x10000, v34
	v_cmp_eq_u32_sdwa s[28:29], v34, v2 src0_sel:WORD_0 src1_sel:DWORD
	v_cndmask_b32_e64 v49, v17, v34, s[28:29]
	s_branch .LBB2_424
.LBB2_441:                              ;   in Loop: Header=BB2_272 Depth=3
	s_or_b64 exec, exec, s[92:93]
	v_mov_b32_e32 v58, 0xc8
.LBB2_442:                              ;   in Loop: Header=BB2_272 Depth=3
	s_or_b64 exec, exec, s[90:91]
	v_lshlrev_b32_e32 v8, 9, v19
	v_cmp_ne_u32_e32 vcc, v53, v8
	s_and_b64 exec, exec, vcc
	s_cbranch_execz .LBB2_450
; %bb.443:                              ;   in Loop: Header=BB2_272 Depth=3
	v_lshlrev_b32_e32 v0, 6, v0
	v_sub_u32_e32 v0, v15, v0
	v_lshlrev_b32_e32 v9, 6, v18
	v_sub_u32_e32 v0, v0, v9
	v_ashrrev_i32_e32 v9, 31, v0
	v_lshrrev_b32_e32 v9, 26, v9
	v_add_u32_e32 v9, v0, v9
	v_and_b32_e32 v10, 0x7fffffc0, v9
	v_sub_u32_e32 v0, v0, v10
	v_lshlrev_b32_e32 v9, 1, v9
	v_and_b32_e32 v9, 0xffffff80, v9
	v_lshlrev_b32_e32 v0, 1, v0
	v_add3_u32 v8, v9, v0, v8
	v_sub_u32_e32 v0, v53, v8
	v_cmp_lt_i32_e32 vcc, 1, v0
	s_and_b64 exec, exec, vcc
	s_cbranch_execz .LBB2_450
; %bb.444:                              ;   in Loop: Header=BB2_272 Depth=3
	s_trap 2
	ds_read_b64 v[10:11], v0
	v_add_u32_e32 v12, v8, v14
	v_ashrrev_i32_e32 v13, 31, v12
	v_add_co_u32_e32 v8, vcc, v12, v46
	v_addc_co_u32_e32 v9, vcc, v13, v47, vcc
	s_waitcnt lgkmcnt(0)
	v_add_co_u32_e32 v10, vcc, v10, v12
	v_addc_co_u32_e32 v11, vcc, v11, v13, vcc
	v_add_co_u32_e32 v12, vcc, v12, v56
	s_and_b32 s58, s34, 1
	v_addc_co_u32_e32 v13, vcc, v13, v57, vcc
	s_cmp_eq_u64 s[58:59], 0
	s_mov_b64 s[90:91], 0
	s_cselect_b64 vcc, -1, 0
	s_branch .LBB2_446
.LBB2_445:                              ;   in Loop: Header=BB2_446 Depth=4
	s_or_b64 exec, exec, s[92:93]
	v_add_co_u32_e64 v8, s[28:29], v8, v31
	v_addc_co_u32_e64 v9, s[28:29], 0, v9, s[28:29]
	v_add_co_u32_e64 v10, s[28:29], v10, v31
	v_addc_co_u32_e64 v11, s[28:29], 0, v11, s[28:29]
	v_sub_u32_e32 v0, v0, v31
	v_cmp_gt_i32_e64 s[28:29], 2, v0
	flat_store_short_d16_hi v[12:13], v15 glc slc
	s_or_b64 s[90:91], s[28:29], s[90:91]
	v_add_co_u32_e64 v12, s[28:29], v12, v31
	v_addc_co_u32_e64 v13, s[28:29], 0, v13, s[28:29]
	s_andn2_b64 exec, exec, s[90:91]
	s_cbranch_execz .LBB2_450
.LBB2_446:                              ;   Parent Loop BB2_47 Depth=1
                                        ;     Parent Loop BB2_269 Depth=2
                                        ;       Parent Loop BB2_272 Depth=3
                                        ; =>      This Inner Loop Header: Depth=4
	flat_load_ushort v14, v[10:11] glc slc
	flat_load_ushort v15, v[8:9] glc slc
	s_waitcnt vmcnt(0) lgkmcnt(0)
	v_lshlrev_b32_e32 v14, 16, v14
	v_lshlrev_b32_e32 v15, 16, v15
	v_max_f32_e32 v14, v14, v14
	v_max_f32_e32 v15, v15, v15
	v_min_f32_e32 v17, v15, v14
	v_max_f32_e32 v14, v15, v14
	v_cndmask_b32_e32 v14, v14, v17, vcc
	v_and_b32_e32 v15, 0x7f800000, v14
	v_cmp_ne_u32_e64 s[28:29], s65, v15
                                        ; implicit-def: $vgpr15
	s_and_saveexec_b64 s[92:93], s[28:29]
	s_xor_b64 s[28:29], exec, s[92:93]
; %bb.447:                              ;   in Loop: Header=BB2_446 Depth=4
	v_bfe_u32 v15, v14, 16, 1
	v_add3_u32 v15, v14, v15, s66
                                        ; implicit-def: $vgpr14
; %bb.448:                              ;   in Loop: Header=BB2_446 Depth=4
	s_andn2_saveexec_b64 s[92:93], s[28:29]
	s_cbranch_execz .LBB2_445
; %bb.449:                              ;   in Loop: Header=BB2_446 Depth=4
	v_or_b32_e32 v15, 0x10000, v14
	v_cmp_eq_u32_sdwa s[28:29], v14, v2 src0_sel:WORD_0 src1_sel:DWORD
	v_cndmask_b32_e64 v15, v15, v14, s[28:29]
	s_branch .LBB2_445
.LBB2_450:                              ;   in Loop: Header=BB2_272 Depth=3
	s_or_b64 exec, exec, s[40:41]
	v_cmp_lt_i32_e64 s[28:29], 0, v3
	s_and_saveexec_b64 s[40:41], s[10:11]
	s_cbranch_execz .LBB2_469
.LBB2_451:                              ;   in Loop: Header=BB2_272 Depth=3
	s_and_saveexec_b64 s[90:91], s[60:61]
	s_xor_b64 s[90:91], exec, s[90:91]
	s_cbranch_execz .LBB2_466
; %bb.452:                              ;   in Loop: Header=BB2_272 Depth=3
	s_and_saveexec_b64 s[92:93], s[16:17]
	s_cbranch_execz .LBB2_465
; %bb.453:                              ;   in Loop: Header=BB2_272 Depth=3
	s_mov_b64 s[30:31], exec
	v_mbcnt_lo_u32_b32 v0, s30, 0
	v_mbcnt_hi_u32_b32 v0, s31, v0
	v_cmp_eq_u32_e32 vcc, 0, v0
	s_waitcnt vmcnt(0) lgkmcnt(0)
	buffer_wbinvl1_vol
	s_and_saveexec_b64 s[94:95], vcc
	s_cbranch_execz .LBB2_455
; %bb.454:                              ;   in Loop: Header=BB2_272 Depth=3
	s_bcnt1_i32_b64 s58, s[30:31]
	v_mov_b32_e32 v8, s58
	v_mov_b32_e32 v9, v2
	ds_add_u64 v0, v[8:9]
	s_trap 2
.LBB2_455:                              ;   in Loop: Header=BB2_272 Depth=3
	s_or_b64 exec, exec, s[94:95]
	s_trap 2
	ds_read_b64 v[8:9], v0
	s_waitcnt lgkmcnt(0)
	v_add_co_u32_e32 v28, vcc, v28, v21
	v_addc_co_u32_e32 v29, vcc, 0, v29, vcc
	v_cmp_lt_u64_e32 vcc, v[8:9], v[28:29]
	s_and_saveexec_b64 s[94:95], vcc
	s_cbranch_execz .LBB2_464
; %bb.456:                              ;   in Loop: Header=BB2_272 Depth=3
	s_mov_b32 s58, 0
	s_mov_b64 s[30:31], 0
                                        ; implicit-def: $sgpr34_sgpr35
                                        ; implicit-def: $sgpr36_sgpr37
	s_branch .LBB2_458
.LBB2_457:                              ;   in Loop: Header=BB2_458 Depth=4
	s_or_b64 exec, exec, s[48:49]
	s_and_b64 vcc, exec, vcc
	s_or_b64 s[30:31], vcc, s[30:31]
	s_andn2_b64 vcc, s[34:35], exec
	s_and_b64 s[34:35], s[36:37], exec
	s_or_b64 s[34:35], vcc, s[34:35]
	s_andn2_b64 exec, exec, s[30:31]
	s_cbranch_execz .LBB2_462
.LBB2_458:                              ;   Parent Loop BB2_47 Depth=1
                                        ;     Parent Loop BB2_269 Depth=2
                                        ;       Parent Loop BB2_272 Depth=3
                                        ; =>      This Inner Loop Header: Depth=4
	s_add_i32 s58, s58, 1
	s_cmpk_lg_i32 s58, 0x2710
	s_cselect_b64 s[38:39], -1, 0
	s_and_b64 vcc, exec, s[38:39]
	s_cbranch_vccz .LBB2_460
; %bb.459:                              ;   in Loop: Header=BB2_458 Depth=4
	s_mov_b64 vcc, -1
	s_or_b64 s[36:37], s[36:37], exec
	s_and_saveexec_b64 s[48:49], s[38:39]
	s_cbranch_execz .LBB2_457
	s_branch .LBB2_461
.LBB2_460:                              ;   in Loop: Header=BB2_458 Depth=4
	s_trap 2
	ds_read_b64 v[8:9], v0
	s_andn2_b64 s[38:39], s[38:39], exec
	s_mov_b32 s58, 0
	s_waitcnt lgkmcnt(0)
	flat_load_dword v0, v[8:9] glc
	s_waitcnt vmcnt(0) lgkmcnt(0)
	buffer_wbinvl1_vol
	v_cmp_eq_u32_e32 vcc, 0, v0
	s_and_b64 vcc, vcc, exec
	s_or_b64 s[38:39], s[38:39], vcc
	s_mov_b64 vcc, -1
	s_or_b64 s[36:37], s[36:37], exec
	s_and_saveexec_b64 s[48:49], s[38:39]
	s_cbranch_execz .LBB2_457
.LBB2_461:                              ;   in Loop: Header=BB2_458 Depth=4
	s_sleep 1
	s_trap 2
	ds_read_b64 v[8:9], v0
	s_waitcnt lgkmcnt(0)
	s_andn2_b64 s[36:37], s[36:37], exec
	v_cmp_ge_u64_e32 vcc, v[8:9], v[28:29]
	s_orn2_b64 vcc, vcc, exec
	s_branch .LBB2_457
.LBB2_462:                              ;   in Loop: Header=BB2_272 Depth=3
	s_or_b64 exec, exec, s[30:31]
	s_and_saveexec_b64 vcc, s[34:35]
	s_xor_b64 vcc, exec, vcc
	s_cbranch_execz .LBB2_464
; %bb.463:                              ;   in Loop: Header=BB2_272 Depth=3
	ds_write_b32 v0, v37
	s_trap 2
.LBB2_464:                              ;   in Loop: Header=BB2_272 Depth=3
	s_or_b64 exec, exec, s[94:95]
	;;#ASMSTART
	s_wakeup
	;;#ASMEND
.LBB2_465:                              ;   in Loop: Header=BB2_272 Depth=3
	s_or_b64 exec, exec, s[92:93]
.LBB2_466:                              ;   in Loop: Header=BB2_272 Depth=3
	s_andn2_saveexec_b64 s[90:91], s[90:91]
	s_cbranch_execz .LBB2_468
; %bb.467:                              ;   in Loop: Header=BB2_272 Depth=3
	s_waitcnt vmcnt(0) lgkmcnt(0)
	buffer_wbinvl1_vol
	s_barrier
.LBB2_468:                              ;   in Loop: Header=BB2_272 Depth=3
	s_or_b64 exec, exec, s[90:91]
.LBB2_469:                              ;   in Loop: Header=BB2_272 Depth=3
	s_or_b64 exec, exec, s[40:41]
	v_and_b32_e32 v0, 16, v62
	s_and_saveexec_b64 s[40:41], s[24:25]
	s_xor_b64 s[40:41], exec, s[40:41]
	s_cbranch_execz .LBB2_473
; %bb.470:                              ;   in Loop: Header=BB2_272 Depth=3
	v_and_b32_e32 v3, 16, v62
	v_cmp_ne_u32_e32 vcc, 0, v3
	v_and_b32_e32 v0, 16, v62
	s_and_b64 s[90:91], vcc, s[28:29]
	s_and_saveexec_b64 s[28:29], s[90:91]
	s_cbranch_execz .LBB2_472
; %bb.471:                              ;   in Loop: Header=BB2_272 Depth=3
	v_mov_b32_e32 v0, 1
	s_waitcnt vmcnt(0) lgkmcnt(0)
	buffer_wbinvl1_vol
.LBB2_472:                              ;   in Loop: Header=BB2_272 Depth=3
	s_or_b64 exec, exec, s[28:29]
.LBB2_473:                              ;   in Loop: Header=BB2_272 Depth=3
	s_andn2_saveexec_b64 s[28:29], s[40:41]
	s_cbranch_execz .LBB2_492
; %bb.474:                              ;   in Loop: Header=BB2_272 Depth=3
	s_and_saveexec_b64 s[40:41], s[60:61]
	s_xor_b64 s[40:41], exec, s[40:41]
	s_cbranch_execz .LBB2_489
; %bb.475:                              ;   in Loop: Header=BB2_272 Depth=3
	s_and_saveexec_b64 s[90:91], s[16:17]
	s_cbranch_execz .LBB2_488
; %bb.476:                              ;   in Loop: Header=BB2_272 Depth=3
	s_mov_b64 s[94:95], exec
	v_mbcnt_lo_u32_b32 v3, s94, 0
	v_mbcnt_hi_u32_b32 v3, s95, v3
	v_cmp_eq_u32_e32 vcc, 0, v3
	;;#ASMSTART
	s_waitcnt lgkmcnt(0) vmcnt(0)
	;;#ASMEND
	s_and_saveexec_b64 s[92:93], vcc
	s_cbranch_execz .LBB2_478
; %bb.477:                              ;   in Loop: Header=BB2_272 Depth=3
	s_bcnt1_i32_b64 s58, s[94:95]
	v_mov_b32_e32 v8, s58
	v_mov_b32_e32 v9, v2
	s_waitcnt lgkmcnt(0)
	ds_add_u64 v0, v[8:9]
	s_trap 2
.LBB2_478:                              ;   in Loop: Header=BB2_272 Depth=3
	s_or_b64 exec, exec, s[92:93]
	s_trap 2
	ds_read_b64 v[8:9], v0
	s_waitcnt lgkmcnt(0)
	v_add_co_u32_e32 v28, vcc, v28, v21
	v_addc_co_u32_e32 v29, vcc, 0, v29, vcc
	v_cmp_lt_u64_e32 vcc, v[8:9], v[28:29]
	s_and_saveexec_b64 s[92:93], vcc
	s_cbranch_execz .LBB2_487
; %bb.479:                              ;   in Loop: Header=BB2_272 Depth=3
	s_mov_b32 s58, 0
	s_mov_b64 s[94:95], 0
                                        ; implicit-def: $sgpr30_sgpr31
                                        ; implicit-def: $sgpr34_sgpr35
	s_branch .LBB2_481
.LBB2_480:                              ;   in Loop: Header=BB2_481 Depth=4
	s_or_b64 exec, exec, s[38:39]
	s_and_b64 vcc, exec, vcc
	s_or_b64 s[94:95], vcc, s[94:95]
	s_andn2_b64 vcc, s[30:31], exec
	s_and_b64 s[30:31], s[34:35], exec
	s_or_b64 s[30:31], vcc, s[30:31]
	s_andn2_b64 exec, exec, s[94:95]
	s_cbranch_execz .LBB2_485
.LBB2_481:                              ;   Parent Loop BB2_47 Depth=1
                                        ;     Parent Loop BB2_269 Depth=2
                                        ;       Parent Loop BB2_272 Depth=3
                                        ; =>      This Inner Loop Header: Depth=4
	s_add_i32 s58, s58, 1
	s_cmpk_lg_i32 s58, 0x2710
	s_cselect_b64 s[36:37], -1, 0
	s_and_b64 vcc, exec, s[36:37]
	s_cbranch_vccz .LBB2_483
; %bb.482:                              ;   in Loop: Header=BB2_481 Depth=4
	s_mov_b64 vcc, -1
	s_or_b64 s[34:35], s[34:35], exec
	s_and_saveexec_b64 s[38:39], s[36:37]
	s_cbranch_execz .LBB2_480
	s_branch .LBB2_484
.LBB2_483:                              ;   in Loop: Header=BB2_481 Depth=4
	s_trap 2
	ds_read_b64 v[8:9], v0
	s_andn2_b64 s[36:37], s[36:37], exec
	s_mov_b32 s58, 0
	s_waitcnt vmcnt(0) lgkmcnt(0)
	flat_load_dword v3, v[8:9] glc
	s_waitcnt vmcnt(0) lgkmcnt(0)
	buffer_wbinvl1_vol
	v_cmp_eq_u32_e32 vcc, 0, v3
	s_and_b64 vcc, vcc, exec
	s_or_b64 s[36:37], s[36:37], vcc
	s_mov_b64 vcc, -1
	s_or_b64 s[34:35], s[34:35], exec
	s_and_saveexec_b64 s[38:39], s[36:37]
	s_cbranch_execz .LBB2_480
.LBB2_484:                              ;   in Loop: Header=BB2_481 Depth=4
	s_sleep 1
	s_trap 2
	ds_read_b64 v[8:9], v0
	s_waitcnt lgkmcnt(0)
	s_andn2_b64 s[34:35], s[34:35], exec
	v_cmp_ge_u64_e32 vcc, v[8:9], v[28:29]
	s_orn2_b64 vcc, vcc, exec
	s_branch .LBB2_480
.LBB2_485:                              ;   in Loop: Header=BB2_272 Depth=3
	s_or_b64 exec, exec, s[94:95]
	s_and_saveexec_b64 s[94:95], s[30:31]
	s_xor_b64 s[94:95], exec, s[94:95]
	s_cbranch_execz .LBB2_487
; %bb.486:                              ;   in Loop: Header=BB2_272 Depth=3
	ds_write_b32 v0, v37
	s_trap 2
.LBB2_487:                              ;   in Loop: Header=BB2_272 Depth=3
	s_or_b64 exec, exec, s[92:93]
	;;#ASMSTART
	s_wakeup
	;;#ASMEND
.LBB2_488:                              ;   in Loop: Header=BB2_272 Depth=3
	s_or_b64 exec, exec, s[90:91]
.LBB2_489:                              ;   in Loop: Header=BB2_272 Depth=3
	s_andn2_saveexec_b64 s[40:41], s[40:41]
	s_cbranch_execz .LBB2_491
; %bb.490:                              ;   in Loop: Header=BB2_272 Depth=3
	;;#ASMSTART
	s_waitcnt lgkmcnt(0) vmcnt(0)
	;;#ASMEND
	s_waitcnt vmcnt(0) lgkmcnt(0)
	s_barrier
.LBB2_491:                              ;   in Loop: Header=BB2_272 Depth=3
	s_or_b64 exec, exec, s[40:41]
.LBB2_492:                              ;   in Loop: Header=BB2_272 Depth=3
	s_or_b64 exec, exec, s[28:29]
	v_cmp_ne_u32_e32 vcc, 0, v0
	s_xor_b64 s[28:29], s[12:13], -1
	s_and_b64 s[40:41], vcc, s[28:29]
	s_and_saveexec_b64 s[28:29], s[40:41]
	s_cbranch_execz .LBB2_494
; %bb.493:                              ;   in Loop: Header=BB2_272 Depth=3
	flat_store_dword v[26:27], v37
.LBB2_494:                              ;   in Loop: Header=BB2_272 Depth=3
	s_or_b64 exec, exec, s[28:29]
	v_and_b32_e32 v0, 48, v62
	v_cmp_ne_u32_e32 vcc, 0, v0
	s_and_saveexec_b64 s[28:29], vcc
	s_cbranch_execz .LBB2_271
; %bb.495:                              ;   in Loop: Header=BB2_272 Depth=3
	v_add_co_u32_e32 v50, vcc, 2, v50
	v_addc_co_u32_e32 v51, vcc, 0, v51, vcc
	flat_store_dwordx2 v[22:23], v[50:51]
	s_branch .LBB2_271
.LBB2_496:                              ;   in Loop: Header=BB2_269 Depth=2
	s_or_b64 exec, exec, s[44:45]
.LBB2_497:                              ;   in Loop: Header=BB2_269 Depth=2
	s_or_b64 exec, exec, s[42:43]
	v_cmp_gt_i32_e32 vcc, 2, v0
	s_and_saveexec_b64 s[40:41], vcc
	s_cbranch_execz .LBB2_268
; %bb.498:                              ;   in Loop: Header=BB2_269 Depth=2
	v_cmp_eq_u32_e64 s[44:45], 0, v0
	s_mov_b64 s[42:43], 0
	s_branch .LBB2_500
.LBB2_499:                              ;   in Loop: Header=BB2_500 Depth=3
	s_or_b64 exec, exec, s[28:29]
	v_add_u32_e32 v42, v40, v42
	s_mov_b64 s[44:45], 0
	s_andn2_b64 exec, exec, s[42:43]
	s_cbranch_execz .LBB2_267
.LBB2_500:                              ;   Parent Loop BB2_47 Depth=1
                                        ;     Parent Loop BB2_269 Depth=2
                                        ; =>    This Loop Header: Depth=3
                                        ;         Child Loop BB2_506 Depth 4
                                        ;         Child Loop BB2_534 Depth 4
	;; [unrolled: 1-line block ×3, first 2 shown]
	v_sub_u32_e32 v0, v52, v42
	v_min_i32_e32 v40, v40, v0
	v_and_b32_e32 v0, 12, v62
	v_cmp_ne_u32_e32 vcc, 0, v0
	s_and_saveexec_b64 s[88:89], vcc
	s_cbranch_execz .LBB2_526
; %bb.501:                              ;   in Loop: Header=BB2_500 Depth=3
	v_and_b32_e32 v0, 8, v62
	s_waitcnt vmcnt(0) lgkmcnt(0)
	v_add_co_u32_e32 v10, vcc, v32, v0
	v_addc_co_u32_e32 v11, vcc, 0, v33, vcc
	v_add_co_u32_e32 v8, vcc, 2, v50
	v_addc_co_u32_e32 v9, vcc, 0, v51, vcc
	v_cmp_lt_u64_e32 vcc, v[10:11], v[8:9]
	s_and_saveexec_b64 s[90:91], vcc
	s_cbranch_execz .LBB2_513
; %bb.502:                              ;   in Loop: Header=BB2_500 Depth=3
	v_and_b32_e32 v3, 64, v62
	s_mov_b32 s58, 0
	v_cmp_eq_u32_e32 vcc, 0, v3
	s_mov_b64 s[92:93], 0
                                        ; implicit-def: $sgpr94_sgpr95
                                        ; implicit-def: $sgpr30_sgpr31
                                        ; implicit-def: $sgpr34_sgpr35
	s_branch .LBB2_506
.LBB2_503:                              ;   in Loop: Header=BB2_506 Depth=4
	s_waitcnt vmcnt(0) lgkmcnt(0)
	v_add_co_u32_e64 v10, s[28:29], v32, v0
	v_addc_co_u32_e64 v11, s[28:29], 0, v33, s[28:29]
	v_cmp_ge_u64_e64 s[28:29], v[10:11], v[8:9]
	s_or_b64 s[48:49], s[48:49], exec
	s_orn2_b64 s[38:39], s[28:29], exec
.LBB2_504:                              ;   in Loop: Header=BB2_506 Depth=4
	s_or_b64 exec, exec, s[52:53]
	s_andn2_b64 s[28:29], s[34:35], exec
	s_and_b64 s[34:35], s[48:49], exec
	s_or_b64 s[34:35], s[28:29], s[34:35]
	s_andn2_b64 s[28:29], s[30:31], exec
	s_and_b64 s[30:31], s[38:39], exec
	s_or_b64 s[30:31], s[28:29], s[30:31]
.LBB2_505:                              ;   in Loop: Header=BB2_506 Depth=4
	s_or_b64 exec, exec, s[36:37]
	s_and_b64 s[28:29], exec, s[30:31]
	s_or_b64 s[92:93], s[28:29], s[92:93]
	s_andn2_b64 s[28:29], s[94:95], exec
	s_and_b64 s[94:95], s[34:35], exec
	s_or_b64 s[94:95], s[28:29], s[94:95]
	s_andn2_b64 exec, exec, s[92:93]
	s_cbranch_execz .LBB2_510
.LBB2_506:                              ;   Parent Loop BB2_47 Depth=1
                                        ;     Parent Loop BB2_269 Depth=2
                                        ;       Parent Loop BB2_500 Depth=3
                                        ; =>      This Inner Loop Header: Depth=4
	s_sleep 1
	s_waitcnt vmcnt(0) lgkmcnt(0)
	flat_load_dwordx2 v[32:33], v[22:23] glc
	s_or_b64 s[34:35], s[34:35], exec
	s_or_b64 s[30:31], s[30:31], exec
                                        ; implicit-def: $vgpr3
	s_and_saveexec_b64 s[36:37], vcc
	s_cbranch_execz .LBB2_505
; %bb.507:                              ;   in Loop: Header=BB2_506 Depth=4
	s_cmpk_lt_i32 s58, 0x270f
	s_cselect_b64 s[50:51], -1, 0
	s_cmpk_gt_i32 s58, 0x270e
	s_mov_b64 s[38:39], -1
	s_cbranch_scc0 .LBB2_509
; %bb.508:                              ;   in Loop: Header=BB2_506 Depth=4
	s_trap 2
	ds_read_b64 v[10:11], v0
	s_andn2_b64 s[50:51], s[50:51], exec
	s_mov_b32 s58, 0
	s_mov_b64 s[48:49], 0
	s_waitcnt vmcnt(0) lgkmcnt(0)
	flat_load_dword v3, v[10:11] glc
	s_waitcnt vmcnt(0) lgkmcnt(0)
	buffer_wbinvl1_vol
	v_cmp_eq_u32_e64 s[28:29], 0, v3
	s_and_b64 s[28:29], s[28:29], exec
	s_or_b64 s[50:51], s[50:51], s[28:29]
	s_and_saveexec_b64 s[52:53], s[50:51]
	s_cbranch_execz .LBB2_504
	s_branch .LBB2_503
.LBB2_509:                              ;   in Loop: Header=BB2_506 Depth=4
	s_add_i32 s58, s58, 1
	s_mov_b64 s[48:49], -1
                                        ; implicit-def: $vgpr3
	s_and_saveexec_b64 s[52:53], s[50:51]
	s_cbranch_execz .LBB2_504
	s_branch .LBB2_503
.LBB2_510:                              ;   in Loop: Header=BB2_500 Depth=3
	s_or_b64 exec, exec, s[92:93]
	s_xor_b64 s[28:29], s[94:95], -1
	s_and_saveexec_b64 s[92:93], s[28:29]
	s_xor_b64 s[28:29], exec, s[92:93]
	s_cbranch_execz .LBB2_512
; %bb.511:                              ;   in Loop: Header=BB2_500 Depth=3
	v_or_b32_e32 v62, 64, v62
	s_waitcnt lgkmcnt(0)
	ds_write_b32 v0, v3
	s_trap 2
.LBB2_512:                              ;   in Loop: Header=BB2_500 Depth=3
	s_or_b64 exec, exec, s[28:29]
.LBB2_513:                              ;   in Loop: Header=BB2_500 Depth=3
	s_or_b64 exec, exec, s[90:91]
	v_and_b32_e32 v3, 0x108, v62
	v_cmp_ne_u32_e32 vcc, s64, v3
	;;#ASMSTART
	s_wakeup
	;;#ASMEND
                                        ; implicit-def: $vgpr10_vgpr11
	s_and_saveexec_b64 s[28:29], vcc
	s_xor_b64 s[28:29], exec, s[28:29]
; %bb.514:                              ;   in Loop: Header=BB2_500 Depth=3
	v_and_b32_e32 v10, 7, v50
	v_mov_b32_e32 v11, v2
                                        ; implicit-def: $vgpr50_vgpr51
; %bb.515:                              ;   in Loop: Header=BB2_500 Depth=3
	s_andn2_saveexec_b64 s[28:29], s[28:29]
	s_cbranch_execz .LBB2_517
; %bb.516:                              ;   in Loop: Header=BB2_500 Depth=3
	v_and_b32_e32 v10, 7, v50
	v_mad_u64_u32 v[12:13], s[90:91], v10, 24, v[6:7]
	v_ashrrev_i32_e32 v41, 31, v40
	v_lshlrev_b64 v[14:15], 1, v[40:41]
	v_mov_b32_e32 v11, v2
	flat_store_dwordx2 v[12:13], v[14:15] offset:8
.LBB2_517:                              ;   in Loop: Header=BB2_500 Depth=3
	s_or_b64 exec, exec, s[28:29]
	v_and_b32_e32 v3, 0x100, v62
	v_cmp_ne_u32_e32 vcc, 0, v3
	s_mov_b64 s[28:29], -1
                                        ; implicit-def: $vgpr12_vgpr13
	s_and_saveexec_b64 s[90:91], vcc
	s_cbranch_execz .LBB2_521
; %bb.518:                              ;   in Loop: Header=BB2_500 Depth=3
	v_mad_u64_u32 v[14:15], s[28:29], v10, 24, v[6:7]
	v_mov_b32_e32 v3, v15
	v_mad_u64_u32 v[12:13], s[28:29], v11, 24, v[3:4]
	v_mov_b32_e32 v15, v12
	flat_load_dword v3, v[14:15]
                                        ; implicit-def: $vgpr12_vgpr13
	s_waitcnt vmcnt(0) lgkmcnt(0)
	v_cmp_ne_u32_e32 vcc, 1, v3
	v_cmp_eq_u32_e64 s[28:29], 1, v3
	s_and_saveexec_b64 s[92:93], s[28:29]
	s_cbranch_execz .LBB2_520
; %bb.519:                              ;   in Loop: Header=BB2_500 Depth=3
	flat_load_dword v12, v[14:15] offset:4 glc
	s_waitcnt vmcnt(0) lgkmcnt(0)
	v_ashrrev_i32_e32 v13, 31, v12
	v_lshrrev_b64 v[12:13], 1, v[12:13]
.LBB2_520:                              ;   in Loop: Header=BB2_500 Depth=3
	s_or_b64 exec, exec, s[92:93]
	s_orn2_b64 s[28:29], vcc, exec
.LBB2_521:                              ;   in Loop: Header=BB2_500 Depth=3
	s_or_b64 exec, exec, s[90:91]
	s_and_saveexec_b64 s[90:91], s[28:29]
	s_cbranch_execz .LBB2_523
; %bb.522:                              ;   in Loop: Header=BB2_500 Depth=3
	v_mul_lo_u32 v3, v11, v30
	v_mul_lo_u32 v11, v10, v60
	v_mad_u64_u32 v[12:13], s[28:29], v10, v30, 0
	v_add3_u32 v13, v13, v11, v3
.LBB2_523:                              ;   in Loop: Header=BB2_500 Depth=3
	s_or_b64 exec, exec, s[90:91]
	v_lshlrev_b64 v[10:11], 1, v[12:13]
	v_cmp_eq_u32_e32 vcc, 0, v0
	v_mov_b32_e32 v0, 0x90
	v_cndmask_b32_e32 v0, v58, v0, vcc
	v_add_co_u32_e32 v10, vcc, v24, v10
	v_addc_co_u32_e32 v11, vcc, v25, v11, vcc
	v_add_u32_e32 v0, v0, v0
	ds_write_b64 v0, v[10:11] offset:584
	v_and_b32_e32 v0, 0x2000, v62
	v_cmp_ne_u32_e32 vcc, 0, v0
	s_and_saveexec_b64 s[28:29], vcc
	s_cbranch_execz .LBB2_525
; %bb.524:                              ;   in Loop: Header=BB2_500 Depth=3
	ds_read_b64 v[10:11], v0 offset:872
	s_waitcnt lgkmcnt(0)
	v_add_co_u32_e32 v10, vcc, 1, v10
	v_addc_co_u32_e32 v11, vcc, 0, v11, vcc
	ds_write_b64 v0, v[10:11] offset:872
.LBB2_525:                              ;   in Loop: Header=BB2_500 Depth=3
	s_or_b64 exec, exec, s[28:29]
	v_mov_b32_e32 v51, v9
	v_mov_b32_e32 v50, v8
.LBB2_526:                              ;   in Loop: Header=BB2_500 Depth=3
	s_or_b64 exec, exec, s[88:89]
	s_xor_b64 s[28:29], s[44:45], -1
	s_and_b64 s[28:29], exec, s[28:29]
	s_or_b64 s[42:43], s[28:29], s[42:43]
	s_and_saveexec_b64 s[28:29], s[10:11]
	s_cbranch_execz .LBB2_545
; %bb.527:                              ;   in Loop: Header=BB2_500 Depth=3
	s_and_saveexec_b64 s[44:45], s[60:61]
	s_xor_b64 s[44:45], exec, s[44:45]
	s_cbranch_execz .LBB2_542
; %bb.528:                              ;   in Loop: Header=BB2_500 Depth=3
	s_and_saveexec_b64 s[88:89], s[16:17]
	s_cbranch_execz .LBB2_541
; %bb.529:                              ;   in Loop: Header=BB2_500 Depth=3
	s_mov_b64 s[92:93], exec
	v_mbcnt_lo_u32_b32 v0, s92, 0
	v_mbcnt_hi_u32_b32 v0, s93, v0
	v_cmp_eq_u32_e32 vcc, 0, v0
	s_waitcnt vmcnt(0) lgkmcnt(0)
	buffer_wbinvl1_vol
	s_and_saveexec_b64 s[90:91], vcc
	s_cbranch_execz .LBB2_531
; %bb.530:                              ;   in Loop: Header=BB2_500 Depth=3
	s_bcnt1_i32_b64 s58, s[92:93]
	v_mov_b32_e32 v8, s58
	v_mov_b32_e32 v9, v2
	ds_add_u64 v0, v[8:9]
	s_trap 2
.LBB2_531:                              ;   in Loop: Header=BB2_500 Depth=3
	s_or_b64 exec, exec, s[90:91]
	s_trap 2
	ds_read_b64 v[8:9], v0
	s_waitcnt lgkmcnt(0)
	v_add_co_u32_e32 v28, vcc, v28, v21
	v_addc_co_u32_e32 v29, vcc, 0, v29, vcc
	v_cmp_lt_u64_e32 vcc, v[8:9], v[28:29]
	s_and_saveexec_b64 s[90:91], vcc
	s_cbranch_execz .LBB2_540
; %bb.532:                              ;   in Loop: Header=BB2_500 Depth=3
	s_mov_b32 s58, 0
	s_mov_b64 s[92:93], 0
                                        ; implicit-def: $sgpr94_sgpr95
                                        ; implicit-def: $sgpr30_sgpr31
	s_branch .LBB2_534
.LBB2_533:                              ;   in Loop: Header=BB2_534 Depth=4
	s_or_b64 exec, exec, s[36:37]
	s_and_b64 vcc, exec, vcc
	s_or_b64 s[92:93], vcc, s[92:93]
	s_andn2_b64 s[94:95], s[94:95], exec
	s_and_b64 vcc, s[30:31], exec
	s_or_b64 s[94:95], s[94:95], vcc
	s_andn2_b64 exec, exec, s[92:93]
	s_cbranch_execz .LBB2_538
.LBB2_534:                              ;   Parent Loop BB2_47 Depth=1
                                        ;     Parent Loop BB2_269 Depth=2
                                        ;       Parent Loop BB2_500 Depth=3
                                        ; =>      This Inner Loop Header: Depth=4
	s_add_i32 s58, s58, 1
	s_cmpk_lg_i32 s58, 0x2710
	s_cselect_b64 s[34:35], -1, 0
	s_and_b64 vcc, exec, s[34:35]
	s_cbranch_vccz .LBB2_536
; %bb.535:                              ;   in Loop: Header=BB2_534 Depth=4
	s_mov_b64 vcc, -1
	s_or_b64 s[30:31], s[30:31], exec
	s_and_saveexec_b64 s[36:37], s[34:35]
	s_cbranch_execz .LBB2_533
	s_branch .LBB2_537
.LBB2_536:                              ;   in Loop: Header=BB2_534 Depth=4
	s_trap 2
	ds_read_b64 v[8:9], v0
	s_andn2_b64 s[34:35], s[34:35], exec
	s_mov_b32 s58, 0
	s_waitcnt lgkmcnt(0)
	flat_load_dword v0, v[8:9] glc
	s_waitcnt vmcnt(0) lgkmcnt(0)
	buffer_wbinvl1_vol
	v_cmp_eq_u32_e32 vcc, 0, v0
	s_and_b64 vcc, vcc, exec
	s_or_b64 s[34:35], s[34:35], vcc
	s_mov_b64 vcc, -1
	s_or_b64 s[30:31], s[30:31], exec
	s_and_saveexec_b64 s[36:37], s[34:35]
	s_cbranch_execz .LBB2_533
.LBB2_537:                              ;   in Loop: Header=BB2_534 Depth=4
	s_sleep 1
	s_trap 2
	ds_read_b64 v[8:9], v0
	s_waitcnt lgkmcnt(0)
	s_andn2_b64 s[30:31], s[30:31], exec
	v_cmp_ge_u64_e32 vcc, v[8:9], v[28:29]
	s_orn2_b64 vcc, vcc, exec
	s_branch .LBB2_533
.LBB2_538:                              ;   in Loop: Header=BB2_500 Depth=3
	s_or_b64 exec, exec, s[92:93]
	s_and_saveexec_b64 s[92:93], s[94:95]
	s_xor_b64 s[92:93], exec, s[92:93]
	s_cbranch_execz .LBB2_540
; %bb.539:                              ;   in Loop: Header=BB2_500 Depth=3
	ds_write_b32 v0, v37
	s_trap 2
.LBB2_540:                              ;   in Loop: Header=BB2_500 Depth=3
	s_or_b64 exec, exec, s[90:91]
	;;#ASMSTART
	s_wakeup
	;;#ASMEND
.LBB2_541:                              ;   in Loop: Header=BB2_500 Depth=3
	s_or_b64 exec, exec, s[88:89]
.LBB2_542:                              ;   in Loop: Header=BB2_500 Depth=3
	s_andn2_saveexec_b64 s[44:45], s[44:45]
	s_cbranch_execz .LBB2_544
; %bb.543:                              ;   in Loop: Header=BB2_500 Depth=3
	s_waitcnt vmcnt(0) lgkmcnt(0)
	buffer_wbinvl1_vol
	s_barrier
.LBB2_544:                              ;   in Loop: Header=BB2_500 Depth=3
	s_or_b64 exec, exec, s[44:45]
.LBB2_545:                              ;   in Loop: Header=BB2_500 Depth=3
	s_or_b64 exec, exec, s[28:29]
                                        ; implicit-def: $vgpr0
	s_and_saveexec_b64 s[28:29], s[74:75]
	s_xor_b64 s[28:29], exec, s[28:29]
	s_cbranch_execz .LBB2_557
; %bb.546:                              ;   in Loop: Header=BB2_500 Depth=3
	s_and_saveexec_b64 s[44:45], s[60:61]
	s_xor_b64 s[44:45], exec, s[44:45]
	s_cbranch_execz .LBB2_562
; %bb.547:                              ;   in Loop: Header=BB2_500 Depth=3
	s_and_saveexec_b64 s[88:89], s[16:17]
	s_cbranch_execz .LBB2_561
; %bb.548:                              ;   in Loop: Header=BB2_500 Depth=3
	s_mov_b64 s[92:93], exec
	v_mbcnt_lo_u32_b32 v0, s92, 0
	v_mbcnt_hi_u32_b32 v0, s93, v0
	v_cmp_eq_u32_e32 vcc, 0, v0
	;;#ASMSTART
	s_waitcnt lgkmcnt(0) vmcnt(0)
	;;#ASMEND
	s_and_saveexec_b64 s[90:91], vcc
	s_cbranch_execz .LBB2_550
; %bb.549:                              ;   in Loop: Header=BB2_500 Depth=3
	s_bcnt1_i32_b64 s58, s[92:93]
	v_mov_b32_e32 v8, s58
	v_mov_b32_e32 v9, v2
	s_waitcnt lgkmcnt(0)
	ds_add_u64 v0, v[8:9]
	s_trap 2
.LBB2_550:                              ;   in Loop: Header=BB2_500 Depth=3
	s_or_b64 exec, exec, s[90:91]
	s_trap 2
	ds_read_b64 v[8:9], v0
	s_waitcnt lgkmcnt(0)
	v_add_co_u32_e32 v28, vcc, v28, v21
	v_addc_co_u32_e32 v29, vcc, 0, v29, vcc
	v_cmp_lt_u64_e32 vcc, v[8:9], v[28:29]
	s_and_saveexec_b64 s[90:91], vcc
	s_cbranch_execz .LBB2_560
; %bb.551:                              ;   in Loop: Header=BB2_500 Depth=3
	s_mov_b32 s58, 0
	s_mov_b64 s[92:93], 0
                                        ; implicit-def: $sgpr94_sgpr95
                                        ; implicit-def: $sgpr30_sgpr31
	s_branch .LBB2_553
.LBB2_552:                              ;   in Loop: Header=BB2_553 Depth=4
	s_or_b64 exec, exec, s[36:37]
	s_and_b64 vcc, exec, vcc
	s_or_b64 s[92:93], vcc, s[92:93]
	s_andn2_b64 s[94:95], s[94:95], exec
	s_and_b64 vcc, s[30:31], exec
	s_or_b64 s[94:95], s[94:95], vcc
	s_andn2_b64 exec, exec, s[92:93]
	s_cbranch_execz .LBB2_558
.LBB2_553:                              ;   Parent Loop BB2_47 Depth=1
                                        ;     Parent Loop BB2_269 Depth=2
                                        ;       Parent Loop BB2_500 Depth=3
                                        ; =>      This Inner Loop Header: Depth=4
	s_add_i32 s58, s58, 1
	s_cmpk_lg_i32 s58, 0x2710
	s_cselect_b64 s[34:35], -1, 0
	s_and_b64 vcc, exec, s[34:35]
	s_cbranch_vccz .LBB2_555
; %bb.554:                              ;   in Loop: Header=BB2_553 Depth=4
	s_mov_b64 vcc, -1
	s_or_b64 s[30:31], s[30:31], exec
	s_and_saveexec_b64 s[36:37], s[34:35]
	s_cbranch_execz .LBB2_552
	s_branch .LBB2_556
.LBB2_555:                              ;   in Loop: Header=BB2_553 Depth=4
	s_trap 2
	ds_read_b64 v[8:9], v0
	s_andn2_b64 s[34:35], s[34:35], exec
	s_mov_b32 s58, 0
	s_waitcnt vmcnt(0) lgkmcnt(0)
	flat_load_dword v0, v[8:9] glc
	s_waitcnt vmcnt(0) lgkmcnt(0)
	buffer_wbinvl1_vol
	v_cmp_eq_u32_e32 vcc, 0, v0
	s_and_b64 vcc, vcc, exec
	s_or_b64 s[34:35], s[34:35], vcc
	s_mov_b64 vcc, -1
	s_or_b64 s[30:31], s[30:31], exec
	s_and_saveexec_b64 s[36:37], s[34:35]
	s_cbranch_execz .LBB2_552
.LBB2_556:                              ;   in Loop: Header=BB2_553 Depth=4
	s_sleep 1
	s_trap 2
	ds_read_b64 v[8:9], v0
	s_waitcnt lgkmcnt(0)
	s_andn2_b64 s[30:31], s[30:31], exec
	v_cmp_ge_u64_e32 vcc, v[8:9], v[28:29]
	s_orn2_b64 vcc, vcc, exec
	s_branch .LBB2_552
.LBB2_557:                              ;   in Loop: Header=BB2_500 Depth=3
	s_andn2_saveexec_b64 s[28:29], s[28:29]
	s_cbranch_execnz .LBB2_565
	s_branch .LBB2_568
.LBB2_558:                              ;   in Loop: Header=BB2_500 Depth=3
	s_or_b64 exec, exec, s[92:93]
	s_and_saveexec_b64 s[92:93], s[94:95]
	s_xor_b64 s[92:93], exec, s[92:93]
	s_cbranch_execz .LBB2_560
; %bb.559:                              ;   in Loop: Header=BB2_500 Depth=3
	ds_write_b32 v0, v37
	s_trap 2
.LBB2_560:                              ;   in Loop: Header=BB2_500 Depth=3
	s_or_b64 exec, exec, s[90:91]
	;;#ASMSTART
	s_wakeup
	;;#ASMEND
.LBB2_561:                              ;   in Loop: Header=BB2_500 Depth=3
	s_or_b64 exec, exec, s[88:89]
.LBB2_562:                              ;   in Loop: Header=BB2_500 Depth=3
	s_andn2_saveexec_b64 s[44:45], s[44:45]
	s_cbranch_execz .LBB2_564
; %bb.563:                              ;   in Loop: Header=BB2_500 Depth=3
	;;#ASMSTART
	s_waitcnt lgkmcnt(0) vmcnt(0)
	;;#ASMEND
	s_waitcnt vmcnt(0) lgkmcnt(0)
	s_barrier
.LBB2_564:                              ;   in Loop: Header=BB2_500 Depth=3
	s_or_b64 exec, exec, s[44:45]
	v_and_b32_e32 v0, 16, v62
	s_andn2_saveexec_b64 s[28:29], s[28:29]
	s_cbranch_execz .LBB2_568
.LBB2_565:                              ;   in Loop: Header=BB2_500 Depth=3
	s_trap 2
	ds_read_b32 v0, v0
	v_cmp_lt_i32_e32 vcc, 0, v40
	v_and_b32_e32 v3, 16, v62
	s_waitcnt lgkmcnt(0)
	v_readfirstlane_b32 s44, v0
	s_cmp_eq_u32 s44, 0
	s_cselect_b64 s[44:45], -1, 0
	s_and_b64 s[44:45], vcc, s[44:45]
	v_cmp_ne_u32_e32 vcc, 0, v3
	v_and_b32_e32 v0, 16, v62
	s_and_b64 s[88:89], vcc, s[44:45]
	s_and_saveexec_b64 s[44:45], s[88:89]
	s_cbranch_execz .LBB2_567
; %bb.566:                              ;   in Loop: Header=BB2_500 Depth=3
	v_mov_b32_e32 v0, 1
	s_waitcnt vmcnt(0)
	buffer_wbinvl1_vol
.LBB2_567:                              ;   in Loop: Header=BB2_500 Depth=3
	s_or_b64 exec, exec, s[44:45]
.LBB2_568:                              ;   in Loop: Header=BB2_500 Depth=3
	s_or_b64 exec, exec, s[28:29]
	v_cmp_ne_u32_e32 vcc, 0, v0
	s_xor_b64 s[28:29], s[12:13], -1
	s_and_b64 s[44:45], vcc, s[28:29]
	s_and_saveexec_b64 s[28:29], s[44:45]
	s_cbranch_execz .LBB2_570
; %bb.569:                              ;   in Loop: Header=BB2_500 Depth=3
	flat_store_dword v[26:27], v37
.LBB2_570:                              ;   in Loop: Header=BB2_500 Depth=3
	s_or_b64 exec, exec, s[28:29]
	v_and_b32_e32 v0, 48, v62
	v_cmp_ne_u32_e32 vcc, 0, v0
	s_and_saveexec_b64 s[28:29], vcc
	s_cbranch_execz .LBB2_499
; %bb.571:                              ;   in Loop: Header=BB2_500 Depth=3
	v_add_co_u32_e32 v50, vcc, 2, v50
	v_addc_co_u32_e32 v51, vcc, 0, v51, vcc
	flat_store_dwordx2 v[22:23], v[50:51]
	s_branch .LBB2_499
.LBB2_572:                              ;   in Loop: Header=BB2_47 Depth=1
	buffer_load_dword v12, off, s[0:3], s33 offset:92 ; 4-byte Folded Reload
	buffer_load_dword v13, off, s[0:3], s33 offset:96 ; 4-byte Folded Reload
	;; [unrolled: 1-line block ×4, first 2 shown]
	v_mov_b32_e32 v42, 0
	s_waitcnt vmcnt(0)
	v_mul_lo_u32 v3, v12, s55
	v_mul_lo_u32 v0, v13, s54
	v_mad_u64_u32 v[8:9], s[28:29], v12, s54, 0
	v_sub_co_u32_e32 v10, vcc, v10, v8
	v_add3_u32 v9, v9, v3, v0
	v_subb_co_u32_e32 v11, vcc, v11, v9, vcc
	v_cmp_lt_i64_e32 vcc, v[12:13], v[10:11]
	v_mov_b32_e32 v0, 0
	v_cndmask_b32_e32 v3, v10, v12, vcc
	v_max_i32_e32 v17, 0, v3
	v_add_u32_e32 v10, 31, v17
	v_lshrrev_b32_e32 v10, 1, v10
	v_and_b32_e32 v10, 0x3ffffff0, v10
	v_cmp_lt_i32_e32 vcc, 0, v3
	v_max_i32_e32 v40, s81, v10
	s_and_b64 s[28:29], s[76:77], vcc
	s_and_saveexec_b64 s[88:89], s[28:29]
	s_cbranch_execz .LBB2_918
; %bb.573:                              ;   in Loop: Header=BB2_47 Depth=1
	buffer_load_dword v10, off, s[0:3], s33 offset:60 ; 4-byte Folded Reload
	buffer_load_dword v11, off, s[0:3], s33 offset:64 ; 4-byte Folded Reload
	s_mov_b32 s79, 1
	s_mov_b64 s[92:93], -1
	v_mov_b32_e32 v42, 0
	s_mov_b64 s[90:91], 0
	s_waitcnt vmcnt(0)
	v_add_co_u32_e32 v8, vcc, v8, v10
	v_addc_co_u32_e32 v9, vcc, v9, v11, vcc
	v_lshlrev_b64 v[44:45], 1, v[8:9]
	s_branch .LBB2_575
.LBB2_574:                              ;   in Loop: Header=BB2_575 Depth=2
	s_or_b64 exec, exec, s[28:29]
	v_add_u32_e32 v42, v40, v42
	v_cmp_ge_i32_e32 vcc, v42, v17
	s_xor_b64 s[28:29], s[92:93], -1
	s_or_b64 s[28:29], s[28:29], vcc
	s_and_b64 s[28:29], exec, s[28:29]
	s_or_b64 s[90:91], s[28:29], s[90:91]
	s_mov_b64 s[92:93], 0
	v_mov_b32_e32 v0, s79
	s_mov_b32 s79, 2
	s_andn2_b64 exec, exec, s[90:91]
	s_cbranch_execz .LBB2_993
.LBB2_575:                              ;   Parent Loop BB2_47 Depth=1
                                        ; =>  This Loop Header: Depth=2
                                        ;       Child Loop BB2_583 Depth 3
                                        ;       Child Loop BB2_611 Depth 3
	;; [unrolled: 1-line block ×4, first 2 shown]
                                        ;         Child Loop BB2_686 Depth 4
                                        ;       Child Loop BB2_692 Depth 3
                                        ;         Child Loop BB2_725 Depth 4
                                        ;       Child Loop BB2_733 Depth 3
                                        ;       Child Loop BB2_753 Depth 3
                                        ;         Child Loop BB2_758 Depth 4
                                        ;       Child Loop BB2_771 Depth 3
                                        ;       Child Loop BB2_808 Depth 3
                                        ;       Child Loop BB2_846 Depth 3
                                        ;       Child Loop BB2_867 Depth 3
                                        ;       Child Loop BB2_880 Depth 3
                                        ;       Child Loop BB2_903 Depth 3
	s_and_saveexec_b64 s[28:29], s[4:5]
	s_cbranch_execz .LBB2_577
; %bb.576:                              ;   in Loop: Header=BB2_575 Depth=2
	s_trap 2
	ds_read2_b64 v[8:11], v0 offset1:1
	v_ashrrev_i32_e32 v43, 31, v42
	s_waitcnt lgkmcnt(0)
	v_add_co_u32_e32 v0, vcc, v8, v44
	v_addc_co_u32_e32 v3, vcc, v9, v45, vcc
	v_lshlrev_b64 v[8:9], 1, v[42:43]
	v_add_co_u32_e32 v12, vcc, v0, v8
	v_addc_co_u32_e32 v13, vcc, v3, v9, vcc
	ds_write_b64 v0, v[12:13]
	v_add_co_u32_e32 v0, vcc, v10, v44
	v_addc_co_u32_e32 v3, vcc, v11, v45, vcc
	v_add_co_u32_e32 v10, vcc, v0, v8
	v_addc_co_u32_e32 v11, vcc, v3, v9, vcc
	ds_write_b64 v0, v[10:11]
	ds_read_b64 v[10:11], v0
	s_waitcnt lgkmcnt(0)
	v_add_co_u32_e32 v0, vcc, v10, v44
	v_addc_co_u32_e32 v3, vcc, v11, v45, vcc
	v_add_co_u32_e32 v0, vcc, v0, v8
	v_addc_co_u32_e32 v3, vcc, v3, v9, vcc
	v_cmp_ne_u64_e32 vcc, 0, v[10:11]
	v_cndmask_b32_e32 v9, 0, v3, vcc
	v_cndmask_b32_e32 v8, 0, v0, vcc
	ds_write_b64 v0, v[8:9]
.LBB2_577:                              ;   in Loop: Header=BB2_575 Depth=2
	s_or_b64 exec, exec, s[28:29]
	v_sub_u32_e32 v0, v17, v42
	v_min_i32_e32 v40, v40, v0
	v_and_b32_e32 v0, 12, v62
	v_cmp_ne_u32_e32 vcc, 0, v0
	s_and_saveexec_b64 s[40:41], vcc
	s_cbranch_execz .LBB2_603
; %bb.578:                              ;   in Loop: Header=BB2_575 Depth=2
	v_and_b32_e32 v0, 8, v62
	s_waitcnt vmcnt(0) lgkmcnt(0)
	v_add_co_u32_e32 v10, vcc, v32, v0
	v_addc_co_u32_e32 v11, vcc, 0, v33, vcc
	v_add_co_u32_e32 v8, vcc, 2, v50
	v_addc_co_u32_e32 v9, vcc, 0, v51, vcc
	v_cmp_lt_u64_e32 vcc, v[10:11], v[8:9]
	s_and_saveexec_b64 s[42:43], vcc
	s_cbranch_execz .LBB2_590
; %bb.579:                              ;   in Loop: Header=BB2_575 Depth=2
	v_and_b32_e32 v3, 64, v62
	s_mov_b32 s58, 0
	v_cmp_eq_u32_e32 vcc, 0, v3
	s_mov_b64 s[44:45], 0
                                        ; implicit-def: $sgpr94_sgpr95
                                        ; implicit-def: $sgpr30_sgpr31
                                        ; implicit-def: $sgpr34_sgpr35
	s_branch .LBB2_583
.LBB2_580:                              ;   in Loop: Header=BB2_583 Depth=3
	s_waitcnt vmcnt(0) lgkmcnt(0)
	v_add_co_u32_e64 v10, s[28:29], v32, v0
	v_addc_co_u32_e64 v11, s[28:29], 0, v33, s[28:29]
	v_cmp_ge_u64_e64 s[28:29], v[10:11], v[8:9]
	s_or_b64 s[48:49], s[48:49], exec
	s_orn2_b64 s[38:39], s[28:29], exec
.LBB2_581:                              ;   in Loop: Header=BB2_583 Depth=3
	s_or_b64 exec, exec, s[52:53]
	s_andn2_b64 s[28:29], s[34:35], exec
	s_and_b64 s[34:35], s[48:49], exec
	s_or_b64 s[34:35], s[28:29], s[34:35]
	s_andn2_b64 s[28:29], s[30:31], exec
	s_and_b64 s[30:31], s[38:39], exec
	s_or_b64 s[30:31], s[28:29], s[30:31]
.LBB2_582:                              ;   in Loop: Header=BB2_583 Depth=3
	s_or_b64 exec, exec, s[36:37]
	s_and_b64 s[28:29], exec, s[30:31]
	s_or_b64 s[44:45], s[28:29], s[44:45]
	s_andn2_b64 s[28:29], s[94:95], exec
	s_and_b64 s[94:95], s[34:35], exec
	s_or_b64 s[94:95], s[28:29], s[94:95]
	s_andn2_b64 exec, exec, s[44:45]
	s_cbranch_execz .LBB2_587
.LBB2_583:                              ;   Parent Loop BB2_47 Depth=1
                                        ;     Parent Loop BB2_575 Depth=2
                                        ; =>    This Inner Loop Header: Depth=3
	s_sleep 1
	s_waitcnt vmcnt(0) lgkmcnt(0)
	flat_load_dwordx2 v[32:33], v[22:23] glc
	s_or_b64 s[34:35], s[34:35], exec
	s_or_b64 s[30:31], s[30:31], exec
                                        ; implicit-def: $vgpr3
	s_and_saveexec_b64 s[36:37], vcc
	s_cbranch_execz .LBB2_582
; %bb.584:                              ;   in Loop: Header=BB2_583 Depth=3
	s_cmpk_lt_i32 s58, 0x270f
	s_cselect_b64 s[50:51], -1, 0
	s_cmpk_gt_i32 s58, 0x270e
	s_mov_b64 s[38:39], -1
	s_cbranch_scc0 .LBB2_586
; %bb.585:                              ;   in Loop: Header=BB2_583 Depth=3
	s_trap 2
	ds_read_b64 v[10:11], v0
	s_andn2_b64 s[50:51], s[50:51], exec
	s_mov_b32 s58, 0
	s_mov_b64 s[48:49], 0
	s_waitcnt vmcnt(0) lgkmcnt(0)
	flat_load_dword v3, v[10:11] glc
	s_waitcnt vmcnt(0) lgkmcnt(0)
	buffer_wbinvl1_vol
	v_cmp_eq_u32_e64 s[28:29], 0, v3
	s_and_b64 s[28:29], s[28:29], exec
	s_or_b64 s[50:51], s[50:51], s[28:29]
	s_and_saveexec_b64 s[52:53], s[50:51]
	s_cbranch_execz .LBB2_581
	s_branch .LBB2_580
.LBB2_586:                              ;   in Loop: Header=BB2_583 Depth=3
	s_add_i32 s58, s58, 1
	s_mov_b64 s[48:49], -1
                                        ; implicit-def: $vgpr3
	s_and_saveexec_b64 s[52:53], s[50:51]
	s_cbranch_execz .LBB2_581
	s_branch .LBB2_580
.LBB2_587:                              ;   in Loop: Header=BB2_575 Depth=2
	s_or_b64 exec, exec, s[44:45]
	s_xor_b64 s[28:29], s[94:95], -1
	s_and_saveexec_b64 s[44:45], s[28:29]
	s_xor_b64 s[28:29], exec, s[44:45]
	s_cbranch_execz .LBB2_589
; %bb.588:                              ;   in Loop: Header=BB2_575 Depth=2
	v_or_b32_e32 v62, 64, v62
	s_waitcnt lgkmcnt(0)
	ds_write_b32 v0, v3
	s_trap 2
.LBB2_589:                              ;   in Loop: Header=BB2_575 Depth=2
	s_or_b64 exec, exec, s[28:29]
.LBB2_590:                              ;   in Loop: Header=BB2_575 Depth=2
	s_or_b64 exec, exec, s[42:43]
	v_and_b32_e32 v3, 0x108, v62
	v_cmp_ne_u32_e32 vcc, s64, v3
	;;#ASMSTART
	s_wakeup
	;;#ASMEND
                                        ; implicit-def: $vgpr10_vgpr11
	s_and_saveexec_b64 s[28:29], vcc
	s_xor_b64 s[28:29], exec, s[28:29]
; %bb.591:                              ;   in Loop: Header=BB2_575 Depth=2
	v_and_b32_e32 v10, 7, v50
	v_mov_b32_e32 v11, v2
                                        ; implicit-def: $vgpr50_vgpr51
; %bb.592:                              ;   in Loop: Header=BB2_575 Depth=2
	s_andn2_saveexec_b64 s[28:29], s[28:29]
	s_cbranch_execz .LBB2_594
; %bb.593:                              ;   in Loop: Header=BB2_575 Depth=2
	v_and_b32_e32 v10, 7, v50
	v_mad_u64_u32 v[12:13], s[42:43], v10, 24, v[6:7]
	v_ashrrev_i32_e32 v41, 31, v40
	v_lshlrev_b64 v[14:15], 1, v[40:41]
	v_mov_b32_e32 v11, v2
	flat_store_dwordx2 v[12:13], v[14:15] offset:8
.LBB2_594:                              ;   in Loop: Header=BB2_575 Depth=2
	s_or_b64 exec, exec, s[28:29]
	v_and_b32_e32 v3, 0x100, v62
	v_cmp_ne_u32_e32 vcc, 0, v3
	s_mov_b64 s[28:29], -1
                                        ; implicit-def: $vgpr12_vgpr13
	s_and_saveexec_b64 s[42:43], vcc
	s_cbranch_execz .LBB2_598
; %bb.595:                              ;   in Loop: Header=BB2_575 Depth=2
	v_mad_u64_u32 v[14:15], s[28:29], v10, 24, v[6:7]
	v_mov_b32_e32 v3, v15
	v_mad_u64_u32 v[12:13], s[28:29], v11, 24, v[3:4]
	v_mov_b32_e32 v15, v12
	flat_load_dword v3, v[14:15]
                                        ; implicit-def: $vgpr12_vgpr13
	s_waitcnt vmcnt(0) lgkmcnt(0)
	v_cmp_ne_u32_e32 vcc, 1, v3
	v_cmp_eq_u32_e64 s[28:29], 1, v3
	s_and_saveexec_b64 s[44:45], s[28:29]
	s_cbranch_execz .LBB2_597
; %bb.596:                              ;   in Loop: Header=BB2_575 Depth=2
	flat_load_dword v12, v[14:15] offset:4 glc
	s_waitcnt vmcnt(0) lgkmcnt(0)
	v_ashrrev_i32_e32 v13, 31, v12
	v_lshrrev_b64 v[12:13], 1, v[12:13]
.LBB2_597:                              ;   in Loop: Header=BB2_575 Depth=2
	s_or_b64 exec, exec, s[44:45]
	s_orn2_b64 s[28:29], vcc, exec
.LBB2_598:                              ;   in Loop: Header=BB2_575 Depth=2
	s_or_b64 exec, exec, s[42:43]
	s_and_saveexec_b64 s[42:43], s[28:29]
	s_cbranch_execz .LBB2_600
; %bb.599:                              ;   in Loop: Header=BB2_575 Depth=2
	v_mul_lo_u32 v3, v11, v30
	v_mul_lo_u32 v11, v10, v60
	v_mad_u64_u32 v[12:13], s[28:29], v10, v30, 0
	v_add3_u32 v13, v13, v11, v3
.LBB2_600:                              ;   in Loop: Header=BB2_575 Depth=2
	s_or_b64 exec, exec, s[42:43]
	v_lshlrev_b64 v[10:11], 1, v[12:13]
	v_cmp_eq_u32_e32 vcc, 0, v0
	v_mov_b32_e32 v0, 0x90
	v_mov_b32_e32 v3, 0xd0
	v_cndmask_b32_e32 v0, v3, v0, vcc
	v_add_co_u32_e32 v10, vcc, v24, v10
	v_addc_co_u32_e32 v11, vcc, v25, v11, vcc
	v_add_u32_e32 v0, v0, v0
	ds_write_b64 v0, v[10:11] offset:584
	v_and_b32_e32 v0, 0x2000, v62
	v_cmp_ne_u32_e32 vcc, 0, v0
	s_and_saveexec_b64 s[28:29], vcc
	s_cbranch_execz .LBB2_602
; %bb.601:                              ;   in Loop: Header=BB2_575 Depth=2
	ds_read_b64 v[10:11], v0 offset:872
	s_waitcnt lgkmcnt(0)
	v_add_co_u32_e32 v10, vcc, 1, v10
	v_addc_co_u32_e32 v11, vcc, 0, v11, vcc
	ds_write_b64 v0, v[10:11] offset:872
.LBB2_602:                              ;   in Loop: Header=BB2_575 Depth=2
	s_or_b64 exec, exec, s[28:29]
	v_mov_b32_e32 v51, v9
	v_mov_b32_e32 v50, v8
.LBB2_603:                              ;   in Loop: Header=BB2_575 Depth=2
	s_or_b64 exec, exec, s[40:41]
	s_and_saveexec_b64 s[28:29], s[10:11]
	s_cbranch_execz .LBB2_622
; %bb.604:                              ;   in Loop: Header=BB2_575 Depth=2
	s_and_saveexec_b64 s[40:41], s[60:61]
	s_xor_b64 s[40:41], exec, s[40:41]
	s_cbranch_execz .LBB2_619
; %bb.605:                              ;   in Loop: Header=BB2_575 Depth=2
	s_and_saveexec_b64 s[42:43], s[16:17]
	s_cbranch_execz .LBB2_618
; %bb.606:                              ;   in Loop: Header=BB2_575 Depth=2
	s_mov_b64 s[94:95], exec
	v_mbcnt_lo_u32_b32 v0, s94, 0
	v_mbcnt_hi_u32_b32 v0, s95, v0
	v_cmp_eq_u32_e32 vcc, 0, v0
	s_waitcnt vmcnt(0) lgkmcnt(0)
	buffer_wbinvl1_vol
	s_and_saveexec_b64 s[44:45], vcc
	s_cbranch_execz .LBB2_608
; %bb.607:                              ;   in Loop: Header=BB2_575 Depth=2
	s_bcnt1_i32_b64 s58, s[94:95]
	v_mov_b32_e32 v8, s58
	v_mov_b32_e32 v9, v2
	ds_add_u64 v0, v[8:9]
	s_trap 2
.LBB2_608:                              ;   in Loop: Header=BB2_575 Depth=2
	s_or_b64 exec, exec, s[44:45]
	s_trap 2
	ds_read_b64 v[8:9], v0
	s_waitcnt lgkmcnt(0)
	v_add_co_u32_e32 v28, vcc, v28, v21
	v_addc_co_u32_e32 v29, vcc, 0, v29, vcc
	v_cmp_lt_u64_e32 vcc, v[8:9], v[28:29]
	s_and_saveexec_b64 s[44:45], vcc
	s_cbranch_execz .LBB2_617
; %bb.609:                              ;   in Loop: Header=BB2_575 Depth=2
	s_mov_b32 s58, 0
	s_mov_b64 s[94:95], 0
                                        ; implicit-def: $sgpr30_sgpr31
                                        ; implicit-def: $sgpr34_sgpr35
	s_branch .LBB2_611
.LBB2_610:                              ;   in Loop: Header=BB2_611 Depth=3
	s_or_b64 exec, exec, s[38:39]
	s_and_b64 vcc, exec, vcc
	s_or_b64 s[94:95], vcc, s[94:95]
	s_andn2_b64 vcc, s[30:31], exec
	s_and_b64 s[30:31], s[34:35], exec
	s_or_b64 s[30:31], vcc, s[30:31]
	s_andn2_b64 exec, exec, s[94:95]
	s_cbranch_execz .LBB2_615
.LBB2_611:                              ;   Parent Loop BB2_47 Depth=1
                                        ;     Parent Loop BB2_575 Depth=2
                                        ; =>    This Inner Loop Header: Depth=3
	s_add_i32 s58, s58, 1
	s_cmpk_lg_i32 s58, 0x2710
	s_cselect_b64 s[36:37], -1, 0
	s_and_b64 vcc, exec, s[36:37]
	s_cbranch_vccz .LBB2_613
; %bb.612:                              ;   in Loop: Header=BB2_611 Depth=3
	s_mov_b64 vcc, -1
	s_or_b64 s[34:35], s[34:35], exec
	s_and_saveexec_b64 s[38:39], s[36:37]
	s_cbranch_execz .LBB2_610
	s_branch .LBB2_614
.LBB2_613:                              ;   in Loop: Header=BB2_611 Depth=3
	s_trap 2
	ds_read_b64 v[8:9], v0
	s_andn2_b64 s[36:37], s[36:37], exec
	s_mov_b32 s58, 0
	s_waitcnt lgkmcnt(0)
	flat_load_dword v0, v[8:9] glc
	s_waitcnt vmcnt(0) lgkmcnt(0)
	buffer_wbinvl1_vol
	v_cmp_eq_u32_e32 vcc, 0, v0
	s_and_b64 vcc, vcc, exec
	s_or_b64 s[36:37], s[36:37], vcc
	s_mov_b64 vcc, -1
	s_or_b64 s[34:35], s[34:35], exec
	s_and_saveexec_b64 s[38:39], s[36:37]
	s_cbranch_execz .LBB2_610
.LBB2_614:                              ;   in Loop: Header=BB2_611 Depth=3
	s_sleep 1
	s_trap 2
	ds_read_b64 v[8:9], v0
	s_waitcnt lgkmcnt(0)
	s_andn2_b64 s[34:35], s[34:35], exec
	v_cmp_ge_u64_e32 vcc, v[8:9], v[28:29]
	s_orn2_b64 vcc, vcc, exec
	s_branch .LBB2_610
.LBB2_615:                              ;   in Loop: Header=BB2_575 Depth=2
	s_or_b64 exec, exec, s[94:95]
	s_and_saveexec_b64 s[94:95], s[30:31]
	s_xor_b64 s[94:95], exec, s[94:95]
	s_cbranch_execz .LBB2_617
; %bb.616:                              ;   in Loop: Header=BB2_575 Depth=2
	ds_write_b32 v0, v37
	s_trap 2
.LBB2_617:                              ;   in Loop: Header=BB2_575 Depth=2
	s_or_b64 exec, exec, s[44:45]
	;;#ASMSTART
	s_wakeup
	;;#ASMEND
.LBB2_618:                              ;   in Loop: Header=BB2_575 Depth=2
	s_or_b64 exec, exec, s[42:43]
.LBB2_619:                              ;   in Loop: Header=BB2_575 Depth=2
	s_andn2_saveexec_b64 s[40:41], s[40:41]
	s_cbranch_execz .LBB2_621
; %bb.620:                              ;   in Loop: Header=BB2_575 Depth=2
	s_waitcnt vmcnt(0) lgkmcnt(0)
	buffer_wbinvl1_vol
	s_barrier
.LBB2_621:                              ;   in Loop: Header=BB2_575 Depth=2
	s_or_b64 exec, exec, s[40:41]
.LBB2_622:                              ;   in Loop: Header=BB2_575 Depth=2
	s_or_b64 exec, exec, s[28:29]
	s_trap 2
	ds_read_b32 v0, v0
	v_and_b32_e32 v3, 0x4000, v62
	v_cmp_ne_u32_e32 vcc, 0, v3
	s_xor_b64 s[28:29], s[6:7], -1
	s_and_b64 s[40:41], s[28:29], vcc
	s_and_saveexec_b64 s[28:29], s[40:41]
	s_cbranch_execz .LBB2_641
; %bb.623:                              ;   in Loop: Header=BB2_575 Depth=2
	s_and_saveexec_b64 s[40:41], s[60:61]
	s_xor_b64 s[40:41], exec, s[40:41]
	s_cbranch_execz .LBB2_638
; %bb.624:                              ;   in Loop: Header=BB2_575 Depth=2
	s_and_saveexec_b64 s[42:43], s[16:17]
	s_cbranch_execz .LBB2_637
; %bb.625:                              ;   in Loop: Header=BB2_575 Depth=2
	s_mov_b64 s[94:95], exec
	v_mbcnt_lo_u32_b32 v3, s94, 0
	v_mbcnt_hi_u32_b32 v3, s95, v3
	v_cmp_eq_u32_e32 vcc, 0, v3
	s_waitcnt vmcnt(0) lgkmcnt(0)
	buffer_wbinvl1_vol
	s_and_saveexec_b64 s[44:45], vcc
	s_cbranch_execz .LBB2_627
; %bb.626:                              ;   in Loop: Header=BB2_575 Depth=2
	s_bcnt1_i32_b64 s58, s[94:95]
	v_mov_b32_e32 v8, s58
	v_mov_b32_e32 v9, v2
	ds_add_u64 v0, v[8:9]
	s_trap 2
.LBB2_627:                              ;   in Loop: Header=BB2_575 Depth=2
	s_or_b64 exec, exec, s[44:45]
	s_trap 2
	ds_read_b64 v[8:9], v0
	s_waitcnt lgkmcnt(0)
	v_add_co_u32_e32 v28, vcc, v28, v21
	v_addc_co_u32_e32 v29, vcc, 0, v29, vcc
	v_cmp_lt_u64_e32 vcc, v[8:9], v[28:29]
	s_and_saveexec_b64 s[44:45], vcc
	s_cbranch_execz .LBB2_636
; %bb.628:                              ;   in Loop: Header=BB2_575 Depth=2
	s_mov_b32 s58, 0
	s_mov_b64 s[94:95], 0
                                        ; implicit-def: $sgpr30_sgpr31
                                        ; implicit-def: $sgpr34_sgpr35
	s_branch .LBB2_630
.LBB2_629:                              ;   in Loop: Header=BB2_630 Depth=3
	s_or_b64 exec, exec, s[38:39]
	s_and_b64 vcc, exec, vcc
	s_or_b64 s[94:95], vcc, s[94:95]
	s_andn2_b64 vcc, s[30:31], exec
	s_and_b64 s[30:31], s[34:35], exec
	s_or_b64 s[30:31], vcc, s[30:31]
	s_andn2_b64 exec, exec, s[94:95]
	s_cbranch_execz .LBB2_634
.LBB2_630:                              ;   Parent Loop BB2_47 Depth=1
                                        ;     Parent Loop BB2_575 Depth=2
                                        ; =>    This Inner Loop Header: Depth=3
	s_add_i32 s58, s58, 1
	s_cmpk_lg_i32 s58, 0x2710
	s_cselect_b64 s[36:37], -1, 0
	s_and_b64 vcc, exec, s[36:37]
	s_cbranch_vccz .LBB2_632
; %bb.631:                              ;   in Loop: Header=BB2_630 Depth=3
	s_mov_b64 vcc, -1
	s_or_b64 s[34:35], s[34:35], exec
	s_and_saveexec_b64 s[38:39], s[36:37]
	s_cbranch_execz .LBB2_629
	s_branch .LBB2_633
.LBB2_632:                              ;   in Loop: Header=BB2_630 Depth=3
	s_trap 2
	ds_read_b64 v[8:9], v0
	s_andn2_b64 s[36:37], s[36:37], exec
	s_mov_b32 s58, 0
	s_waitcnt lgkmcnt(0)
	flat_load_dword v3, v[8:9] glc
	s_waitcnt vmcnt(0) lgkmcnt(0)
	buffer_wbinvl1_vol
	v_cmp_eq_u32_e32 vcc, 0, v3
	s_and_b64 vcc, vcc, exec
	s_or_b64 s[36:37], s[36:37], vcc
	s_mov_b64 vcc, -1
	s_or_b64 s[34:35], s[34:35], exec
	s_and_saveexec_b64 s[38:39], s[36:37]
	s_cbranch_execz .LBB2_629
.LBB2_633:                              ;   in Loop: Header=BB2_630 Depth=3
	s_sleep 1
	s_trap 2
	ds_read_b64 v[8:9], v0
	s_waitcnt lgkmcnt(0)
	s_andn2_b64 s[34:35], s[34:35], exec
	v_cmp_ge_u64_e32 vcc, v[8:9], v[28:29]
	s_orn2_b64 vcc, vcc, exec
	s_branch .LBB2_629
.LBB2_634:                              ;   in Loop: Header=BB2_575 Depth=2
	s_or_b64 exec, exec, s[94:95]
	s_and_saveexec_b64 s[94:95], s[30:31]
	s_xor_b64 s[94:95], exec, s[94:95]
	s_cbranch_execz .LBB2_636
; %bb.635:                              ;   in Loop: Header=BB2_575 Depth=2
	ds_write_b32 v0, v37
	s_trap 2
.LBB2_636:                              ;   in Loop: Header=BB2_575 Depth=2
	s_or_b64 exec, exec, s[44:45]
	;;#ASMSTART
	s_wakeup
	;;#ASMEND
.LBB2_637:                              ;   in Loop: Header=BB2_575 Depth=2
	s_or_b64 exec, exec, s[42:43]
.LBB2_638:                              ;   in Loop: Header=BB2_575 Depth=2
	s_andn2_saveexec_b64 s[40:41], s[40:41]
	s_cbranch_execz .LBB2_640
; %bb.639:                              ;   in Loop: Header=BB2_575 Depth=2
	s_waitcnt vmcnt(0) lgkmcnt(0)
	buffer_wbinvl1_vol
	s_barrier
.LBB2_640:                              ;   in Loop: Header=BB2_575 Depth=2
	s_or_b64 exec, exec, s[40:41]
.LBB2_641:                              ;   in Loop: Header=BB2_575 Depth=2
	s_or_b64 exec, exec, s[28:29]
	s_trap 2
	s_waitcnt lgkmcnt(0)
	ds_read_b64 v[46:47], v0
	s_waitcnt lgkmcnt(0)
	v_cmp_eq_u64_e32 vcc, 0, v[46:47]
	s_cbranch_vccnz .LBB2_650
; %bb.642:                              ;   in Loop: Header=BB2_575 Depth=2
	s_trap 2
	ds_read_b64 v[8:9], v0
	s_waitcnt lgkmcnt(0)
	buffer_store_dword v8, off, s[0:3], s33 offset:100 ; 4-byte Folded Spill
	s_nop 0
	buffer_store_dword v9, off, s[0:3], s33 offset:104 ; 4-byte Folded Spill
	v_cmp_eq_u64_e32 vcc, 0, v[8:9]
	s_cbranch_vccnz .LBB2_650
; %bb.643:                              ;   in Loop: Header=BB2_575 Depth=2
	s_trap 2
	ds_read_b64 v[58:59], v0
	v_cmp_eq_u32_e32 vcc, 0, v0
	v_cndmask_b32_e32 v56, 0, v40, vcc
	v_lshlrev_b32_e32 v53, 1, v56
	s_mov_b64 s[28:29], -1
	s_waitcnt lgkmcnt(0)
	v_cmp_ne_u64_e32 vcc, 0, v[58:59]
	v_readfirstlane_b32 s48, v58
	s_cbranch_vccz .LBB2_761
; %bb.644:                              ;   in Loop: Header=BB2_575 Depth=2
	s_and_saveexec_b64 s[40:41], s[22:23]
	s_cbranch_execz .LBB2_646
; %bb.645:                              ;   in Loop: Header=BB2_575 Depth=2
	ds_read_b32 v0, v0 offset:720
	s_waitcnt lgkmcnt(0)
	v_and_b32_e32 v0, 15, v0
	v_cmp_eq_u32_e32 vcc, 0, v0
	s_orn2_b64 s[28:29], vcc, exec
.LBB2_646:                              ;   in Loop: Header=BB2_575 Depth=2
	s_or_b64 exec, exec, s[40:41]
	s_and_saveexec_b64 s[40:41], s[22:23]
	s_cbranch_execz .LBB2_648
; %bb.647:                              ;   in Loop: Header=BB2_575 Depth=2
	ds_read_b32 v0, v0 offset:784
	s_waitcnt lgkmcnt(0)
	v_and_b32_e32 v0, 15, v0
	v_cmp_eq_u32_e32 vcc, 0, v0
	s_and_b64 s[42:43], s[28:29], vcc
	s_andn2_b64 s[28:29], s[28:29], exec
	s_and_b64 s[42:43], s[42:43], exec
	s_or_b64 s[28:29], s[28:29], s[42:43]
.LBB2_648:                              ;   in Loop: Header=BB2_575 Depth=2
	s_or_b64 exec, exec, s[40:41]
	s_xor_b64 s[28:29], s[28:29], -1
	v_cndmask_b32_e64 v3, 0, 1, s[28:29]
	s_mov_b64 s[40:41], -1
	v_mov_b32_e32 v0, 0
	v_cmp_ne_u32_e32 vcc, 0, v3
	v_mov_b32_e32 v3, v53
	v_mov_b32_e32 v18, v61
	s_cbranch_vccz .LBB2_651
; %bb.649:                              ;   in Loop: Header=BB2_575 Depth=2
	s_and_saveexec_b64 s[44:45], s[40:41]
	s_cbranch_execnz .LBB2_730
	s_branch .LBB2_760
.LBB2_650:                              ;   in Loop: Header=BB2_575 Depth=2
	s_mov_b64 s[28:29], 0
	s_and_saveexec_b64 s[40:41], s[10:11]
	s_cbranch_execnz .LBB2_873
	s_branch .LBB2_891
.LBB2_651:                              ;   in Loop: Header=BB2_575 Depth=2
	buffer_load_dword v0, off, s[0:3], s33 offset:68 ; 4-byte Folded Reload
	s_waitcnt vmcnt(0)
	v_sub_u32_e32 v41, v53, v0
	v_ashrrev_i32_e32 v0, 31, v53
	v_lshrrev_b32_e32 v0, 22, v0
	v_add_u32_e32 v0, v53, v0
	v_ashrrev_i32_e32 v3, 10, v0
	v_and_b32_e32 v43, 0xfffffc00, v0
	buffer_load_dword v0, off, s[0:3], s33 offset:76 ; 4-byte Folded Reload
	v_sub_u32_e32 v55, v53, v43
	v_cmp_lt_i32_e64 s[28:29], 15, v55
	s_waitcnt vmcnt(0)
	v_sub_u32_e32 v0, v3, v0
	v_addc_co_u32_e64 v52, vcc, 0, v0, s[28:29]
	v_cmp_lt_i32_e32 vcc, 15, v41
	s_and_saveexec_b64 s[94:95], vcc
	s_cbranch_execz .LBB2_689
; %bb.652:                              ;   in Loop: Header=BB2_575 Depth=2
	buffer_load_dword v10, off, s[0:3], s33 offset:68 ; 4-byte Folded Reload
	buffer_load_dword v8, off, s[0:3], s33 offset:100 ; 4-byte Folded Reload
	;; [unrolled: 1-line block ×3, first 2 shown]
	s_trap 2
	v_mov_b32_e32 v54, v56
	s_and_b32 s58, s48, 1
	s_cmp_eq_u64 s[58:59], 0
	s_mov_b64 s[30:31], 0
	s_cselect_b64 s[40:41], -1, 0
	s_waitcnt vmcnt(1)
	v_add_co_u32_e32 v3, vcc, v8, v10
	s_waitcnt vmcnt(0)
	v_addc_co_u32_e32 v0, vcc, 0, v9, vcc
	ds_read_b64 v[8:9], v0
	v_add_co_u32_e32 v56, vcc, v58, v10
	v_addc_co_u32_e32 v57, vcc, 0, v59, vcc
	v_add_co_u32_e32 v60, vcc, v46, v10
	v_addc_co_u32_e32 v61, vcc, 0, v47, vcc
	s_waitcnt lgkmcnt(0)
	v_add_co_u32_e32 v18, vcc, v8, v10
	v_addc_co_u32_e32 v19, vcc, 0, v9, vcc
.LBB2_653:                              ;   Parent Loop BB2_47 Depth=1
                                        ;     Parent Loop BB2_575 Depth=2
                                        ; =>    This Loop Header: Depth=3
                                        ;         Child Loop BB2_686 Depth 4
	global_load_dwordx4 v[8:11], v[18:19], off glc slc
	global_load_dwordx4 v[12:15], v[60:61], off glc slc
	s_waitcnt vmcnt(1)
	v_lshlrev_b32_e32 v34, 16, v8
	s_waitcnt vmcnt(0)
	v_lshlrev_b32_e32 v48, 16, v12
	v_max_f32_e32 v34, v34, v34
	v_max_f32_e32 v48, v48, v48
	v_min_f32_e32 v49, v48, v34
	v_max_f32_e32 v34, v48, v34
	v_cndmask_b32_e64 v49, v34, v49, s[40:41]
	v_and_b32_e32 v34, 0x7f800000, v49
	v_cmp_ne_u32_e32 vcc, s65, v34
                                        ; implicit-def: $vgpr48
	s_and_saveexec_b64 s[42:43], vcc
	s_xor_b64 s[42:43], exec, s[42:43]
; %bb.654:                              ;   in Loop: Header=BB2_653 Depth=3
	v_bfe_u32 v34, v49, 16, 1
	v_add3_u32 v48, v49, v34, s66
                                        ; implicit-def: $vgpr49
; %bb.655:                              ;   in Loop: Header=BB2_653 Depth=3
	s_andn2_saveexec_b64 s[42:43], s[42:43]
; %bb.656:                              ;   in Loop: Header=BB2_653 Depth=3
	v_or_b32_e32 v34, 0x10000, v49
	v_cmp_eq_u32_sdwa vcc, v49, v2 src0_sel:WORD_0 src1_sel:DWORD
	v_cndmask_b32_e32 v48, v34, v49, vcc
; %bb.657:                              ;   in Loop: Header=BB2_653 Depth=3
	s_or_b64 exec, exec, s[42:43]
	v_and_b32_e32 v8, 0xffff0000, v8
	v_and_b32_e32 v12, 0xffff0000, v12
	v_max_f32_e32 v8, v8, v8
	v_max_f32_e32 v12, v12, v12
	v_min_f32_e32 v34, v12, v8
	v_max_f32_e32 v8, v12, v8
	v_cndmask_b32_e64 v12, v8, v34, s[40:41]
	v_and_b32_e32 v8, 0x7f800000, v12
	v_cmp_ne_u32_e32 vcc, s65, v8
                                        ; implicit-def: $vgpr8
	s_and_saveexec_b64 s[42:43], vcc
	s_xor_b64 s[42:43], exec, s[42:43]
; %bb.658:                              ;   in Loop: Header=BB2_653 Depth=3
	v_bfe_u32 v8, v12, 16, 1
	v_add3_u32 v8, v12, v8, s66
                                        ; implicit-def: $vgpr12
; %bb.659:                              ;   in Loop: Header=BB2_653 Depth=3
	s_andn2_saveexec_b64 s[42:43], s[42:43]
; %bb.660:                              ;   in Loop: Header=BB2_653 Depth=3
	v_or_b32_e32 v8, 0x10000, v12
	v_cmp_eq_u32_sdwa vcc, v12, v2 src0_sel:WORD_0 src1_sel:DWORD
	v_cndmask_b32_e32 v8, v8, v12, vcc
; %bb.661:                              ;   in Loop: Header=BB2_653 Depth=3
	s_or_b64 exec, exec, s[42:43]
	v_lshlrev_b32_e32 v12, 16, v9
	v_lshlrev_b32_e32 v34, 16, v13
	v_max_f32_e32 v12, v12, v12
	v_max_f32_e32 v34, v34, v34
	v_min_f32_e32 v49, v34, v12
	v_max_f32_e32 v12, v34, v12
	v_cndmask_b32_e64 v49, v12, v49, s[40:41]
	v_and_b32_e32 v12, 0x7f800000, v49
	v_cmp_ne_u32_e32 vcc, s65, v12
                                        ; implicit-def: $vgpr12
	s_and_saveexec_b64 s[42:43], vcc
	s_xor_b64 s[42:43], exec, s[42:43]
; %bb.662:                              ;   in Loop: Header=BB2_653 Depth=3
	v_bfe_u32 v12, v49, 16, 1
	v_add3_u32 v12, v49, v12, s66
                                        ; implicit-def: $vgpr49
; %bb.663:                              ;   in Loop: Header=BB2_653 Depth=3
	s_andn2_saveexec_b64 s[42:43], s[42:43]
; %bb.664:                              ;   in Loop: Header=BB2_653 Depth=3
	v_or_b32_e32 v12, 0x10000, v49
	v_cmp_eq_u32_sdwa vcc, v49, v2 src0_sel:WORD_0 src1_sel:DWORD
	v_cndmask_b32_e32 v12, v12, v49, vcc
; %bb.665:                              ;   in Loop: Header=BB2_653 Depth=3
	s_or_b64 exec, exec, s[42:43]
	v_and_b32_e32 v13, 0xffff0000, v13
	v_and_b32_e32 v9, 0xffff0000, v9
	v_max_f32_e32 v9, v9, v9
	v_max_f32_e32 v13, v13, v13
	v_min_f32_e32 v34, v13, v9
	v_max_f32_e32 v9, v13, v9
	v_cndmask_b32_e64 v13, v9, v34, s[40:41]
	v_and_b32_e32 v9, 0x7f800000, v13
	v_cmp_ne_u32_e32 vcc, s65, v9
                                        ; implicit-def: $vgpr9
	s_and_saveexec_b64 s[42:43], vcc
	s_xor_b64 s[42:43], exec, s[42:43]
; %bb.666:                              ;   in Loop: Header=BB2_653 Depth=3
	v_bfe_u32 v9, v13, 16, 1
	v_add3_u32 v9, v13, v9, s66
                                        ; implicit-def: $vgpr13
; %bb.667:                              ;   in Loop: Header=BB2_653 Depth=3
	s_andn2_saveexec_b64 s[42:43], s[42:43]
; %bb.668:                              ;   in Loop: Header=BB2_653 Depth=3
	v_or_b32_e32 v9, 0x10000, v13
	v_cmp_eq_u32_sdwa vcc, v13, v2 src0_sel:WORD_0 src1_sel:DWORD
	v_cndmask_b32_e32 v9, v9, v13, vcc
; %bb.669:                              ;   in Loop: Header=BB2_653 Depth=3
	s_or_b64 exec, exec, s[42:43]
	v_lshlrev_b32_e32 v13, 16, v10
	v_lshlrev_b32_e32 v34, 16, v14
	v_max_f32_e32 v13, v13, v13
	v_max_f32_e32 v34, v34, v34
	v_min_f32_e32 v49, v34, v13
	v_max_f32_e32 v13, v34, v13
	v_cndmask_b32_e64 v49, v13, v49, s[40:41]
	v_and_b32_e32 v13, 0x7f800000, v49
	v_cmp_ne_u32_e32 vcc, s65, v13
                                        ; implicit-def: $vgpr13
	s_and_saveexec_b64 s[42:43], vcc
	s_xor_b64 s[42:43], exec, s[42:43]
; %bb.670:                              ;   in Loop: Header=BB2_653 Depth=3
	v_bfe_u32 v13, v49, 16, 1
	v_add3_u32 v13, v49, v13, s66
                                        ; implicit-def: $vgpr49
; %bb.671:                              ;   in Loop: Header=BB2_653 Depth=3
	s_andn2_saveexec_b64 s[42:43], s[42:43]
; %bb.672:                              ;   in Loop: Header=BB2_653 Depth=3
	v_or_b32_e32 v13, 0x10000, v49
	v_cmp_eq_u32_sdwa vcc, v49, v2 src0_sel:WORD_0 src1_sel:DWORD
	v_cndmask_b32_e32 v13, v13, v49, vcc
; %bb.673:                              ;   in Loop: Header=BB2_653 Depth=3
	s_or_b64 exec, exec, s[42:43]
	v_and_b32_e32 v14, 0xffff0000, v14
	v_and_b32_e32 v10, 0xffff0000, v10
	v_max_f32_e32 v10, v10, v10
	v_max_f32_e32 v14, v14, v14
	v_min_f32_e32 v34, v14, v10
	v_max_f32_e32 v10, v14, v10
	v_cndmask_b32_e64 v14, v10, v34, s[40:41]
	v_and_b32_e32 v10, 0x7f800000, v14
	v_cmp_ne_u32_e32 vcc, s65, v10
                                        ; implicit-def: $vgpr10
	s_and_saveexec_b64 s[42:43], vcc
	s_xor_b64 s[42:43], exec, s[42:43]
; %bb.674:                              ;   in Loop: Header=BB2_653 Depth=3
	v_bfe_u32 v10, v14, 16, 1
	v_add3_u32 v10, v14, v10, s66
                                        ; implicit-def: $vgpr14
; %bb.675:                              ;   in Loop: Header=BB2_653 Depth=3
	s_andn2_saveexec_b64 s[42:43], s[42:43]
; %bb.676:                              ;   in Loop: Header=BB2_653 Depth=3
	v_or_b32_e32 v10, 0x10000, v14
	v_cmp_eq_u32_sdwa vcc, v14, v2 src0_sel:WORD_0 src1_sel:DWORD
	v_cndmask_b32_e32 v10, v10, v14, vcc
; %bb.677:                              ;   in Loop: Header=BB2_653 Depth=3
	s_or_b64 exec, exec, s[42:43]
	v_lshlrev_b32_e32 v14, 16, v11
	v_lshlrev_b32_e32 v34, 16, v15
	v_max_f32_e32 v14, v14, v14
	v_max_f32_e32 v34, v34, v34
	v_min_f32_e32 v49, v34, v14
	v_max_f32_e32 v14, v34, v14
	v_cndmask_b32_e64 v49, v14, v49, s[40:41]
	v_and_b32_e32 v14, 0x7f800000, v49
	v_cmp_ne_u32_e32 vcc, s65, v14
                                        ; implicit-def: $vgpr14
	s_and_saveexec_b64 s[42:43], vcc
	s_xor_b64 s[42:43], exec, s[42:43]
; %bb.678:                              ;   in Loop: Header=BB2_653 Depth=3
	v_bfe_u32 v14, v49, 16, 1
	v_add3_u32 v14, v49, v14, s66
                                        ; implicit-def: $vgpr49
; %bb.679:                              ;   in Loop: Header=BB2_653 Depth=3
	s_andn2_saveexec_b64 s[42:43], s[42:43]
; %bb.680:                              ;   in Loop: Header=BB2_653 Depth=3
	v_or_b32_e32 v14, 0x10000, v49
	v_cmp_eq_u32_sdwa vcc, v49, v2 src0_sel:WORD_0 src1_sel:DWORD
	v_cndmask_b32_e32 v14, v14, v49, vcc
; %bb.681:                              ;   in Loop: Header=BB2_653 Depth=3
	s_or_b64 exec, exec, s[42:43]
	v_and_b32_e32 v15, 0xffff0000, v15
	v_and_b32_e32 v11, 0xffff0000, v11
	v_max_f32_e32 v11, v11, v11
	v_max_f32_e32 v15, v15, v15
	v_min_f32_e32 v34, v15, v11
	v_max_f32_e32 v11, v15, v11
	v_cndmask_b32_e64 v15, v11, v34, s[40:41]
	v_and_b32_e32 v11, 0x7f800000, v15
	v_cmp_ne_u32_e32 vcc, s65, v11
                                        ; implicit-def: $vgpr11
	s_and_saveexec_b64 s[42:43], vcc
	s_xor_b64 s[42:43], exec, s[42:43]
; %bb.682:                              ;   in Loop: Header=BB2_653 Depth=3
	v_bfe_u32 v11, v15, 16, 1
	v_add3_u32 v11, v15, v11, s66
                                        ; implicit-def: $vgpr15
; %bb.683:                              ;   in Loop: Header=BB2_653 Depth=3
	s_andn2_saveexec_b64 s[42:43], s[42:43]
; %bb.684:                              ;   in Loop: Header=BB2_653 Depth=3
	v_or_b32_e32 v11, 0x10000, v15
	v_cmp_eq_u32_sdwa vcc, v15, v2 src0_sel:WORD_0 src1_sel:DWORD
	v_cndmask_b32_e32 v11, v11, v15, vcc
; %bb.685:                              ;   in Loop: Header=BB2_653 Depth=3
	s_or_b64 exec, exec, s[42:43]
	v_lshrrev_b32_e32 v12, 16, v12
	v_and_or_b32 v9, v9, s67, v12
	v_lshrrev_b32_e32 v12, 16, v48
	v_and_or_b32 v8, v8, s67, v12
	;; [unrolled: 2-line block ×4, first 2 shown]
	s_mov_b64 s[36:37], 0
	s_mov_b64 s[34:35], -1
.LBB2_686:                              ;   Parent Loop BB2_47 Depth=1
                                        ;     Parent Loop BB2_575 Depth=2
                                        ;       Parent Loop BB2_653 Depth=3
                                        ; =>      This Inner Loop Header: Depth=4
	s_cmp_eq_u32 s36, 1
	s_cselect_b64 s[42:43], -1, 0
	v_cndmask_b32_e64 v13, v0, v57, s[42:43]
	v_cndmask_b32_e64 v12, v3, v56, s[42:43]
	global_store_dwordx4 v[12:13], v[8:11], off glc slc
	v_add_co_u32_e32 v12, vcc, 0x400, v12
	s_cmp_eq_u32 s36, 0
	v_addc_co_u32_e32 v13, vcc, 0, v13, vcc
	s_cselect_b64 vcc, -1, 0
	s_and_b64 s[44:45], exec, s[34:35]
	s_mov_b64 s[36:37], 1
	v_cndmask_b32_e64 v56, v56, v12, s[42:43]
	s_mov_b64 s[34:35], 0
	v_cndmask_b32_e64 v57, v57, v13, s[42:43]
	v_cndmask_b32_e32 v0, v0, v13, vcc
	v_cndmask_b32_e32 v3, v3, v12, vcc
	s_mov_b64 vcc, s[44:45]
	s_cbranch_vccnz .LBB2_686
; %bb.687:                              ;   in Loop: Header=BB2_653 Depth=3
	v_add_co_u32_e32 v60, vcc, v60, v39
	v_addc_co_u32_e32 v61, vcc, v61, v20, vcc
	v_add_co_u32_e32 v18, vcc, v18, v39
	v_addc_co_u32_e32 v19, vcc, v19, v20, vcc
	;; [unrolled: 2-line block ×4, first 2 shown]
	v_sub_u32_e32 v41, v41, v35
	v_cmp_gt_i32_e32 vcc, 16, v41
	s_or_b64 s[30:31], vcc, s[30:31]
	v_sub_u32_e32 v52, v52, v21
	s_andn2_b64 exec, exec, s[30:31]
	s_cbranch_execnz .LBB2_653
; %bb.688:                              ;   in Loop: Header=BB2_575 Depth=2
	s_or_b64 exec, exec, s[30:31]
	buffer_load_dword v61, off, s[0:3], s33 offset:88 ; 4-byte Folded Reload
	v_ashrrev_i32_e32 v60, 31, v30
	v_mov_b32_e32 v56, v54
.LBB2_689:                              ;   in Loop: Header=BB2_575 Depth=2
	s_or_b64 exec, exec, s[94:95]
	v_and_b32_e32 v8, 14, v53
	v_cndmask_b32_e64 v41, v55, v8, s[28:29]
	v_mov_b32_e32 v0, 0
	v_cmp_ne_u32_e32 vcc, 0, v41
	s_mov_b64 s[40:41], 0
                                        ; implicit-def: $vgpr3
                                        ; implicit-def: $vgpr18
	s_and_saveexec_b64 s[94:95], vcc
	s_cbranch_execz .LBB2_729
; %bb.690:                              ;   in Loop: Header=BB2_575 Depth=2
	buffer_load_dword v3, off, s[0:3], s33 offset:72 ; 4-byte Folded Reload
	v_sub_u32_e32 v0, v55, v8
	v_cndmask_b32_e64 v0, 0, v0, s[28:29]
	v_cmp_lt_i32_e32 vcc, 0, v52
	v_add_u32_e32 v55, v0, v43
	v_cndmask_b32_e32 v0, 0, v21, vcc
	v_sub_u32_e32 v0, v0, v52
	s_waitcnt vmcnt(0)
	v_lshl_or_b32 v0, v0, 6, v3
	v_ashrrev_i32_e32 v3, 31, v0
	v_lshrrev_b32_e32 v3, 26, v3
	v_add_u32_e32 v3, v0, v3
	v_ashrrev_i32_e32 v8, 6, v3
	v_and_b32_e32 v3, 0xffffffc0, v3
	v_sub_u32_e32 v10, v0, v3
	v_ashrrev_i32_e32 v3, 31, v41
	v_lshrrev_b32_e32 v3, 22, v3
	v_add_u32_e32 v3, v41, v3
	v_and_b32_e32 v11, 0xfffffc00, v3
	v_lshlrev_b32_e32 v0, 4, v10
	v_sub_u32_e32 v12, v41, v11
	v_lshl_add_u32 v0, v8, 10, v0
	v_ashrrev_i32_e32 v9, 10, v3
	v_cmp_lt_i32_e64 s[28:29], 15, v12
	v_sub_u32_e32 v43, v41, v0
	v_addc_co_u32_e64 v3, vcc, 0, v9, s[28:29]
	v_sub_u32_e32 v52, v3, v8
	v_cmp_lt_i32_e32 vcc, 15, v43
	s_and_saveexec_b64 s[30:31], vcc
	s_cbranch_execz .LBB2_728
; %bb.691:                              ;   in Loop: Header=BB2_575 Depth=2
	buffer_store_dword v12, off, s[0:3], s33 offset:164 ; 4-byte Folded Spill
	buffer_store_dword v11, off, s[0:3], s33 offset:160 ; 4-byte Folded Spill
	;; [unrolled: 1-line block ×3, first 2 shown]
	buffer_load_dword v8, off, s[0:3], s33 offset:100 ; 4-byte Folded Reload
	buffer_load_dword v9, off, s[0:3], s33 offset:104 ; 4-byte Folded Reload
	v_add_u32_e32 v10, v0, v55
	v_ashrrev_i32_e32 v11, 31, v10
	s_trap 2
	v_mov_b32_e32 v54, v56
	s_and_b32 s58, s48, 1
	s_cmp_eq_u64 s[58:59], 0
	s_mov_b64 s[34:35], 0
	s_cselect_b64 s[40:41], -1, 0
	s_waitcnt vmcnt(1)
	v_add_co_u32_e32 v3, vcc, v10, v8
	s_waitcnt vmcnt(0)
	v_addc_co_u32_e32 v0, vcc, v11, v9, vcc
	ds_read_b64 v[8:9], v0
	v_add_co_u32_e32 v56, vcc, v10, v58
	v_addc_co_u32_e32 v57, vcc, v11, v59, vcc
	v_add_co_u32_e32 v60, vcc, v10, v46
	v_addc_co_u32_e32 v61, vcc, v11, v47, vcc
	s_waitcnt lgkmcnt(0)
	v_add_co_u32_e32 v18, vcc, v8, v10
	v_addc_co_u32_e32 v19, vcc, v9, v11, vcc
.LBB2_692:                              ;   Parent Loop BB2_47 Depth=1
                                        ;     Parent Loop BB2_575 Depth=2
                                        ; =>    This Loop Header: Depth=3
                                        ;         Child Loop BB2_725 Depth 4
	global_load_dwordx4 v[8:11], v[18:19], off glc slc
	global_load_dwordx4 v[12:15], v[60:61], off glc slc
	s_waitcnt vmcnt(1)
	v_lshlrev_b32_e32 v34, 16, v8
	s_waitcnt vmcnt(0)
	v_lshlrev_b32_e32 v48, 16, v12
	v_max_f32_e32 v34, v34, v34
	v_max_f32_e32 v48, v48, v48
	v_min_f32_e32 v49, v48, v34
	v_max_f32_e32 v34, v48, v34
	v_cndmask_b32_e64 v49, v34, v49, s[40:41]
	v_and_b32_e32 v34, 0x7f800000, v49
	v_cmp_ne_u32_e32 vcc, s65, v34
                                        ; implicit-def: $vgpr48
	s_and_saveexec_b64 s[42:43], vcc
	s_xor_b64 s[42:43], exec, s[42:43]
; %bb.693:                              ;   in Loop: Header=BB2_692 Depth=3
	v_bfe_u32 v34, v49, 16, 1
	v_add3_u32 v48, v49, v34, s66
                                        ; implicit-def: $vgpr49
; %bb.694:                              ;   in Loop: Header=BB2_692 Depth=3
	s_andn2_saveexec_b64 s[42:43], s[42:43]
; %bb.695:                              ;   in Loop: Header=BB2_692 Depth=3
	v_or_b32_e32 v34, 0x10000, v49
	v_cmp_eq_u32_sdwa vcc, v49, v2 src0_sel:WORD_0 src1_sel:DWORD
	v_cndmask_b32_e32 v48, v34, v49, vcc
; %bb.696:                              ;   in Loop: Header=BB2_692 Depth=3
	s_or_b64 exec, exec, s[42:43]
	v_and_b32_e32 v8, 0xffff0000, v8
	v_and_b32_e32 v12, 0xffff0000, v12
	v_max_f32_e32 v8, v8, v8
	v_max_f32_e32 v12, v12, v12
	v_min_f32_e32 v34, v12, v8
	v_max_f32_e32 v8, v12, v8
	v_cndmask_b32_e64 v12, v8, v34, s[40:41]
	v_and_b32_e32 v8, 0x7f800000, v12
	v_cmp_ne_u32_e32 vcc, s65, v8
                                        ; implicit-def: $vgpr8
	s_and_saveexec_b64 s[42:43], vcc
	s_xor_b64 s[42:43], exec, s[42:43]
; %bb.697:                              ;   in Loop: Header=BB2_692 Depth=3
	v_bfe_u32 v8, v12, 16, 1
	v_add3_u32 v8, v12, v8, s66
                                        ; implicit-def: $vgpr12
; %bb.698:                              ;   in Loop: Header=BB2_692 Depth=3
	s_andn2_saveexec_b64 s[42:43], s[42:43]
; %bb.699:                              ;   in Loop: Header=BB2_692 Depth=3
	v_or_b32_e32 v8, 0x10000, v12
	v_cmp_eq_u32_sdwa vcc, v12, v2 src0_sel:WORD_0 src1_sel:DWORD
	v_cndmask_b32_e32 v8, v8, v12, vcc
; %bb.700:                              ;   in Loop: Header=BB2_692 Depth=3
	s_or_b64 exec, exec, s[42:43]
	v_lshlrev_b32_e32 v12, 16, v9
	v_lshlrev_b32_e32 v34, 16, v13
	v_max_f32_e32 v12, v12, v12
	v_max_f32_e32 v34, v34, v34
	v_min_f32_e32 v49, v34, v12
	v_max_f32_e32 v12, v34, v12
	v_cndmask_b32_e64 v49, v12, v49, s[40:41]
	v_and_b32_e32 v12, 0x7f800000, v49
	v_cmp_ne_u32_e32 vcc, s65, v12
                                        ; implicit-def: $vgpr12
	s_and_saveexec_b64 s[42:43], vcc
	s_xor_b64 s[42:43], exec, s[42:43]
; %bb.701:                              ;   in Loop: Header=BB2_692 Depth=3
	v_bfe_u32 v12, v49, 16, 1
	v_add3_u32 v12, v49, v12, s66
                                        ; implicit-def: $vgpr49
; %bb.702:                              ;   in Loop: Header=BB2_692 Depth=3
	s_andn2_saveexec_b64 s[42:43], s[42:43]
; %bb.703:                              ;   in Loop: Header=BB2_692 Depth=3
	v_or_b32_e32 v12, 0x10000, v49
	v_cmp_eq_u32_sdwa vcc, v49, v2 src0_sel:WORD_0 src1_sel:DWORD
	v_cndmask_b32_e32 v12, v12, v49, vcc
; %bb.704:                              ;   in Loop: Header=BB2_692 Depth=3
	s_or_b64 exec, exec, s[42:43]
	v_and_b32_e32 v13, 0xffff0000, v13
	v_and_b32_e32 v9, 0xffff0000, v9
	v_max_f32_e32 v9, v9, v9
	v_max_f32_e32 v13, v13, v13
	v_min_f32_e32 v34, v13, v9
	v_max_f32_e32 v9, v13, v9
	v_cndmask_b32_e64 v13, v9, v34, s[40:41]
	v_and_b32_e32 v9, 0x7f800000, v13
	v_cmp_ne_u32_e32 vcc, s65, v9
                                        ; implicit-def: $vgpr9
	s_and_saveexec_b64 s[42:43], vcc
	s_xor_b64 s[42:43], exec, s[42:43]
; %bb.705:                              ;   in Loop: Header=BB2_692 Depth=3
	v_bfe_u32 v9, v13, 16, 1
	v_add3_u32 v9, v13, v9, s66
                                        ; implicit-def: $vgpr13
; %bb.706:                              ;   in Loop: Header=BB2_692 Depth=3
	s_andn2_saveexec_b64 s[42:43], s[42:43]
; %bb.707:                              ;   in Loop: Header=BB2_692 Depth=3
	v_or_b32_e32 v9, 0x10000, v13
	v_cmp_eq_u32_sdwa vcc, v13, v2 src0_sel:WORD_0 src1_sel:DWORD
	v_cndmask_b32_e32 v9, v9, v13, vcc
; %bb.708:                              ;   in Loop: Header=BB2_692 Depth=3
	s_or_b64 exec, exec, s[42:43]
	v_lshlrev_b32_e32 v13, 16, v10
	v_lshlrev_b32_e32 v34, 16, v14
	v_max_f32_e32 v13, v13, v13
	v_max_f32_e32 v34, v34, v34
	v_min_f32_e32 v49, v34, v13
	v_max_f32_e32 v13, v34, v13
	v_cndmask_b32_e64 v49, v13, v49, s[40:41]
	v_and_b32_e32 v13, 0x7f800000, v49
	v_cmp_ne_u32_e32 vcc, s65, v13
                                        ; implicit-def: $vgpr13
	s_and_saveexec_b64 s[42:43], vcc
	s_xor_b64 s[42:43], exec, s[42:43]
; %bb.709:                              ;   in Loop: Header=BB2_692 Depth=3
	v_bfe_u32 v13, v49, 16, 1
	v_add3_u32 v13, v49, v13, s66
                                        ; implicit-def: $vgpr49
; %bb.710:                              ;   in Loop: Header=BB2_692 Depth=3
	s_andn2_saveexec_b64 s[42:43], s[42:43]
; %bb.711:                              ;   in Loop: Header=BB2_692 Depth=3
	v_or_b32_e32 v13, 0x10000, v49
	v_cmp_eq_u32_sdwa vcc, v49, v2 src0_sel:WORD_0 src1_sel:DWORD
	v_cndmask_b32_e32 v13, v13, v49, vcc
; %bb.712:                              ;   in Loop: Header=BB2_692 Depth=3
	s_or_b64 exec, exec, s[42:43]
	v_and_b32_e32 v14, 0xffff0000, v14
	v_and_b32_e32 v10, 0xffff0000, v10
	v_max_f32_e32 v10, v10, v10
	v_max_f32_e32 v14, v14, v14
	v_min_f32_e32 v34, v14, v10
	v_max_f32_e32 v10, v14, v10
	v_cndmask_b32_e64 v14, v10, v34, s[40:41]
	v_and_b32_e32 v10, 0x7f800000, v14
	v_cmp_ne_u32_e32 vcc, s65, v10
                                        ; implicit-def: $vgpr10
	s_and_saveexec_b64 s[42:43], vcc
	s_xor_b64 s[42:43], exec, s[42:43]
; %bb.713:                              ;   in Loop: Header=BB2_692 Depth=3
	v_bfe_u32 v10, v14, 16, 1
	v_add3_u32 v10, v14, v10, s66
                                        ; implicit-def: $vgpr14
; %bb.714:                              ;   in Loop: Header=BB2_692 Depth=3
	s_andn2_saveexec_b64 s[42:43], s[42:43]
; %bb.715:                              ;   in Loop: Header=BB2_692 Depth=3
	v_or_b32_e32 v10, 0x10000, v14
	v_cmp_eq_u32_sdwa vcc, v14, v2 src0_sel:WORD_0 src1_sel:DWORD
	v_cndmask_b32_e32 v10, v10, v14, vcc
; %bb.716:                              ;   in Loop: Header=BB2_692 Depth=3
	s_or_b64 exec, exec, s[42:43]
	v_lshlrev_b32_e32 v14, 16, v11
	v_lshlrev_b32_e32 v34, 16, v15
	v_max_f32_e32 v14, v14, v14
	v_max_f32_e32 v34, v34, v34
	v_min_f32_e32 v49, v34, v14
	v_max_f32_e32 v14, v34, v14
	v_cndmask_b32_e64 v49, v14, v49, s[40:41]
	v_and_b32_e32 v14, 0x7f800000, v49
	v_cmp_ne_u32_e32 vcc, s65, v14
                                        ; implicit-def: $vgpr14
	s_and_saveexec_b64 s[42:43], vcc
	s_xor_b64 s[42:43], exec, s[42:43]
; %bb.717:                              ;   in Loop: Header=BB2_692 Depth=3
	v_bfe_u32 v14, v49, 16, 1
	v_add3_u32 v14, v49, v14, s66
                                        ; implicit-def: $vgpr49
; %bb.718:                              ;   in Loop: Header=BB2_692 Depth=3
	s_andn2_saveexec_b64 s[42:43], s[42:43]
; %bb.719:                              ;   in Loop: Header=BB2_692 Depth=3
	v_or_b32_e32 v14, 0x10000, v49
	v_cmp_eq_u32_sdwa vcc, v49, v2 src0_sel:WORD_0 src1_sel:DWORD
	v_cndmask_b32_e32 v14, v14, v49, vcc
; %bb.720:                              ;   in Loop: Header=BB2_692 Depth=3
	s_or_b64 exec, exec, s[42:43]
	v_and_b32_e32 v15, 0xffff0000, v15
	v_and_b32_e32 v11, 0xffff0000, v11
	v_max_f32_e32 v11, v11, v11
	v_max_f32_e32 v15, v15, v15
	v_min_f32_e32 v34, v15, v11
	v_max_f32_e32 v11, v15, v11
	v_cndmask_b32_e64 v15, v11, v34, s[40:41]
	v_and_b32_e32 v11, 0x7f800000, v15
	v_cmp_ne_u32_e32 vcc, s65, v11
                                        ; implicit-def: $vgpr11
	s_and_saveexec_b64 s[42:43], vcc
	s_xor_b64 s[42:43], exec, s[42:43]
; %bb.721:                              ;   in Loop: Header=BB2_692 Depth=3
	v_bfe_u32 v11, v15, 16, 1
	v_add3_u32 v11, v15, v11, s66
                                        ; implicit-def: $vgpr15
; %bb.722:                              ;   in Loop: Header=BB2_692 Depth=3
	s_andn2_saveexec_b64 s[42:43], s[42:43]
; %bb.723:                              ;   in Loop: Header=BB2_692 Depth=3
	v_or_b32_e32 v11, 0x10000, v15
	v_cmp_eq_u32_sdwa vcc, v15, v2 src0_sel:WORD_0 src1_sel:DWORD
	v_cndmask_b32_e32 v11, v11, v15, vcc
; %bb.724:                              ;   in Loop: Header=BB2_692 Depth=3
	s_or_b64 exec, exec, s[42:43]
	v_lshrrev_b32_e32 v12, 16, v12
	v_and_or_b32 v9, v9, s67, v12
	v_lshrrev_b32_e32 v12, 16, v48
	v_and_or_b32 v8, v8, s67, v12
	;; [unrolled: 2-line block ×4, first 2 shown]
	s_mov_b64 s[38:39], 0
	s_mov_b64 s[36:37], -1
.LBB2_725:                              ;   Parent Loop BB2_47 Depth=1
                                        ;     Parent Loop BB2_575 Depth=2
                                        ;       Parent Loop BB2_692 Depth=3
                                        ; =>      This Inner Loop Header: Depth=4
	s_cmp_eq_u32 s38, 1
	s_cselect_b64 s[42:43], -1, 0
	v_cndmask_b32_e64 v13, v0, v57, s[42:43]
	v_cndmask_b32_e64 v12, v3, v56, s[42:43]
	global_store_dwordx4 v[12:13], v[8:11], off glc slc
	v_add_co_u32_e32 v12, vcc, 0x400, v12
	s_cmp_eq_u32 s38, 0
	v_addc_co_u32_e32 v13, vcc, 0, v13, vcc
	s_cselect_b64 vcc, -1, 0
	s_and_b64 s[44:45], exec, s[36:37]
	s_mov_b64 s[38:39], 1
	v_cndmask_b32_e64 v56, v56, v12, s[42:43]
	s_mov_b64 s[36:37], 0
	v_cndmask_b32_e64 v57, v57, v13, s[42:43]
	v_cndmask_b32_e32 v0, v0, v13, vcc
	v_cndmask_b32_e32 v3, v3, v12, vcc
	s_mov_b64 vcc, s[44:45]
	s_cbranch_vccnz .LBB2_725
; %bb.726:                              ;   in Loop: Header=BB2_692 Depth=3
	v_add_co_u32_e32 v60, vcc, v60, v39
	v_addc_co_u32_e32 v61, vcc, v61, v20, vcc
	v_add_co_u32_e32 v18, vcc, v18, v39
	v_addc_co_u32_e32 v19, vcc, v19, v20, vcc
	v_add_co_u32_e32 v3, vcc, v3, v1
	v_addc_co_u32_e32 v0, vcc, v0, v36, vcc
	v_add_co_u32_e32 v56, vcc, v56, v1
	v_addc_co_u32_e32 v57, vcc, v57, v36, vcc
	v_sub_u32_e32 v43, v43, v35
	v_cmp_gt_i32_e32 vcc, 16, v43
	s_or_b64 s[34:35], vcc, s[34:35]
	v_sub_u32_e32 v52, v52, v21
	s_andn2_b64 exec, exec, s[34:35]
	s_cbranch_execnz .LBB2_692
; %bb.727:                              ;   in Loop: Header=BB2_575 Depth=2
	s_or_b64 exec, exec, s[34:35]
	buffer_load_dword v61, off, s[0:3], s33 offset:88 ; 4-byte Folded Reload
	buffer_load_dword v10, off, s[0:3], s33 offset:124 ; 4-byte Folded Reload
	;; [unrolled: 1-line block ×4, first 2 shown]
	v_ashrrev_i32_e32 v60, 31, v30
	v_mov_b32_e32 v56, v54
.LBB2_728:                              ;   in Loop: Header=BB2_575 Depth=2
	s_or_b64 exec, exec, s[30:31]
	v_and_b32_e32 v3, 14, v41
	v_cmp_lt_i32_e32 vcc, 0, v52
	s_waitcnt vmcnt(0)
	v_sub_u32_e32 v0, v12, v3
	v_cndmask_b32_e64 v3, v12, v3, s[28:29]
	v_cndmask_b32_e32 v8, 0, v21, vcc
	v_cndmask_b32_e64 v0, 0, v0, s[28:29]
	v_sub_u32_e32 v8, v8, v52
	v_cmp_ne_u32_e32 vcc, 0, v3
	v_add3_u32 v0, v11, v55, v0
	v_lshl_add_u32 v18, v8, 6, v10
	s_and_b64 s[40:41], vcc, exec
.LBB2_729:                              ;   in Loop: Header=BB2_575 Depth=2
	s_or_b64 exec, exec, s[94:95]
	s_and_saveexec_b64 s[44:45], s[40:41]
	s_cbranch_execz .LBB2_760
.LBB2_730:                              ;   in Loop: Header=BB2_575 Depth=2
	v_ashrrev_i32_e32 v8, 31, v18
	v_ashrrev_i32_e32 v9, 31, v3
	v_lshrrev_b32_e32 v8, 26, v8
	v_lshrrev_b32_e32 v9, 23, v9
	v_add_u32_e32 v8, v18, v8
	v_add_u32_e32 v9, v3, v9
	v_ashrrev_i32_e32 v19, 6, v8
	v_ashrrev_i32_e32 v49, 9, v9
	v_sub_u32_e32 v48, v49, v19
	v_cmp_lt_i32_e32 vcc, 0, v48
	s_and_saveexec_b64 s[40:41], vcc
	s_cbranch_execz .LBB2_750
; %bb.731:                              ;   in Loop: Header=BB2_575 Depth=2
	v_and_b32_e32 v8, 0x7fffffc0, v8
	v_sub_u32_e32 v8, v18, v8
	buffer_store_dword v56, off, s[0:3], s33 offset:124 ; 4-byte Folded Spill
	v_lshlrev_b32_e32 v8, 1, v8
	v_lshlrev_b32_e32 v9, 9, v19
	v_add3_u32 v34, v8, v0, v9
	buffer_load_dword v8, off, s[0:3], s33 offset:100 ; 4-byte Folded Reload
	buffer_load_dword v9, off, s[0:3], s33 offset:104 ; 4-byte Folded Reload
	v_ashrrev_i32_e32 v52, 31, v34
	s_trap 2
	ds_read_b64 v[14:15], v0
	s_and_b32 s58, s48, 1
	s_cmp_eq_u64 s[58:59], 0
	s_mov_b64 s[42:43], 0
	s_waitcnt vmcnt(0)
	v_add_co_u32_e32 v8, vcc, v34, v8
	v_addc_co_u32_e32 v9, vcc, v52, v9, vcc
	v_add_co_u32_e32 v10, vcc, v34, v58
	v_addc_co_u32_e32 v11, vcc, v52, v59, vcc
	;; [unrolled: 2-line block ×3, first 2 shown]
	s_waitcnt lgkmcnt(0)
	v_add_co_u32_e32 v14, vcc, v14, v34
	v_addc_co_u32_e32 v15, vcc, v15, v52, vcc
	s_cselect_b64 vcc, -1, 0
	s_branch .LBB2_733
.LBB2_732:                              ;   in Loop: Header=BB2_733 Depth=3
	s_or_b64 exec, exec, s[94:95]
	v_add_co_u32_e64 v12, s[28:29], v12, v16
	v_addc_co_u32_e64 v13, s[28:29], 0, v13, s[28:29]
	v_add_co_u32_e64 v14, s[28:29], v14, v16
	v_lshrrev_b32_e32 v52, 16, v52
	v_addc_co_u32_e64 v15, s[28:29], 0, v15, s[28:29]
	v_lshrrev_b32_e32 v34, 16, v43
	v_lshrrev_b32_e32 v55, 16, v41
	;; [unrolled: 1-line block ×3, first 2 shown]
	flat_store_short v[8:9], v52 glc slc
	flat_store_short v[8:9], v55 offset:128 glc slc
	flat_store_short v[8:9], v34 offset:256 glc slc
	;; [unrolled: 1-line block ×3, first 2 shown]
	flat_store_short v[10:11], v52 glc slc
	flat_store_short v[10:11], v55 offset:128 glc slc
	flat_store_short v[10:11], v34 offset:256 glc slc
	;; [unrolled: 1-line block ×3, first 2 shown]
	v_add_co_u32_e64 v8, s[28:29], v8, v16
	v_addc_co_u32_e64 v9, s[28:29], 0, v9, s[28:29]
	v_sub_u32_e32 v48, v48, v21
	v_cmp_gt_i32_e64 s[28:29], 1, v48
	s_or_b64 s[42:43], s[28:29], s[42:43]
	v_add_co_u32_e64 v10, s[28:29], v10, v16
	v_addc_co_u32_e64 v11, s[28:29], 0, v11, s[28:29]
	s_andn2_b64 exec, exec, s[42:43]
	s_cbranch_execz .LBB2_749
.LBB2_733:                              ;   Parent Loop BB2_47 Depth=1
                                        ;     Parent Loop BB2_575 Depth=2
                                        ; =>    This Inner Loop Header: Depth=3
	flat_load_ushort v34, v[12:13] glc slc
	flat_load_ushort v52, v[14:15] glc slc
	flat_load_ushort v43, v[12:13] offset:256 glc slc
	flat_load_ushort v54, v[12:13] offset:384 glc slc
	;; [unrolled: 1-line block ×6, first 2 shown]
	s_waitcnt vmcnt(0) lgkmcnt(0)
	v_lshlrev_b32_e32 v34, 16, v34
	v_lshlrev_b32_e32 v52, 16, v52
	v_max_f32_e32 v52, v52, v52
	v_max_f32_e32 v34, v34, v34
	v_min_f32_e32 v60, v34, v52
	v_max_f32_e32 v34, v34, v52
	v_cndmask_b32_e32 v60, v34, v60, vcc
	v_and_b32_e32 v34, 0x7f800000, v60
	v_cmp_ne_u32_e64 s[28:29], s65, v34
                                        ; implicit-def: $vgpr52
	s_and_saveexec_b64 s[94:95], s[28:29]
	s_xor_b64 s[28:29], exec, s[94:95]
; %bb.734:                              ;   in Loop: Header=BB2_733 Depth=3
	v_bfe_u32 v34, v60, 16, 1
	v_add3_u32 v52, v60, v34, s66
                                        ; implicit-def: $vgpr60
; %bb.735:                              ;   in Loop: Header=BB2_733 Depth=3
	s_andn2_saveexec_b64 s[94:95], s[28:29]
; %bb.736:                              ;   in Loop: Header=BB2_733 Depth=3
	v_or_b32_e32 v34, 0x10000, v60
	v_cmp_eq_u32_sdwa s[28:29], v60, v2 src0_sel:WORD_0 src1_sel:DWORD
	v_cndmask_b32_e64 v52, v34, v60, s[28:29]
; %bb.737:                              ;   in Loop: Header=BB2_733 Depth=3
	s_or_b64 exec, exec, s[94:95]
	v_lshlrev_b32_e32 v34, 16, v41
	v_lshlrev_b32_e32 v41, 16, v57
	v_max_f32_e32 v41, v41, v41
	v_max_f32_e32 v34, v34, v34
	v_min_f32_e32 v57, v34, v41
	v_max_f32_e32 v34, v34, v41
	v_cndmask_b32_e32 v57, v34, v57, vcc
	v_and_b32_e32 v34, 0x7f800000, v57
	v_cmp_ne_u32_e64 s[28:29], s65, v34
                                        ; implicit-def: $vgpr41
	s_and_saveexec_b64 s[94:95], s[28:29]
	s_xor_b64 s[28:29], exec, s[94:95]
; %bb.738:                              ;   in Loop: Header=BB2_733 Depth=3
	v_bfe_u32 v34, v57, 16, 1
	v_add3_u32 v41, v57, v34, s66
                                        ; implicit-def: $vgpr57
; %bb.739:                              ;   in Loop: Header=BB2_733 Depth=3
	s_andn2_saveexec_b64 s[94:95], s[28:29]
; %bb.740:                              ;   in Loop: Header=BB2_733 Depth=3
	v_or_b32_e32 v34, 0x10000, v57
	v_cmp_eq_u32_sdwa s[28:29], v57, v2 src0_sel:WORD_0 src1_sel:DWORD
	v_cndmask_b32_e64 v41, v34, v57, s[28:29]
; %bb.741:                              ;   in Loop: Header=BB2_733 Depth=3
	s_or_b64 exec, exec, s[94:95]
	v_lshlrev_b32_e32 v34, 16, v43
	v_lshlrev_b32_e32 v43, 16, v56
	v_max_f32_e32 v43, v43, v43
	v_max_f32_e32 v34, v34, v34
	v_min_f32_e32 v56, v34, v43
	v_max_f32_e32 v34, v34, v43
	v_cndmask_b32_e32 v56, v34, v56, vcc
	v_and_b32_e32 v34, 0x7f800000, v56
	v_cmp_ne_u32_e64 s[28:29], s65, v34
                                        ; implicit-def: $vgpr43
	s_and_saveexec_b64 s[94:95], s[28:29]
	s_xor_b64 s[28:29], exec, s[94:95]
; %bb.742:                              ;   in Loop: Header=BB2_733 Depth=3
	v_bfe_u32 v34, v56, 16, 1
	v_add3_u32 v43, v56, v34, s66
                                        ; implicit-def: $vgpr56
; %bb.743:                              ;   in Loop: Header=BB2_733 Depth=3
	s_andn2_saveexec_b64 s[94:95], s[28:29]
; %bb.744:                              ;   in Loop: Header=BB2_733 Depth=3
	v_or_b32_e32 v34, 0x10000, v56
	v_cmp_eq_u32_sdwa s[28:29], v56, v2 src0_sel:WORD_0 src1_sel:DWORD
	v_cndmask_b32_e64 v43, v34, v56, s[28:29]
; %bb.745:                              ;   in Loop: Header=BB2_733 Depth=3
	s_or_b64 exec, exec, s[94:95]
	v_lshlrev_b32_e32 v34, 16, v54
	v_lshlrev_b32_e32 v54, 16, v55
	v_max_f32_e32 v54, v54, v54
	v_max_f32_e32 v34, v34, v34
	v_min_f32_e32 v55, v34, v54
	v_max_f32_e32 v34, v34, v54
	v_cndmask_b32_e32 v55, v34, v55, vcc
	v_and_b32_e32 v34, 0x7f800000, v55
	v_cmp_ne_u32_e64 s[28:29], s65, v34
                                        ; implicit-def: $vgpr54
	s_and_saveexec_b64 s[94:95], s[28:29]
	s_xor_b64 s[28:29], exec, s[94:95]
; %bb.746:                              ;   in Loop: Header=BB2_733 Depth=3
	v_bfe_u32 v34, v55, 16, 1
	v_add3_u32 v54, v55, v34, s66
                                        ; implicit-def: $vgpr55
; %bb.747:                              ;   in Loop: Header=BB2_733 Depth=3
	s_andn2_saveexec_b64 s[94:95], s[28:29]
	s_cbranch_execz .LBB2_732
; %bb.748:                              ;   in Loop: Header=BB2_733 Depth=3
	v_or_b32_e32 v34, 0x10000, v55
	v_cmp_eq_u32_sdwa s[28:29], v55, v2 src0_sel:WORD_0 src1_sel:DWORD
	v_cndmask_b32_e64 v54, v34, v55, s[28:29]
	s_branch .LBB2_732
.LBB2_749:                              ;   in Loop: Header=BB2_575 Depth=2
	s_or_b64 exec, exec, s[42:43]
	buffer_load_dword v56, off, s[0:3], s33 offset:124 ; 4-byte Folded Reload
	v_ashrrev_i32_e32 v60, 31, v30
.LBB2_750:                              ;   in Loop: Header=BB2_575 Depth=2
	s_or_b64 exec, exec, s[40:41]
	v_lshlrev_b32_e32 v8, 9, v49
	v_cmp_ne_u32_e32 vcc, v3, v8
	s_and_b64 exec, exec, vcc
	s_cbranch_execz .LBB2_760
; %bb.751:                              ;   in Loop: Header=BB2_575 Depth=2
	v_lshlrev_b32_e32 v9, 6, v19
	v_sub_u32_e32 v9, v18, v9
	v_lshlrev_b32_e32 v10, 6, v48
	v_sub_u32_e32 v9, v9, v10
	v_ashrrev_i32_e32 v10, 31, v9
	v_lshrrev_b32_e32 v10, 26, v10
	v_add_u32_e32 v10, v9, v10
	v_and_b32_e32 v11, 0x7fffffc0, v10
	v_sub_u32_e32 v9, v9, v11
	v_lshlrev_b32_e32 v10, 1, v10
	v_and_b32_e32 v10, 0xffffff80, v10
	v_lshlrev_b32_e32 v9, 1, v9
	v_add3_u32 v8, v10, v9, v8
	v_sub_u32_e32 v3, v3, v8
	v_cmp_lt_i32_e32 vcc, 1, v3
	s_and_b64 exec, exec, vcc
	s_cbranch_execz .LBB2_760
; %bb.752:                              ;   in Loop: Header=BB2_575 Depth=2
	v_add_u32_e32 v15, v8, v0
	buffer_load_dword v8, off, s[0:3], s33 offset:100 ; 4-byte Folded Reload
	buffer_load_dword v9, off, s[0:3], s33 offset:104 ; 4-byte Folded Reload
	v_ashrrev_i32_e32 v18, 31, v15
	s_trap 2
	s_and_b32 s58, s48, 1
	s_cmp_eq_u64 s[58:59], 0
	s_mov_b64 s[94:95], 0
	s_cselect_b64 s[28:29], -1, 0
	s_waitcnt vmcnt(0)
	v_add_co_u32_e32 v0, vcc, v15, v8
	v_addc_co_u32_e32 v12, vcc, v18, v9, vcc
	ds_read_b64 v[10:11], v0
	v_add_co_u32_e32 v13, vcc, v15, v58
	v_addc_co_u32_e32 v14, vcc, v18, v59, vcc
	v_add_co_u32_e32 v8, vcc, v15, v46
	v_addc_co_u32_e32 v9, vcc, v18, v47, vcc
	s_waitcnt lgkmcnt(0)
	v_add_co_u32_e32 v10, vcc, v10, v15
	v_addc_co_u32_e32 v11, vcc, v11, v18, vcc
.LBB2_753:                              ;   Parent Loop BB2_47 Depth=1
                                        ;     Parent Loop BB2_575 Depth=2
                                        ; =>    This Loop Header: Depth=3
                                        ;         Child Loop BB2_758 Depth 4
	flat_load_ushort v15, v[10:11] glc slc
	flat_load_ushort v18, v[8:9] glc slc
	s_waitcnt vmcnt(0) lgkmcnt(0)
	v_lshlrev_b32_e32 v15, 16, v15
	v_lshlrev_b32_e32 v18, 16, v18
	v_max_f32_e32 v15, v15, v15
	v_max_f32_e32 v18, v18, v18
	v_min_f32_e32 v19, v18, v15
	v_max_f32_e32 v15, v18, v15
	v_cndmask_b32_e64 v15, v15, v19, s[28:29]
	v_and_b32_e32 v18, 0x7f800000, v15
	v_cmp_ne_u32_e32 vcc, s65, v18
                                        ; implicit-def: $vgpr18
	s_and_saveexec_b64 s[40:41], vcc
	s_xor_b64 s[40:41], exec, s[40:41]
; %bb.754:                              ;   in Loop: Header=BB2_753 Depth=3
	v_bfe_u32 v18, v15, 16, 1
	v_add3_u32 v18, v15, v18, s66
                                        ; implicit-def: $vgpr15
; %bb.755:                              ;   in Loop: Header=BB2_753 Depth=3
	s_andn2_saveexec_b64 s[40:41], s[40:41]
; %bb.756:                              ;   in Loop: Header=BB2_753 Depth=3
	v_or_b32_e32 v18, 0x10000, v15
	v_cmp_eq_u32_sdwa vcc, v15, v2 src0_sel:WORD_0 src1_sel:DWORD
	v_cndmask_b32_e32 v18, v18, v15, vcc
; %bb.757:                              ;   in Loop: Header=BB2_753 Depth=3
	s_or_b64 exec, exec, s[40:41]
	v_lshrrev_b32_e32 v15, 16, v18
	s_mov_b64 s[34:35], 0
	s_mov_b64 s[30:31], -1
.LBB2_758:                              ;   Parent Loop BB2_47 Depth=1
                                        ;     Parent Loop BB2_575 Depth=2
                                        ;       Parent Loop BB2_753 Depth=3
                                        ; =>      This Inner Loop Header: Depth=4
	s_cmp_eq_u32 s34, 1
	s_cselect_b64 s[40:41], -1, 0
	v_cndmask_b32_e64 v19, v12, v14, s[40:41]
	v_cndmask_b32_e64 v18, v0, v13, s[40:41]
	flat_store_short v[18:19], v15 glc slc
	v_add_co_u32_e32 v18, vcc, 0x80, v18
	s_cmp_eq_u32 s34, 0
	v_addc_co_u32_e32 v19, vcc, 0, v19, vcc
	s_cselect_b64 vcc, -1, 0
	s_and_b64 s[42:43], exec, s[30:31]
	s_mov_b64 s[34:35], 1
	v_cndmask_b32_e64 v13, v13, v18, s[40:41]
	s_mov_b64 s[30:31], 0
	v_cndmask_b32_e64 v14, v14, v19, s[40:41]
	v_cndmask_b32_e32 v12, v12, v19, vcc
	v_cndmask_b32_e32 v0, v0, v18, vcc
	s_mov_b64 vcc, s[42:43]
	s_cbranch_vccnz .LBB2_758
; %bb.759:                              ;   in Loop: Header=BB2_753 Depth=3
	v_add_co_u32_e32 v8, vcc, v8, v5
	v_addc_co_u32_e32 v9, vcc, v9, v38, vcc
	v_add_co_u32_e32 v10, vcc, v10, v5
	v_addc_co_u32_e32 v11, vcc, v11, v38, vcc
	v_add_u32_e32 v15, 0xffffff80, v31
	v_add_co_u32_e32 v0, vcc, v0, v15
	v_addc_co_u32_e32 v12, vcc, v12, v4, vcc
	v_sub_u32_e32 v3, v3, v31
	v_cmp_gt_i32_e32 vcc, 2, v3
	s_or_b64 s[94:95], vcc, s[94:95]
	v_add_co_u32_e32 v13, vcc, v13, v15
	v_addc_co_u32_e32 v14, vcc, v14, v4, vcc
	s_andn2_b64 exec, exec, s[94:95]
	s_cbranch_execnz .LBB2_753
.LBB2_760:                              ;   in Loop: Header=BB2_575 Depth=2
	s_or_b64 exec, exec, s[44:45]
	s_mov_b64 s[28:29], 0
.LBB2_761:                              ;   in Loop: Header=BB2_575 Depth=2
	buffer_load_dword v59, off, s[0:3], s33 offset:76 ; 4-byte Folded Reload
	s_and_b64 vcc, exec, s[28:29]
	v_mov_b32_e32 v58, 0xc8
	s_cbranch_vccz .LBB2_872
; %bb.762:                              ;   in Loop: Header=BB2_575 Depth=2
	s_mov_b64 s[28:29], -1
	s_and_saveexec_b64 s[40:41], s[22:23]
	s_cbranch_execz .LBB2_764
; %bb.763:                              ;   in Loop: Header=BB2_575 Depth=2
	ds_read_b32 v0, v0 offset:720
	s_waitcnt lgkmcnt(0)
	v_and_b32_e32 v0, 15, v0
	v_cmp_eq_u32_e32 vcc, 0, v0
	s_orn2_b64 s[28:29], vcc, exec
.LBB2_764:                              ;   in Loop: Header=BB2_575 Depth=2
	s_or_b64 exec, exec, s[40:41]
	s_and_saveexec_b64 s[40:41], s[18:19]
	s_cbranch_execz .LBB2_766
; %bb.765:                              ;   in Loop: Header=BB2_575 Depth=2
	ds_read_b32 v0, v0 offset:784
	s_waitcnt lgkmcnt(0)
	v_and_b32_e32 v0, 15, v0
	v_cmp_eq_u32_e32 vcc, 0, v0
	s_and_b64 s[42:43], s[28:29], vcc
	s_andn2_b64 s[28:29], s[28:29], exec
	s_and_b64 s[42:43], s[42:43], exec
	s_or_b64 s[28:29], s[28:29], s[42:43]
.LBB2_766:                              ;   in Loop: Header=BB2_575 Depth=2
	s_or_b64 exec, exec, s[40:41]
	s_xor_b64 s[28:29], s[28:29], -1
	v_cndmask_b32_e64 v0, 0, 1, s[28:29]
	s_mov_b64 s[44:45], -1
	v_mov_b32_e32 v14, 0
	v_cmp_ne_u32_e32 vcc, 0, v0
	s_cbranch_vccz .LBB2_768
; %bb.767:                              ;   in Loop: Header=BB2_575 Depth=2
	s_waitcnt vmcnt(0)
	v_mov_b32_e32 v15, v61
	s_and_saveexec_b64 s[40:41], s[44:45]
	s_cbranch_execnz .LBB2_843
	s_branch .LBB2_871
.LBB2_768:                              ;   in Loop: Header=BB2_575 Depth=2
	buffer_load_dword v0, off, s[0:3], s33 offset:68 ; 4-byte Folded Reload
	v_ashrrev_i32_e32 v3, 31, v53
	v_lshrrev_b32_e32 v3, 22, v3
	v_add_u32_e32 v3, v53, v3
	v_ashrrev_i32_e32 v8, 10, v3
	v_and_b32_e32 v3, 0xfffffc00, v3
	v_sub_u32_e32 v41, v53, v3
	s_waitcnt vmcnt(0)
	v_sub_u32_e32 v8, v8, v59
	v_cmp_lt_i32_e32 vcc, 15, v41
	v_addc_co_u32_e64 v52, s[28:29], 0, v8, vcc
	v_sub_u32_e32 v0, v53, v0
	v_cmp_lt_i32_e64 s[28:29], 15, v0
	s_and_saveexec_b64 s[42:43], s[28:29]
	s_cbranch_execz .LBB2_804
; %bb.769:                              ;   in Loop: Header=BB2_575 Depth=2
	s_trap 2
	buffer_load_dword v10, off, s[0:3], s33 offset:68 ; 4-byte Folded Reload
	ds_read_b64 v[8:9], v0
	s_and_b32 s58, s48, 1
	s_cmp_eq_u64 s[58:59], 0
	s_mov_b64 s[44:45], 0
	s_waitcnt vmcnt(0)
	v_add_co_u32_e64 v18, s[28:29], v46, v10
	v_addc_co_u32_e64 v19, s[28:29], 0, v47, s[28:29]
	s_waitcnt lgkmcnt(0)
	v_add_co_u32_e64 v58, s[28:29], v8, v10
	v_addc_co_u32_e64 v59, s[28:29], 0, v9, s[28:29]
	buffer_load_dword v8, off, s[0:3], s33 offset:100 ; 4-byte Folded Reload
	buffer_load_dword v9, off, s[0:3], s33 offset:104 ; 4-byte Folded Reload
	s_waitcnt vmcnt(1)
	v_add_co_u32_e64 v60, s[28:29], v8, v10
	s_waitcnt vmcnt(0)
	v_addc_co_u32_e64 v61, s[28:29], 0, v9, s[28:29]
	s_cselect_b64 s[28:29], -1, 0
	s_branch .LBB2_771
.LBB2_770:                              ;   in Loop: Header=BB2_771 Depth=3
	s_or_b64 exec, exec, s[94:95]
	v_lshrrev_b32_e32 v12, 16, v12
	v_and_or_b32 v9, v9, s67, v12
	v_lshrrev_b32_e32 v12, 16, v48
	v_add_co_u32_e64 v18, s[40:41], v18, v35
	v_and_or_b32 v8, v8, s67, v12
	v_lshrrev_b32_e32 v12, 16, v13
	v_addc_co_u32_e64 v19, s[40:41], 0, v19, s[40:41]
	v_and_or_b32 v10, v10, s67, v12
	v_lshrrev_b32_e32 v12, 16, v14
	v_add_co_u32_e64 v58, s[40:41], v58, v35
	v_and_or_b32 v11, v11, s67, v12
	v_addc_co_u32_e64 v59, s[40:41], 0, v59, s[40:41]
	global_store_dwordx4 v[60:61], v[8:11], off glc slc
	v_add_co_u32_e64 v60, s[40:41], v60, v35
	v_addc_co_u32_e64 v61, s[40:41], 0, v61, s[40:41]
	v_sub_u32_e32 v0, v0, v35
	v_cmp_gt_i32_e64 s[40:41], 16, v0
	s_or_b64 s[44:45], s[40:41], s[44:45]
	v_sub_u32_e32 v52, v52, v21
	s_andn2_b64 exec, exec, s[44:45]
	s_cbranch_execz .LBB2_803
.LBB2_771:                              ;   Parent Loop BB2_47 Depth=1
                                        ;     Parent Loop BB2_575 Depth=2
                                        ; =>    This Inner Loop Header: Depth=3
	global_load_dwordx4 v[8:11], v[58:59], off glc slc
	global_load_dwordx4 v[12:15], v[18:19], off glc slc
	s_waitcnt vmcnt(1)
	v_lshlrev_b32_e32 v34, 16, v8
	s_waitcnt vmcnt(0)
	v_lshlrev_b32_e32 v48, 16, v12
	v_max_f32_e32 v34, v34, v34
	v_max_f32_e32 v48, v48, v48
	v_min_f32_e32 v49, v48, v34
	v_max_f32_e32 v34, v48, v34
	v_cndmask_b32_e64 v49, v34, v49, s[28:29]
	v_and_b32_e32 v34, 0x7f800000, v49
	v_cmp_ne_u32_e64 s[40:41], s65, v34
                                        ; implicit-def: $vgpr48
	s_and_saveexec_b64 s[94:95], s[40:41]
	s_xor_b64 s[40:41], exec, s[94:95]
; %bb.772:                              ;   in Loop: Header=BB2_771 Depth=3
	v_bfe_u32 v34, v49, 16, 1
	v_add3_u32 v48, v49, v34, s66
                                        ; implicit-def: $vgpr49
; %bb.773:                              ;   in Loop: Header=BB2_771 Depth=3
	s_andn2_saveexec_b64 s[94:95], s[40:41]
; %bb.774:                              ;   in Loop: Header=BB2_771 Depth=3
	v_or_b32_e32 v34, 0x10000, v49
	v_cmp_eq_u32_sdwa s[40:41], v49, v2 src0_sel:WORD_0 src1_sel:DWORD
	v_cndmask_b32_e64 v48, v34, v49, s[40:41]
; %bb.775:                              ;   in Loop: Header=BB2_771 Depth=3
	s_or_b64 exec, exec, s[94:95]
	v_and_b32_e32 v8, 0xffff0000, v8
	v_and_b32_e32 v12, 0xffff0000, v12
	v_max_f32_e32 v8, v8, v8
	v_max_f32_e32 v12, v12, v12
	v_min_f32_e32 v34, v12, v8
	v_max_f32_e32 v8, v12, v8
	v_cndmask_b32_e64 v12, v8, v34, s[28:29]
	v_and_b32_e32 v8, 0x7f800000, v12
	v_cmp_ne_u32_e64 s[40:41], s65, v8
                                        ; implicit-def: $vgpr8
	s_and_saveexec_b64 s[94:95], s[40:41]
	s_xor_b64 s[40:41], exec, s[94:95]
; %bb.776:                              ;   in Loop: Header=BB2_771 Depth=3
	v_bfe_u32 v8, v12, 16, 1
	v_add3_u32 v8, v12, v8, s66
                                        ; implicit-def: $vgpr12
; %bb.777:                              ;   in Loop: Header=BB2_771 Depth=3
	s_andn2_saveexec_b64 s[94:95], s[40:41]
; %bb.778:                              ;   in Loop: Header=BB2_771 Depth=3
	v_or_b32_e32 v8, 0x10000, v12
	v_cmp_eq_u32_sdwa s[40:41], v12, v2 src0_sel:WORD_0 src1_sel:DWORD
	v_cndmask_b32_e64 v8, v8, v12, s[40:41]
; %bb.779:                              ;   in Loop: Header=BB2_771 Depth=3
	s_or_b64 exec, exec, s[94:95]
	v_lshlrev_b32_e32 v12, 16, v9
	v_lshlrev_b32_e32 v34, 16, v13
	v_max_f32_e32 v12, v12, v12
	v_max_f32_e32 v34, v34, v34
	v_min_f32_e32 v49, v34, v12
	v_max_f32_e32 v12, v34, v12
	v_cndmask_b32_e64 v49, v12, v49, s[28:29]
	v_and_b32_e32 v12, 0x7f800000, v49
	v_cmp_ne_u32_e64 s[40:41], s65, v12
                                        ; implicit-def: $vgpr12
	s_and_saveexec_b64 s[94:95], s[40:41]
	s_xor_b64 s[40:41], exec, s[94:95]
; %bb.780:                              ;   in Loop: Header=BB2_771 Depth=3
	v_bfe_u32 v12, v49, 16, 1
	v_add3_u32 v12, v49, v12, s66
                                        ; implicit-def: $vgpr49
; %bb.781:                              ;   in Loop: Header=BB2_771 Depth=3
	s_andn2_saveexec_b64 s[94:95], s[40:41]
; %bb.782:                              ;   in Loop: Header=BB2_771 Depth=3
	v_or_b32_e32 v12, 0x10000, v49
	v_cmp_eq_u32_sdwa s[40:41], v49, v2 src0_sel:WORD_0 src1_sel:DWORD
	v_cndmask_b32_e64 v12, v12, v49, s[40:41]
; %bb.783:                              ;   in Loop: Header=BB2_771 Depth=3
	s_or_b64 exec, exec, s[94:95]
	v_and_b32_e32 v13, 0xffff0000, v13
	v_and_b32_e32 v9, 0xffff0000, v9
	v_max_f32_e32 v9, v9, v9
	v_max_f32_e32 v13, v13, v13
	v_min_f32_e32 v34, v13, v9
	v_max_f32_e32 v9, v13, v9
	v_cndmask_b32_e64 v13, v9, v34, s[28:29]
	v_and_b32_e32 v9, 0x7f800000, v13
	v_cmp_ne_u32_e64 s[40:41], s65, v9
                                        ; implicit-def: $vgpr9
	s_and_saveexec_b64 s[94:95], s[40:41]
	s_xor_b64 s[40:41], exec, s[94:95]
; %bb.784:                              ;   in Loop: Header=BB2_771 Depth=3
	v_bfe_u32 v9, v13, 16, 1
	v_add3_u32 v9, v13, v9, s66
                                        ; implicit-def: $vgpr13
; %bb.785:                              ;   in Loop: Header=BB2_771 Depth=3
	s_andn2_saveexec_b64 s[94:95], s[40:41]
; %bb.786:                              ;   in Loop: Header=BB2_771 Depth=3
	v_or_b32_e32 v9, 0x10000, v13
	v_cmp_eq_u32_sdwa s[40:41], v13, v2 src0_sel:WORD_0 src1_sel:DWORD
	v_cndmask_b32_e64 v9, v9, v13, s[40:41]
; %bb.787:                              ;   in Loop: Header=BB2_771 Depth=3
	s_or_b64 exec, exec, s[94:95]
	v_lshlrev_b32_e32 v13, 16, v10
	v_lshlrev_b32_e32 v34, 16, v14
	v_max_f32_e32 v13, v13, v13
	v_max_f32_e32 v34, v34, v34
	v_min_f32_e32 v49, v34, v13
	v_max_f32_e32 v13, v34, v13
	v_cndmask_b32_e64 v49, v13, v49, s[28:29]
	v_and_b32_e32 v13, 0x7f800000, v49
	v_cmp_ne_u32_e64 s[40:41], s65, v13
                                        ; implicit-def: $vgpr13
	s_and_saveexec_b64 s[94:95], s[40:41]
	s_xor_b64 s[40:41], exec, s[94:95]
; %bb.788:                              ;   in Loop: Header=BB2_771 Depth=3
	v_bfe_u32 v13, v49, 16, 1
	v_add3_u32 v13, v49, v13, s66
                                        ; implicit-def: $vgpr49
; %bb.789:                              ;   in Loop: Header=BB2_771 Depth=3
	s_andn2_saveexec_b64 s[94:95], s[40:41]
; %bb.790:                              ;   in Loop: Header=BB2_771 Depth=3
	v_or_b32_e32 v13, 0x10000, v49
	v_cmp_eq_u32_sdwa s[40:41], v49, v2 src0_sel:WORD_0 src1_sel:DWORD
	v_cndmask_b32_e64 v13, v13, v49, s[40:41]
; %bb.791:                              ;   in Loop: Header=BB2_771 Depth=3
	s_or_b64 exec, exec, s[94:95]
	v_and_b32_e32 v14, 0xffff0000, v14
	v_and_b32_e32 v10, 0xffff0000, v10
	v_max_f32_e32 v10, v10, v10
	v_max_f32_e32 v14, v14, v14
	v_min_f32_e32 v34, v14, v10
	v_max_f32_e32 v10, v14, v10
	v_cndmask_b32_e64 v14, v10, v34, s[28:29]
	v_and_b32_e32 v10, 0x7f800000, v14
	v_cmp_ne_u32_e64 s[40:41], s65, v10
                                        ; implicit-def: $vgpr10
	s_and_saveexec_b64 s[94:95], s[40:41]
	s_xor_b64 s[40:41], exec, s[94:95]
; %bb.792:                              ;   in Loop: Header=BB2_771 Depth=3
	v_bfe_u32 v10, v14, 16, 1
	v_add3_u32 v10, v14, v10, s66
                                        ; implicit-def: $vgpr14
; %bb.793:                              ;   in Loop: Header=BB2_771 Depth=3
	s_andn2_saveexec_b64 s[94:95], s[40:41]
; %bb.794:                              ;   in Loop: Header=BB2_771 Depth=3
	v_or_b32_e32 v10, 0x10000, v14
	v_cmp_eq_u32_sdwa s[40:41], v14, v2 src0_sel:WORD_0 src1_sel:DWORD
	v_cndmask_b32_e64 v10, v10, v14, s[40:41]
; %bb.795:                              ;   in Loop: Header=BB2_771 Depth=3
	s_or_b64 exec, exec, s[94:95]
	v_lshlrev_b32_e32 v14, 16, v11
	v_lshlrev_b32_e32 v34, 16, v15
	v_max_f32_e32 v14, v14, v14
	v_max_f32_e32 v34, v34, v34
	v_min_f32_e32 v49, v34, v14
	v_max_f32_e32 v14, v34, v14
	v_cndmask_b32_e64 v49, v14, v49, s[28:29]
	v_and_b32_e32 v14, 0x7f800000, v49
	v_cmp_ne_u32_e64 s[40:41], s65, v14
                                        ; implicit-def: $vgpr14
	s_and_saveexec_b64 s[94:95], s[40:41]
	s_xor_b64 s[40:41], exec, s[94:95]
; %bb.796:                              ;   in Loop: Header=BB2_771 Depth=3
	v_bfe_u32 v14, v49, 16, 1
	v_add3_u32 v14, v49, v14, s66
                                        ; implicit-def: $vgpr49
; %bb.797:                              ;   in Loop: Header=BB2_771 Depth=3
	s_andn2_saveexec_b64 s[94:95], s[40:41]
; %bb.798:                              ;   in Loop: Header=BB2_771 Depth=3
	v_or_b32_e32 v14, 0x10000, v49
	v_cmp_eq_u32_sdwa s[40:41], v49, v2 src0_sel:WORD_0 src1_sel:DWORD
	v_cndmask_b32_e64 v14, v14, v49, s[40:41]
; %bb.799:                              ;   in Loop: Header=BB2_771 Depth=3
	s_or_b64 exec, exec, s[94:95]
	v_and_b32_e32 v15, 0xffff0000, v15
	v_and_b32_e32 v11, 0xffff0000, v11
	v_max_f32_e32 v11, v11, v11
	v_max_f32_e32 v15, v15, v15
	v_min_f32_e32 v34, v15, v11
	v_max_f32_e32 v11, v15, v11
	v_cndmask_b32_e64 v15, v11, v34, s[28:29]
	v_and_b32_e32 v11, 0x7f800000, v15
	v_cmp_ne_u32_e64 s[40:41], s65, v11
                                        ; implicit-def: $vgpr11
	s_and_saveexec_b64 s[94:95], s[40:41]
	s_xor_b64 s[40:41], exec, s[94:95]
; %bb.800:                              ;   in Loop: Header=BB2_771 Depth=3
	v_bfe_u32 v11, v15, 16, 1
	v_add3_u32 v11, v15, v11, s66
                                        ; implicit-def: $vgpr15
; %bb.801:                              ;   in Loop: Header=BB2_771 Depth=3
	s_andn2_saveexec_b64 s[94:95], s[40:41]
	s_cbranch_execz .LBB2_770
; %bb.802:                              ;   in Loop: Header=BB2_771 Depth=3
	v_or_b32_e32 v11, 0x10000, v15
	v_cmp_eq_u32_sdwa s[40:41], v15, v2 src0_sel:WORD_0 src1_sel:DWORD
	v_cndmask_b32_e64 v11, v11, v15, s[40:41]
	s_branch .LBB2_770
.LBB2_803:                              ;   in Loop: Header=BB2_575 Depth=2
	s_or_b64 exec, exec, s[44:45]
	buffer_load_dword v61, off, s[0:3], s33 offset:88 ; 4-byte Folded Reload
	buffer_load_dword v59, off, s[0:3], s33 offset:76 ; 4-byte Folded Reload
	v_ashrrev_i32_e32 v60, 31, v30
	v_mov_b32_e32 v58, 0xc8
.LBB2_804:                              ;   in Loop: Header=BB2_575 Depth=2
	s_or_b64 exec, exec, s[42:43]
	v_and_b32_e32 v8, 14, v53
	v_cndmask_b32_e32 v0, v41, v8, vcc
	v_mov_b32_e32 v14, 0
	v_cmp_ne_u32_e64 s[28:29], 0, v0
	s_mov_b64 s[44:45], 0
                                        ; implicit-def: $vgpr53
                                        ; implicit-def: $vgpr15
	s_and_saveexec_b64 s[42:43], s[28:29]
	s_cbranch_execz .LBB2_842
; %bb.805:                              ;   in Loop: Header=BB2_575 Depth=2
	buffer_load_dword v9, off, s[0:3], s33 offset:72 ; 4-byte Folded Reload
	v_sub_u32_e32 v8, v41, v8
	v_cndmask_b32_e32 v8, 0, v8, vcc
	v_cmp_lt_i32_e32 vcc, 0, v52
	v_add_u32_e32 v3, v8, v3
	v_cndmask_b32_e32 v8, 0, v21, vcc
	v_sub_u32_e32 v8, v8, v52
	s_waitcnt vmcnt(0)
	v_lshl_or_b32 v8, v8, 6, v9
	v_ashrrev_i32_e32 v9, 31, v8
	v_lshrrev_b32_e32 v9, 26, v9
	v_add_u32_e32 v9, v8, v9
	v_ashrrev_i32_e32 v10, 6, v9
	v_and_b32_e32 v9, 0xffffffc0, v9
	v_sub_u32_e32 v52, v8, v9
	v_ashrrev_i32_e32 v9, 31, v0
	v_lshrrev_b32_e32 v9, 22, v9
	v_add_u32_e32 v9, v0, v9
	v_and_b32_e32 v48, 0xfffffc00, v9
	v_lshlrev_b32_e32 v8, 4, v52
	v_sub_u32_e32 v49, v0, v48
	v_lshl_add_u32 v8, v10, 10, v8
	v_ashrrev_i32_e32 v11, 10, v9
	v_cmp_lt_i32_e32 vcc, 15, v49
	v_sub_u32_e32 v53, v0, v8
	v_addc_co_u32_e64 v9, s[28:29], 0, v11, vcc
	v_sub_u32_e32 v41, v9, v10
	v_cmp_lt_i32_e64 s[28:29], 15, v53
	s_and_saveexec_b64 s[44:45], s[28:29]
	s_cbranch_execz .LBB2_841
; %bb.806:                              ;   in Loop: Header=BB2_575 Depth=2
	v_add_u32_e32 v10, v8, v3
	s_trap 2
	ds_read_b64 v[8:9], v0
	v_ashrrev_i32_e32 v11, 31, v10
	v_add_co_u32_e64 v18, s[28:29], v10, v46
	v_addc_co_u32_e64 v19, s[28:29], v11, v47, s[28:29]
	s_waitcnt lgkmcnt(0)
	v_add_co_u32_e64 v58, s[28:29], v8, v10
	v_addc_co_u32_e64 v59, s[28:29], v9, v11, s[28:29]
	buffer_load_dword v8, off, s[0:3], s33 offset:100 ; 4-byte Folded Reload
	buffer_load_dword v9, off, s[0:3], s33 offset:104 ; 4-byte Folded Reload
	s_and_b32 s58, s48, 1
	s_cmp_eq_u64 s[58:59], 0
	s_mov_b64 s[94:95], 0
	s_waitcnt vmcnt(1)
	v_add_co_u32_e64 v60, s[28:29], v10, v8
	s_waitcnt vmcnt(0)
	v_addc_co_u32_e64 v61, s[28:29], v11, v9, s[28:29]
	s_cselect_b64 s[28:29], -1, 0
	s_branch .LBB2_808
.LBB2_807:                              ;   in Loop: Header=BB2_808 Depth=3
	s_or_b64 exec, exec, s[30:31]
	v_lshrrev_b32_e32 v12, 16, v12
	v_and_or_b32 v9, v9, s67, v12
	v_lshrrev_b32_e32 v12, 16, v54
	v_add_co_u32_e64 v18, s[40:41], v18, v35
	v_and_or_b32 v8, v8, s67, v12
	v_lshrrev_b32_e32 v12, 16, v13
	v_addc_co_u32_e64 v19, s[40:41], 0, v19, s[40:41]
	v_and_or_b32 v10, v10, s67, v12
	v_lshrrev_b32_e32 v12, 16, v14
	v_add_co_u32_e64 v58, s[40:41], v58, v35
	v_and_or_b32 v11, v11, s67, v12
	v_addc_co_u32_e64 v59, s[40:41], 0, v59, s[40:41]
	global_store_dwordx4 v[60:61], v[8:11], off glc slc
	v_add_co_u32_e64 v60, s[40:41], v60, v35
	v_addc_co_u32_e64 v61, s[40:41], 0, v61, s[40:41]
	v_sub_u32_e32 v53, v53, v35
	v_cmp_gt_i32_e64 s[40:41], 16, v53
	s_or_b64 s[94:95], s[40:41], s[94:95]
	v_sub_u32_e32 v41, v41, v21
	s_andn2_b64 exec, exec, s[94:95]
	s_cbranch_execz .LBB2_840
.LBB2_808:                              ;   Parent Loop BB2_47 Depth=1
                                        ;     Parent Loop BB2_575 Depth=2
                                        ; =>    This Inner Loop Header: Depth=3
	global_load_dwordx4 v[8:11], v[58:59], off glc slc
	global_load_dwordx4 v[12:15], v[18:19], off glc slc
	s_waitcnt vmcnt(1)
	v_lshlrev_b32_e32 v34, 16, v8
	s_waitcnt vmcnt(0)
	v_lshlrev_b32_e32 v54, 16, v12
	v_max_f32_e32 v34, v34, v34
	v_max_f32_e32 v54, v54, v54
	v_min_f32_e32 v55, v54, v34
	v_max_f32_e32 v34, v54, v34
	v_cndmask_b32_e64 v55, v34, v55, s[28:29]
	v_and_b32_e32 v34, 0x7f800000, v55
	v_cmp_ne_u32_e64 s[40:41], s65, v34
                                        ; implicit-def: $vgpr54
	s_and_saveexec_b64 s[30:31], s[40:41]
	s_xor_b64 s[40:41], exec, s[30:31]
; %bb.809:                              ;   in Loop: Header=BB2_808 Depth=3
	v_bfe_u32 v34, v55, 16, 1
	v_add3_u32 v54, v55, v34, s66
                                        ; implicit-def: $vgpr55
; %bb.810:                              ;   in Loop: Header=BB2_808 Depth=3
	s_andn2_saveexec_b64 s[30:31], s[40:41]
; %bb.811:                              ;   in Loop: Header=BB2_808 Depth=3
	v_or_b32_e32 v34, 0x10000, v55
	v_cmp_eq_u32_sdwa s[40:41], v55, v2 src0_sel:WORD_0 src1_sel:DWORD
	v_cndmask_b32_e64 v54, v34, v55, s[40:41]
; %bb.812:                              ;   in Loop: Header=BB2_808 Depth=3
	s_or_b64 exec, exec, s[30:31]
	v_and_b32_e32 v8, 0xffff0000, v8
	v_and_b32_e32 v12, 0xffff0000, v12
	v_max_f32_e32 v8, v8, v8
	v_max_f32_e32 v12, v12, v12
	v_min_f32_e32 v34, v12, v8
	v_max_f32_e32 v8, v12, v8
	v_cndmask_b32_e64 v12, v8, v34, s[28:29]
	v_and_b32_e32 v8, 0x7f800000, v12
	v_cmp_ne_u32_e64 s[40:41], s65, v8
                                        ; implicit-def: $vgpr8
	s_and_saveexec_b64 s[30:31], s[40:41]
	s_xor_b64 s[40:41], exec, s[30:31]
; %bb.813:                              ;   in Loop: Header=BB2_808 Depth=3
	v_bfe_u32 v8, v12, 16, 1
	v_add3_u32 v8, v12, v8, s66
                                        ; implicit-def: $vgpr12
; %bb.814:                              ;   in Loop: Header=BB2_808 Depth=3
	s_andn2_saveexec_b64 s[30:31], s[40:41]
; %bb.815:                              ;   in Loop: Header=BB2_808 Depth=3
	v_or_b32_e32 v8, 0x10000, v12
	v_cmp_eq_u32_sdwa s[40:41], v12, v2 src0_sel:WORD_0 src1_sel:DWORD
	v_cndmask_b32_e64 v8, v8, v12, s[40:41]
; %bb.816:                              ;   in Loop: Header=BB2_808 Depth=3
	s_or_b64 exec, exec, s[30:31]
	v_lshlrev_b32_e32 v12, 16, v9
	v_lshlrev_b32_e32 v34, 16, v13
	v_max_f32_e32 v12, v12, v12
	v_max_f32_e32 v34, v34, v34
	v_min_f32_e32 v55, v34, v12
	v_max_f32_e32 v12, v34, v12
	v_cndmask_b32_e64 v55, v12, v55, s[28:29]
	v_and_b32_e32 v12, 0x7f800000, v55
	v_cmp_ne_u32_e64 s[40:41], s65, v12
                                        ; implicit-def: $vgpr12
	s_and_saveexec_b64 s[30:31], s[40:41]
	s_xor_b64 s[40:41], exec, s[30:31]
; %bb.817:                              ;   in Loop: Header=BB2_808 Depth=3
	v_bfe_u32 v12, v55, 16, 1
	v_add3_u32 v12, v55, v12, s66
                                        ; implicit-def: $vgpr55
; %bb.818:                              ;   in Loop: Header=BB2_808 Depth=3
	s_andn2_saveexec_b64 s[30:31], s[40:41]
; %bb.819:                              ;   in Loop: Header=BB2_808 Depth=3
	v_or_b32_e32 v12, 0x10000, v55
	v_cmp_eq_u32_sdwa s[40:41], v55, v2 src0_sel:WORD_0 src1_sel:DWORD
	v_cndmask_b32_e64 v12, v12, v55, s[40:41]
; %bb.820:                              ;   in Loop: Header=BB2_808 Depth=3
	s_or_b64 exec, exec, s[30:31]
	v_and_b32_e32 v13, 0xffff0000, v13
	v_and_b32_e32 v9, 0xffff0000, v9
	v_max_f32_e32 v9, v9, v9
	v_max_f32_e32 v13, v13, v13
	v_min_f32_e32 v34, v13, v9
	v_max_f32_e32 v9, v13, v9
	v_cndmask_b32_e64 v13, v9, v34, s[28:29]
	v_and_b32_e32 v9, 0x7f800000, v13
	v_cmp_ne_u32_e64 s[40:41], s65, v9
                                        ; implicit-def: $vgpr9
	s_and_saveexec_b64 s[30:31], s[40:41]
	s_xor_b64 s[40:41], exec, s[30:31]
; %bb.821:                              ;   in Loop: Header=BB2_808 Depth=3
	v_bfe_u32 v9, v13, 16, 1
	v_add3_u32 v9, v13, v9, s66
                                        ; implicit-def: $vgpr13
; %bb.822:                              ;   in Loop: Header=BB2_808 Depth=3
	s_andn2_saveexec_b64 s[30:31], s[40:41]
; %bb.823:                              ;   in Loop: Header=BB2_808 Depth=3
	v_or_b32_e32 v9, 0x10000, v13
	v_cmp_eq_u32_sdwa s[40:41], v13, v2 src0_sel:WORD_0 src1_sel:DWORD
	v_cndmask_b32_e64 v9, v9, v13, s[40:41]
; %bb.824:                              ;   in Loop: Header=BB2_808 Depth=3
	s_or_b64 exec, exec, s[30:31]
	v_lshlrev_b32_e32 v13, 16, v10
	v_lshlrev_b32_e32 v34, 16, v14
	v_max_f32_e32 v13, v13, v13
	v_max_f32_e32 v34, v34, v34
	v_min_f32_e32 v55, v34, v13
	v_max_f32_e32 v13, v34, v13
	v_cndmask_b32_e64 v55, v13, v55, s[28:29]
	v_and_b32_e32 v13, 0x7f800000, v55
	v_cmp_ne_u32_e64 s[40:41], s65, v13
                                        ; implicit-def: $vgpr13
	s_and_saveexec_b64 s[30:31], s[40:41]
	s_xor_b64 s[40:41], exec, s[30:31]
; %bb.825:                              ;   in Loop: Header=BB2_808 Depth=3
	v_bfe_u32 v13, v55, 16, 1
	v_add3_u32 v13, v55, v13, s66
                                        ; implicit-def: $vgpr55
; %bb.826:                              ;   in Loop: Header=BB2_808 Depth=3
	s_andn2_saveexec_b64 s[30:31], s[40:41]
; %bb.827:                              ;   in Loop: Header=BB2_808 Depth=3
	v_or_b32_e32 v13, 0x10000, v55
	v_cmp_eq_u32_sdwa s[40:41], v55, v2 src0_sel:WORD_0 src1_sel:DWORD
	v_cndmask_b32_e64 v13, v13, v55, s[40:41]
; %bb.828:                              ;   in Loop: Header=BB2_808 Depth=3
	s_or_b64 exec, exec, s[30:31]
	v_and_b32_e32 v14, 0xffff0000, v14
	v_and_b32_e32 v10, 0xffff0000, v10
	v_max_f32_e32 v10, v10, v10
	v_max_f32_e32 v14, v14, v14
	v_min_f32_e32 v34, v14, v10
	v_max_f32_e32 v10, v14, v10
	v_cndmask_b32_e64 v14, v10, v34, s[28:29]
	v_and_b32_e32 v10, 0x7f800000, v14
	v_cmp_ne_u32_e64 s[40:41], s65, v10
                                        ; implicit-def: $vgpr10
	s_and_saveexec_b64 s[30:31], s[40:41]
	s_xor_b64 s[40:41], exec, s[30:31]
; %bb.829:                              ;   in Loop: Header=BB2_808 Depth=3
	v_bfe_u32 v10, v14, 16, 1
	v_add3_u32 v10, v14, v10, s66
                                        ; implicit-def: $vgpr14
; %bb.830:                              ;   in Loop: Header=BB2_808 Depth=3
	s_andn2_saveexec_b64 s[30:31], s[40:41]
; %bb.831:                              ;   in Loop: Header=BB2_808 Depth=3
	v_or_b32_e32 v10, 0x10000, v14
	v_cmp_eq_u32_sdwa s[40:41], v14, v2 src0_sel:WORD_0 src1_sel:DWORD
	v_cndmask_b32_e64 v10, v10, v14, s[40:41]
; %bb.832:                              ;   in Loop: Header=BB2_808 Depth=3
	s_or_b64 exec, exec, s[30:31]
	v_lshlrev_b32_e32 v14, 16, v11
	v_lshlrev_b32_e32 v34, 16, v15
	v_max_f32_e32 v14, v14, v14
	v_max_f32_e32 v34, v34, v34
	v_min_f32_e32 v55, v34, v14
	v_max_f32_e32 v14, v34, v14
	v_cndmask_b32_e64 v55, v14, v55, s[28:29]
	v_and_b32_e32 v14, 0x7f800000, v55
	v_cmp_ne_u32_e64 s[40:41], s65, v14
                                        ; implicit-def: $vgpr14
	s_and_saveexec_b64 s[30:31], s[40:41]
	s_xor_b64 s[40:41], exec, s[30:31]
; %bb.833:                              ;   in Loop: Header=BB2_808 Depth=3
	v_bfe_u32 v14, v55, 16, 1
	v_add3_u32 v14, v55, v14, s66
                                        ; implicit-def: $vgpr55
; %bb.834:                              ;   in Loop: Header=BB2_808 Depth=3
	s_andn2_saveexec_b64 s[30:31], s[40:41]
; %bb.835:                              ;   in Loop: Header=BB2_808 Depth=3
	v_or_b32_e32 v14, 0x10000, v55
	v_cmp_eq_u32_sdwa s[40:41], v55, v2 src0_sel:WORD_0 src1_sel:DWORD
	v_cndmask_b32_e64 v14, v14, v55, s[40:41]
; %bb.836:                              ;   in Loop: Header=BB2_808 Depth=3
	s_or_b64 exec, exec, s[30:31]
	v_and_b32_e32 v15, 0xffff0000, v15
	v_and_b32_e32 v11, 0xffff0000, v11
	v_max_f32_e32 v11, v11, v11
	v_max_f32_e32 v15, v15, v15
	v_min_f32_e32 v34, v15, v11
	v_max_f32_e32 v11, v15, v11
	v_cndmask_b32_e64 v15, v11, v34, s[28:29]
	v_and_b32_e32 v11, 0x7f800000, v15
	v_cmp_ne_u32_e64 s[40:41], s65, v11
                                        ; implicit-def: $vgpr11
	s_and_saveexec_b64 s[30:31], s[40:41]
	s_xor_b64 s[40:41], exec, s[30:31]
; %bb.837:                              ;   in Loop: Header=BB2_808 Depth=3
	v_bfe_u32 v11, v15, 16, 1
	v_add3_u32 v11, v15, v11, s66
                                        ; implicit-def: $vgpr15
; %bb.838:                              ;   in Loop: Header=BB2_808 Depth=3
	s_andn2_saveexec_b64 s[30:31], s[40:41]
	s_cbranch_execz .LBB2_807
; %bb.839:                              ;   in Loop: Header=BB2_808 Depth=3
	v_or_b32_e32 v11, 0x10000, v15
	v_cmp_eq_u32_sdwa s[40:41], v15, v2 src0_sel:WORD_0 src1_sel:DWORD
	v_cndmask_b32_e64 v11, v11, v15, s[40:41]
	s_branch .LBB2_807
.LBB2_840:                              ;   in Loop: Header=BB2_575 Depth=2
	s_or_b64 exec, exec, s[94:95]
	buffer_load_dword v61, off, s[0:3], s33 offset:88 ; 4-byte Folded Reload
	buffer_load_dword v59, off, s[0:3], s33 offset:76 ; 4-byte Folded Reload
	v_ashrrev_i32_e32 v60, 31, v30
	v_mov_b32_e32 v58, 0xc8
.LBB2_841:                              ;   in Loop: Header=BB2_575 Depth=2
	s_or_b64 exec, exec, s[44:45]
	v_and_b32_e32 v0, 14, v0
	v_sub_u32_e32 v8, v49, v0
	v_cndmask_b32_e32 v8, 0, v8, vcc
	v_cndmask_b32_e32 v53, v49, v0, vcc
	v_cmp_lt_i32_e32 vcc, 0, v41
	v_cndmask_b32_e32 v0, 0, v21, vcc
	v_sub_u32_e32 v0, v0, v41
	v_cmp_ne_u32_e32 vcc, 0, v53
	v_add3_u32 v14, v48, v3, v8
	v_lshl_add_u32 v15, v0, 6, v52
	s_and_b64 s[44:45], vcc, exec
.LBB2_842:                              ;   in Loop: Header=BB2_575 Depth=2
	s_or_b64 exec, exec, s[42:43]
	s_and_saveexec_b64 s[40:41], s[44:45]
	s_cbranch_execz .LBB2_871
.LBB2_843:                              ;   in Loop: Header=BB2_575 Depth=2
	v_ashrrev_i32_e32 v0, 31, v15
	v_ashrrev_i32_e32 v3, 31, v53
	v_lshrrev_b32_e32 v0, 26, v0
	v_lshrrev_b32_e32 v3, 23, v3
	v_add_u32_e32 v8, v15, v0
	v_add_u32_e32 v3, v53, v3
	v_ashrrev_i32_e32 v0, 6, v8
	v_ashrrev_i32_e32 v18, 9, v3
	v_sub_u32_e32 v3, v18, v0
	v_cmp_lt_i32_e32 vcc, 0, v3
	s_and_saveexec_b64 s[42:43], vcc
	s_cbranch_execz .LBB2_863
; %bb.844:                              ;   in Loop: Header=BB2_575 Depth=2
	s_trap 2
	ds_read_b64 v[10:11], v0
	buffer_load_dword v48, off, s[0:3], s33 offset:100 ; 4-byte Folded Reload
	buffer_load_dword v49, off, s[0:3], s33 offset:104 ; 4-byte Folded Reload
	v_and_b32_e32 v8, 0x7fffffc0, v8
	v_sub_u32_e32 v8, v15, v8
	v_lshlrev_b32_e32 v8, 1, v8
	v_lshlrev_b32_e32 v9, 9, v0
	v_add3_u32 v12, v8, v14, v9
	v_ashrrev_i32_e32 v13, 31, v12
	v_add_co_u32_e32 v8, vcc, v12, v46
	v_addc_co_u32_e32 v9, vcc, v13, v47, vcc
	s_waitcnt lgkmcnt(0)
	v_add_co_u32_e32 v10, vcc, v10, v12
	v_addc_co_u32_e32 v11, vcc, v11, v13, vcc
	s_and_b32 s58, s48, 1
	s_cmp_eq_u64 s[58:59], 0
	s_mov_b64 s[44:45], 0
	s_waitcnt vmcnt(1)
	v_add_co_u32_e32 v12, vcc, v12, v48
	s_waitcnt vmcnt(0)
	v_addc_co_u32_e32 v13, vcc, v13, v49, vcc
	s_cselect_b64 vcc, -1, 0
	s_branch .LBB2_846
.LBB2_845:                              ;   in Loop: Header=BB2_846 Depth=3
	s_or_b64 exec, exec, s[94:95]
	v_add_co_u32_e64 v8, s[28:29], v8, v16
	v_addc_co_u32_e64 v9, s[28:29], 0, v9, s[28:29]
	v_add_co_u32_e64 v10, s[28:29], v10, v16
	v_addc_co_u32_e64 v11, s[28:29], 0, v11, s[28:29]
	v_sub_u32_e32 v3, v3, v21
	v_cmp_gt_i32_e64 s[28:29], 1, v3
	flat_store_short_d16_hi v[12:13], v19 glc slc
	flat_store_short_d16_hi v[12:13], v52 offset:128 glc slc
	flat_store_short_d16_hi v[12:13], v54 offset:256 glc slc
	;; [unrolled: 1-line block ×3, first 2 shown]
	s_or_b64 s[44:45], s[28:29], s[44:45]
	v_add_co_u32_e64 v12, s[28:29], v12, v16
	v_addc_co_u32_e64 v13, s[28:29], 0, v13, s[28:29]
	s_andn2_b64 exec, exec, s[44:45]
	s_cbranch_execz .LBB2_862
.LBB2_846:                              ;   Parent Loop BB2_47 Depth=1
                                        ;     Parent Loop BB2_575 Depth=2
                                        ; =>    This Inner Loop Header: Depth=3
	flat_load_ushort v19, v[8:9] glc slc
	flat_load_ushort v34, v[10:11] glc slc
	flat_load_ushort v54, v[8:9] offset:256 glc slc
	flat_load_ushort v48, v[8:9] offset:384 glc slc
	;; [unrolled: 1-line block ×6, first 2 shown]
	s_waitcnt vmcnt(0) lgkmcnt(0)
	v_lshlrev_b32_e32 v19, 16, v19
	v_lshlrev_b32_e32 v34, 16, v34
	v_max_f32_e32 v34, v34, v34
	v_max_f32_e32 v19, v19, v19
	v_min_f32_e32 v43, v19, v34
	v_max_f32_e32 v19, v19, v34
	v_cndmask_b32_e32 v43, v19, v43, vcc
	v_and_b32_e32 v19, 0x7f800000, v43
	v_cmp_ne_u32_e64 s[28:29], s65, v19
                                        ; implicit-def: $vgpr19
	s_and_saveexec_b64 s[94:95], s[28:29]
	s_xor_b64 s[28:29], exec, s[94:95]
; %bb.847:                              ;   in Loop: Header=BB2_846 Depth=3
	v_bfe_u32 v19, v43, 16, 1
	v_add3_u32 v19, v43, v19, s66
                                        ; implicit-def: $vgpr43
; %bb.848:                              ;   in Loop: Header=BB2_846 Depth=3
	s_andn2_saveexec_b64 s[94:95], s[28:29]
; %bb.849:                              ;   in Loop: Header=BB2_846 Depth=3
	v_or_b32_e32 v19, 0x10000, v43
	v_cmp_eq_u32_sdwa s[28:29], v43, v2 src0_sel:WORD_0 src1_sel:DWORD
	v_cndmask_b32_e64 v19, v19, v43, s[28:29]
; %bb.850:                              ;   in Loop: Header=BB2_846 Depth=3
	s_or_b64 exec, exec, s[94:95]
	v_lshlrev_b32_e32 v34, 16, v52
	v_lshlrev_b32_e32 v52, 16, v41
	v_max_f32_e32 v52, v52, v52
	v_max_f32_e32 v34, v34, v34
	v_min_f32_e32 v41, v34, v52
	v_max_f32_e32 v34, v34, v52
	v_cndmask_b32_e32 v41, v34, v41, vcc
	v_and_b32_e32 v34, 0x7f800000, v41
	v_cmp_ne_u32_e64 s[28:29], s65, v34
                                        ; implicit-def: $vgpr52
	s_and_saveexec_b64 s[94:95], s[28:29]
	s_xor_b64 s[28:29], exec, s[94:95]
; %bb.851:                              ;   in Loop: Header=BB2_846 Depth=3
	v_bfe_u32 v34, v41, 16, 1
	v_add3_u32 v52, v41, v34, s66
                                        ; implicit-def: $vgpr41
; %bb.852:                              ;   in Loop: Header=BB2_846 Depth=3
	s_andn2_saveexec_b64 s[94:95], s[28:29]
; %bb.853:                              ;   in Loop: Header=BB2_846 Depth=3
	v_or_b32_e32 v34, 0x10000, v41
	v_cmp_eq_u32_sdwa s[28:29], v41, v2 src0_sel:WORD_0 src1_sel:DWORD
	v_cndmask_b32_e64 v52, v34, v41, s[28:29]
; %bb.854:                              ;   in Loop: Header=BB2_846 Depth=3
	s_or_b64 exec, exec, s[94:95]
	v_lshlrev_b32_e32 v34, 16, v54
	v_lshlrev_b32_e32 v54, 16, v55
	v_max_f32_e32 v54, v54, v54
	v_max_f32_e32 v34, v34, v34
	v_min_f32_e32 v55, v34, v54
	v_max_f32_e32 v34, v34, v54
	v_cndmask_b32_e32 v55, v34, v55, vcc
	v_and_b32_e32 v34, 0x7f800000, v55
	v_cmp_ne_u32_e64 s[28:29], s65, v34
                                        ; implicit-def: $vgpr54
	s_and_saveexec_b64 s[94:95], s[28:29]
	s_xor_b64 s[28:29], exec, s[94:95]
; %bb.855:                              ;   in Loop: Header=BB2_846 Depth=3
	v_bfe_u32 v34, v55, 16, 1
	v_add3_u32 v54, v55, v34, s66
                                        ; implicit-def: $vgpr55
; %bb.856:                              ;   in Loop: Header=BB2_846 Depth=3
	s_andn2_saveexec_b64 s[94:95], s[28:29]
; %bb.857:                              ;   in Loop: Header=BB2_846 Depth=3
	v_or_b32_e32 v34, 0x10000, v55
	v_cmp_eq_u32_sdwa s[28:29], v55, v2 src0_sel:WORD_0 src1_sel:DWORD
	v_cndmask_b32_e64 v54, v34, v55, s[28:29]
; %bb.858:                              ;   in Loop: Header=BB2_846 Depth=3
	s_or_b64 exec, exec, s[94:95]
	v_lshlrev_b32_e32 v34, 16, v48
	v_lshlrev_b32_e32 v48, 16, v49
	v_max_f32_e32 v48, v48, v48
	v_max_f32_e32 v34, v34, v34
	v_min_f32_e32 v49, v34, v48
	v_max_f32_e32 v34, v34, v48
	v_cndmask_b32_e32 v49, v34, v49, vcc
	v_and_b32_e32 v34, 0x7f800000, v49
	v_cmp_ne_u32_e64 s[28:29], s65, v34
                                        ; implicit-def: $vgpr48
	s_and_saveexec_b64 s[94:95], s[28:29]
	s_xor_b64 s[28:29], exec, s[94:95]
; %bb.859:                              ;   in Loop: Header=BB2_846 Depth=3
	v_bfe_u32 v34, v49, 16, 1
	v_add3_u32 v48, v49, v34, s66
                                        ; implicit-def: $vgpr49
; %bb.860:                              ;   in Loop: Header=BB2_846 Depth=3
	s_andn2_saveexec_b64 s[94:95], s[28:29]
	s_cbranch_execz .LBB2_845
; %bb.861:                              ;   in Loop: Header=BB2_846 Depth=3
	v_or_b32_e32 v34, 0x10000, v49
	v_cmp_eq_u32_sdwa s[28:29], v49, v2 src0_sel:WORD_0 src1_sel:DWORD
	v_cndmask_b32_e64 v48, v34, v49, s[28:29]
	s_branch .LBB2_845
.LBB2_862:                              ;   in Loop: Header=BB2_575 Depth=2
	s_or_b64 exec, exec, s[44:45]
.LBB2_863:                              ;   in Loop: Header=BB2_575 Depth=2
	s_or_b64 exec, exec, s[42:43]
	v_lshlrev_b32_e32 v8, 9, v18
	v_cmp_ne_u32_e32 vcc, v53, v8
	s_and_b64 exec, exec, vcc
	s_cbranch_execz .LBB2_871
; %bb.864:                              ;   in Loop: Header=BB2_575 Depth=2
	v_lshlrev_b32_e32 v0, 6, v0
	v_sub_u32_e32 v0, v15, v0
	v_lshlrev_b32_e32 v3, 6, v3
	v_sub_u32_e32 v0, v0, v3
	v_ashrrev_i32_e32 v3, 31, v0
	v_lshrrev_b32_e32 v3, 26, v3
	v_add_u32_e32 v3, v0, v3
	v_and_b32_e32 v9, 0x7fffffc0, v3
	v_sub_u32_e32 v0, v0, v9
	v_lshlrev_b32_e32 v3, 1, v3
	v_and_b32_e32 v3, 0xffffff80, v3
	v_lshlrev_b32_e32 v0, 1, v0
	v_add3_u32 v3, v3, v0, v8
	v_sub_u32_e32 v0, v53, v3
	v_cmp_lt_i32_e32 vcc, 1, v0
	s_and_b64 exec, exec, vcc
	s_cbranch_execz .LBB2_871
; %bb.865:                              ;   in Loop: Header=BB2_575 Depth=2
	v_add_u32_e32 v3, v3, v14
	s_trap 2
	ds_read_b64 v[10:11], v0
	buffer_load_dword v14, off, s[0:3], s33 offset:100 ; 4-byte Folded Reload
	buffer_load_dword v15, off, s[0:3], s33 offset:104 ; 4-byte Folded Reload
	v_ashrrev_i32_e32 v13, 31, v3
	v_add_co_u32_e32 v8, vcc, v3, v46
	v_addc_co_u32_e32 v9, vcc, v13, v47, vcc
	s_waitcnt lgkmcnt(0)
	v_add_co_u32_e32 v10, vcc, v10, v3
	v_addc_co_u32_e32 v11, vcc, v11, v13, vcc
	s_and_b32 s58, s48, 1
	s_cmp_eq_u64 s[58:59], 0
	s_mov_b64 s[42:43], 0
	s_waitcnt vmcnt(0)
	v_add_co_u32_e32 v12, vcc, v3, v14
	v_addc_co_u32_e32 v13, vcc, v13, v15, vcc
	s_cselect_b64 vcc, -1, 0
	s_branch .LBB2_867
.LBB2_866:                              ;   in Loop: Header=BB2_867 Depth=3
	s_or_b64 exec, exec, s[44:45]
	v_add_co_u32_e64 v8, s[28:29], v8, v31
	v_addc_co_u32_e64 v9, s[28:29], 0, v9, s[28:29]
	v_add_co_u32_e64 v10, s[28:29], v10, v31
	v_addc_co_u32_e64 v11, s[28:29], 0, v11, s[28:29]
	v_sub_u32_e32 v0, v0, v31
	v_cmp_gt_i32_e64 s[28:29], 2, v0
	flat_store_short_d16_hi v[12:13], v14 glc slc
	s_or_b64 s[42:43], s[28:29], s[42:43]
	v_add_co_u32_e64 v12, s[28:29], v12, v31
	v_addc_co_u32_e64 v13, s[28:29], 0, v13, s[28:29]
	s_andn2_b64 exec, exec, s[42:43]
	s_cbranch_execz .LBB2_871
.LBB2_867:                              ;   Parent Loop BB2_47 Depth=1
                                        ;     Parent Loop BB2_575 Depth=2
                                        ; =>    This Inner Loop Header: Depth=3
	flat_load_ushort v3, v[10:11] glc slc
	flat_load_ushort v14, v[8:9] glc slc
	s_waitcnt vmcnt(0) lgkmcnt(0)
	v_lshlrev_b32_e32 v3, 16, v3
	v_lshlrev_b32_e32 v14, 16, v14
	v_max_f32_e32 v3, v3, v3
	v_max_f32_e32 v14, v14, v14
	v_min_f32_e32 v15, v14, v3
	v_max_f32_e32 v3, v14, v3
	v_cndmask_b32_e32 v3, v3, v15, vcc
	v_and_b32_e32 v14, 0x7f800000, v3
	v_cmp_ne_u32_e64 s[28:29], s65, v14
                                        ; implicit-def: $vgpr14
	s_and_saveexec_b64 s[44:45], s[28:29]
	s_xor_b64 s[28:29], exec, s[44:45]
; %bb.868:                              ;   in Loop: Header=BB2_867 Depth=3
	v_bfe_u32 v14, v3, 16, 1
	v_add3_u32 v14, v3, v14, s66
                                        ; implicit-def: $vgpr3
; %bb.869:                              ;   in Loop: Header=BB2_867 Depth=3
	s_andn2_saveexec_b64 s[44:45], s[28:29]
	s_cbranch_execz .LBB2_866
; %bb.870:                              ;   in Loop: Header=BB2_867 Depth=3
	v_or_b32_e32 v14, 0x10000, v3
	v_cmp_eq_u32_sdwa s[28:29], v3, v2 src0_sel:WORD_0 src1_sel:DWORD
	v_cndmask_b32_e64 v14, v14, v3, s[28:29]
	s_branch .LBB2_866
.LBB2_871:                              ;   in Loop: Header=BB2_575 Depth=2
	s_or_b64 exec, exec, s[40:41]
.LBB2_872:                              ;   in Loop: Header=BB2_575 Depth=2
	s_waitcnt vmcnt(0)
	v_cmp_lt_i32_e64 s[28:29], 0, v56
	s_and_saveexec_b64 s[40:41], s[10:11]
	s_cbranch_execz .LBB2_891
.LBB2_873:                              ;   in Loop: Header=BB2_575 Depth=2
	s_and_saveexec_b64 s[42:43], s[60:61]
	s_xor_b64 s[42:43], exec, s[42:43]
	s_cbranch_execz .LBB2_888
; %bb.874:                              ;   in Loop: Header=BB2_575 Depth=2
	s_and_saveexec_b64 s[44:45], s[16:17]
	s_cbranch_execz .LBB2_887
; %bb.875:                              ;   in Loop: Header=BB2_575 Depth=2
	s_mov_b64 s[30:31], exec
	v_mbcnt_lo_u32_b32 v0, s30, 0
	v_mbcnt_hi_u32_b32 v0, s31, v0
	v_cmp_eq_u32_e32 vcc, 0, v0
	s_waitcnt vmcnt(0) lgkmcnt(0)
	buffer_wbinvl1_vol
	s_and_saveexec_b64 s[94:95], vcc
	s_cbranch_execz .LBB2_877
; %bb.876:                              ;   in Loop: Header=BB2_575 Depth=2
	s_bcnt1_i32_b64 s58, s[30:31]
	v_mov_b32_e32 v8, s58
	v_mov_b32_e32 v9, v2
	ds_add_u64 v0, v[8:9]
	s_trap 2
.LBB2_877:                              ;   in Loop: Header=BB2_575 Depth=2
	s_or_b64 exec, exec, s[94:95]
	s_trap 2
	ds_read_b64 v[8:9], v0
	s_waitcnt lgkmcnt(0)
	v_add_co_u32_e32 v28, vcc, v28, v21
	v_addc_co_u32_e32 v29, vcc, 0, v29, vcc
	v_cmp_lt_u64_e32 vcc, v[8:9], v[28:29]
	s_and_saveexec_b64 s[94:95], vcc
	s_cbranch_execz .LBB2_886
; %bb.878:                              ;   in Loop: Header=BB2_575 Depth=2
	s_mov_b32 s58, 0
	s_mov_b64 s[30:31], 0
                                        ; implicit-def: $sgpr34_sgpr35
                                        ; implicit-def: $sgpr36_sgpr37
	s_branch .LBB2_880
.LBB2_879:                              ;   in Loop: Header=BB2_880 Depth=3
	s_or_b64 exec, exec, s[48:49]
	s_and_b64 vcc, exec, vcc
	s_or_b64 s[30:31], vcc, s[30:31]
	s_andn2_b64 vcc, s[34:35], exec
	s_and_b64 s[34:35], s[36:37], exec
	s_or_b64 s[34:35], vcc, s[34:35]
	s_andn2_b64 exec, exec, s[30:31]
	s_cbranch_execz .LBB2_884
.LBB2_880:                              ;   Parent Loop BB2_47 Depth=1
                                        ;     Parent Loop BB2_575 Depth=2
                                        ; =>    This Inner Loop Header: Depth=3
	s_add_i32 s58, s58, 1
	s_cmpk_lg_i32 s58, 0x2710
	s_cselect_b64 s[38:39], -1, 0
	s_and_b64 vcc, exec, s[38:39]
	s_cbranch_vccz .LBB2_882
; %bb.881:                              ;   in Loop: Header=BB2_880 Depth=3
	s_mov_b64 vcc, -1
	s_or_b64 s[36:37], s[36:37], exec
	s_and_saveexec_b64 s[48:49], s[38:39]
	s_cbranch_execz .LBB2_879
	s_branch .LBB2_883
.LBB2_882:                              ;   in Loop: Header=BB2_880 Depth=3
	s_trap 2
	ds_read_b64 v[8:9], v0
	s_andn2_b64 s[38:39], s[38:39], exec
	s_mov_b32 s58, 0
	s_waitcnt lgkmcnt(0)
	flat_load_dword v0, v[8:9] glc
	s_waitcnt vmcnt(0) lgkmcnt(0)
	buffer_wbinvl1_vol
	v_cmp_eq_u32_e32 vcc, 0, v0
	s_and_b64 vcc, vcc, exec
	s_or_b64 s[38:39], s[38:39], vcc
	s_mov_b64 vcc, -1
	s_or_b64 s[36:37], s[36:37], exec
	s_and_saveexec_b64 s[48:49], s[38:39]
	s_cbranch_execz .LBB2_879
.LBB2_883:                              ;   in Loop: Header=BB2_880 Depth=3
	s_sleep 1
	s_trap 2
	ds_read_b64 v[8:9], v0
	s_waitcnt lgkmcnt(0)
	s_andn2_b64 s[36:37], s[36:37], exec
	v_cmp_ge_u64_e32 vcc, v[8:9], v[28:29]
	s_orn2_b64 vcc, vcc, exec
	s_branch .LBB2_879
.LBB2_884:                              ;   in Loop: Header=BB2_575 Depth=2
	s_or_b64 exec, exec, s[30:31]
	s_and_saveexec_b64 vcc, s[34:35]
	s_xor_b64 vcc, exec, vcc
	s_cbranch_execz .LBB2_886
; %bb.885:                              ;   in Loop: Header=BB2_575 Depth=2
	ds_write_b32 v0, v37
	s_trap 2
.LBB2_886:                              ;   in Loop: Header=BB2_575 Depth=2
	s_or_b64 exec, exec, s[94:95]
	;;#ASMSTART
	s_wakeup
	;;#ASMEND
.LBB2_887:                              ;   in Loop: Header=BB2_575 Depth=2
	s_or_b64 exec, exec, s[44:45]
.LBB2_888:                              ;   in Loop: Header=BB2_575 Depth=2
	s_andn2_saveexec_b64 s[42:43], s[42:43]
	s_cbranch_execz .LBB2_890
; %bb.889:                              ;   in Loop: Header=BB2_575 Depth=2
	s_waitcnt vmcnt(0) lgkmcnt(0)
	buffer_wbinvl1_vol
	s_barrier
.LBB2_890:                              ;   in Loop: Header=BB2_575 Depth=2
	s_or_b64 exec, exec, s[42:43]
.LBB2_891:                              ;   in Loop: Header=BB2_575 Depth=2
	s_or_b64 exec, exec, s[40:41]
	v_and_b32_e32 v0, 16, v62
	s_and_saveexec_b64 s[40:41], s[24:25]
	s_xor_b64 s[40:41], exec, s[40:41]
	s_cbranch_execz .LBB2_895
; %bb.892:                              ;   in Loop: Header=BB2_575 Depth=2
	v_and_b32_e32 v3, 16, v62
	v_cmp_ne_u32_e32 vcc, 0, v3
	v_and_b32_e32 v0, 16, v62
	s_and_b64 s[42:43], vcc, s[28:29]
	s_and_saveexec_b64 s[28:29], s[42:43]
	s_cbranch_execz .LBB2_894
; %bb.893:                              ;   in Loop: Header=BB2_575 Depth=2
	v_mov_b32_e32 v0, 1
	s_waitcnt vmcnt(0) lgkmcnt(0)
	buffer_wbinvl1_vol
.LBB2_894:                              ;   in Loop: Header=BB2_575 Depth=2
	s_or_b64 exec, exec, s[28:29]
.LBB2_895:                              ;   in Loop: Header=BB2_575 Depth=2
	s_andn2_saveexec_b64 s[28:29], s[40:41]
	s_cbranch_execz .LBB2_914
; %bb.896:                              ;   in Loop: Header=BB2_575 Depth=2
	s_and_saveexec_b64 s[40:41], s[60:61]
	s_xor_b64 s[40:41], exec, s[40:41]
	s_cbranch_execz .LBB2_911
; %bb.897:                              ;   in Loop: Header=BB2_575 Depth=2
	s_and_saveexec_b64 s[42:43], s[16:17]
	s_cbranch_execz .LBB2_910
; %bb.898:                              ;   in Loop: Header=BB2_575 Depth=2
	s_mov_b64 s[94:95], exec
	v_mbcnt_lo_u32_b32 v3, s94, 0
	v_mbcnt_hi_u32_b32 v3, s95, v3
	v_cmp_eq_u32_e32 vcc, 0, v3
	;;#ASMSTART
	s_waitcnt lgkmcnt(0) vmcnt(0)
	;;#ASMEND
	s_and_saveexec_b64 s[44:45], vcc
	s_cbranch_execz .LBB2_900
; %bb.899:                              ;   in Loop: Header=BB2_575 Depth=2
	s_bcnt1_i32_b64 s58, s[94:95]
	v_mov_b32_e32 v8, s58
	v_mov_b32_e32 v9, v2
	s_waitcnt lgkmcnt(0)
	ds_add_u64 v0, v[8:9]
	s_trap 2
.LBB2_900:                              ;   in Loop: Header=BB2_575 Depth=2
	s_or_b64 exec, exec, s[44:45]
	s_trap 2
	ds_read_b64 v[8:9], v0
	s_waitcnt lgkmcnt(0)
	v_add_co_u32_e32 v28, vcc, v28, v21
	v_addc_co_u32_e32 v29, vcc, 0, v29, vcc
	v_cmp_lt_u64_e32 vcc, v[8:9], v[28:29]
	s_and_saveexec_b64 s[44:45], vcc
	s_cbranch_execz .LBB2_909
; %bb.901:                              ;   in Loop: Header=BB2_575 Depth=2
	s_mov_b32 s58, 0
	s_mov_b64 s[94:95], 0
                                        ; implicit-def: $sgpr30_sgpr31
                                        ; implicit-def: $sgpr34_sgpr35
	s_branch .LBB2_903
.LBB2_902:                              ;   in Loop: Header=BB2_903 Depth=3
	s_or_b64 exec, exec, s[38:39]
	s_and_b64 vcc, exec, vcc
	s_or_b64 s[94:95], vcc, s[94:95]
	s_andn2_b64 vcc, s[30:31], exec
	s_and_b64 s[30:31], s[34:35], exec
	s_or_b64 s[30:31], vcc, s[30:31]
	s_andn2_b64 exec, exec, s[94:95]
	s_cbranch_execz .LBB2_907
.LBB2_903:                              ;   Parent Loop BB2_47 Depth=1
                                        ;     Parent Loop BB2_575 Depth=2
                                        ; =>    This Inner Loop Header: Depth=3
	s_add_i32 s58, s58, 1
	s_cmpk_lg_i32 s58, 0x2710
	s_cselect_b64 s[36:37], -1, 0
	s_and_b64 vcc, exec, s[36:37]
	s_cbranch_vccz .LBB2_905
; %bb.904:                              ;   in Loop: Header=BB2_903 Depth=3
	s_mov_b64 vcc, -1
	s_or_b64 s[34:35], s[34:35], exec
	s_and_saveexec_b64 s[38:39], s[36:37]
	s_cbranch_execz .LBB2_902
	s_branch .LBB2_906
.LBB2_905:                              ;   in Loop: Header=BB2_903 Depth=3
	s_trap 2
	ds_read_b64 v[8:9], v0
	s_andn2_b64 s[36:37], s[36:37], exec
	s_mov_b32 s58, 0
	s_waitcnt vmcnt(0) lgkmcnt(0)
	flat_load_dword v3, v[8:9] glc
	s_waitcnt vmcnt(0) lgkmcnt(0)
	buffer_wbinvl1_vol
	v_cmp_eq_u32_e32 vcc, 0, v3
	s_and_b64 vcc, vcc, exec
	s_or_b64 s[36:37], s[36:37], vcc
	s_mov_b64 vcc, -1
	s_or_b64 s[34:35], s[34:35], exec
	s_and_saveexec_b64 s[38:39], s[36:37]
	s_cbranch_execz .LBB2_902
.LBB2_906:                              ;   in Loop: Header=BB2_903 Depth=3
	s_sleep 1
	s_trap 2
	ds_read_b64 v[8:9], v0
	s_waitcnt lgkmcnt(0)
	s_andn2_b64 s[34:35], s[34:35], exec
	v_cmp_ge_u64_e32 vcc, v[8:9], v[28:29]
	s_orn2_b64 vcc, vcc, exec
	s_branch .LBB2_902
.LBB2_907:                              ;   in Loop: Header=BB2_575 Depth=2
	s_or_b64 exec, exec, s[94:95]
	s_and_saveexec_b64 s[94:95], s[30:31]
	s_xor_b64 s[94:95], exec, s[94:95]
	s_cbranch_execz .LBB2_909
; %bb.908:                              ;   in Loop: Header=BB2_575 Depth=2
	ds_write_b32 v0, v37
	s_trap 2
.LBB2_909:                              ;   in Loop: Header=BB2_575 Depth=2
	s_or_b64 exec, exec, s[44:45]
	;;#ASMSTART
	s_wakeup
	;;#ASMEND
.LBB2_910:                              ;   in Loop: Header=BB2_575 Depth=2
	s_or_b64 exec, exec, s[42:43]
.LBB2_911:                              ;   in Loop: Header=BB2_575 Depth=2
	s_andn2_saveexec_b64 s[40:41], s[40:41]
	s_cbranch_execz .LBB2_913
; %bb.912:                              ;   in Loop: Header=BB2_575 Depth=2
	;;#ASMSTART
	s_waitcnt lgkmcnt(0) vmcnt(0)
	;;#ASMEND
	s_waitcnt vmcnt(0) lgkmcnt(0)
	s_barrier
.LBB2_913:                              ;   in Loop: Header=BB2_575 Depth=2
	s_or_b64 exec, exec, s[40:41]
.LBB2_914:                              ;   in Loop: Header=BB2_575 Depth=2
	s_or_b64 exec, exec, s[28:29]
	v_cmp_ne_u32_e32 vcc, 0, v0
	s_xor_b64 s[28:29], s[12:13], -1
	s_and_b64 s[40:41], vcc, s[28:29]
	s_and_saveexec_b64 s[28:29], s[40:41]
	s_cbranch_execz .LBB2_916
; %bb.915:                              ;   in Loop: Header=BB2_575 Depth=2
	flat_store_dword v[26:27], v37
.LBB2_916:                              ;   in Loop: Header=BB2_575 Depth=2
	s_or_b64 exec, exec, s[28:29]
	v_and_b32_e32 v0, 48, v62
	v_cmp_ne_u32_e32 vcc, 0, v0
	s_and_saveexec_b64 s[28:29], vcc
	s_cbranch_execz .LBB2_574
; %bb.917:                              ;   in Loop: Header=BB2_575 Depth=2
	v_add_co_u32_e32 v50, vcc, 2, v50
	v_addc_co_u32_e32 v51, vcc, 0, v51, vcc
	flat_store_dwordx2 v[22:23], v[50:51]
	s_branch .LBB2_574
.LBB2_918:                              ;   in Loop: Header=BB2_47 Depth=1
	s_or_b64 exec, exec, s[88:89]
	v_cmp_gt_i32_e32 vcc, 2, v0
	s_and_saveexec_b64 s[40:41], vcc
	s_cbranch_execz .LBB2_994
.LBB2_919:                              ;   in Loop: Header=BB2_47 Depth=1
	v_cmp_eq_u32_e64 s[44:45], 0, v0
	s_mov_b64 s[42:43], 0
	s_branch .LBB2_921
.LBB2_920:                              ;   in Loop: Header=BB2_921 Depth=2
	s_or_b64 exec, exec, s[28:29]
	v_add_u32_e32 v42, v40, v42
	s_mov_b64 s[44:45], 0
	s_andn2_b64 exec, exec, s[42:43]
	s_cbranch_execz .LBB2_995
.LBB2_921:                              ;   Parent Loop BB2_47 Depth=1
                                        ; =>  This Loop Header: Depth=2
                                        ;       Child Loop BB2_927 Depth 3
                                        ;       Child Loop BB2_955 Depth 3
	;; [unrolled: 1-line block ×3, first 2 shown]
	v_sub_u32_e32 v0, v17, v42
	v_min_i32_e32 v40, v40, v0
	v_and_b32_e32 v0, 12, v62
	v_cmp_ne_u32_e32 vcc, 0, v0
	s_and_saveexec_b64 s[88:89], vcc
	s_cbranch_execz .LBB2_947
; %bb.922:                              ;   in Loop: Header=BB2_921 Depth=2
	v_and_b32_e32 v0, 8, v62
	s_waitcnt vmcnt(0) lgkmcnt(0)
	v_add_co_u32_e32 v10, vcc, v32, v0
	v_addc_co_u32_e32 v11, vcc, 0, v33, vcc
	v_add_co_u32_e32 v8, vcc, 2, v50
	v_addc_co_u32_e32 v9, vcc, 0, v51, vcc
	v_cmp_lt_u64_e32 vcc, v[10:11], v[8:9]
	s_and_saveexec_b64 s[90:91], vcc
	s_cbranch_execz .LBB2_934
; %bb.923:                              ;   in Loop: Header=BB2_921 Depth=2
	v_and_b32_e32 v3, 64, v62
	s_mov_b32 s58, 0
	v_cmp_eq_u32_e32 vcc, 0, v3
	s_mov_b64 s[92:93], 0
                                        ; implicit-def: $sgpr94_sgpr95
                                        ; implicit-def: $sgpr30_sgpr31
                                        ; implicit-def: $sgpr34_sgpr35
	s_branch .LBB2_927
.LBB2_924:                              ;   in Loop: Header=BB2_927 Depth=3
	s_waitcnt vmcnt(0) lgkmcnt(0)
	v_add_co_u32_e64 v10, s[28:29], v32, v0
	v_addc_co_u32_e64 v11, s[28:29], 0, v33, s[28:29]
	v_cmp_ge_u64_e64 s[28:29], v[10:11], v[8:9]
	s_or_b64 s[48:49], s[48:49], exec
	s_orn2_b64 s[38:39], s[28:29], exec
.LBB2_925:                              ;   in Loop: Header=BB2_927 Depth=3
	s_or_b64 exec, exec, s[52:53]
	s_andn2_b64 s[28:29], s[34:35], exec
	s_and_b64 s[34:35], s[48:49], exec
	s_or_b64 s[34:35], s[28:29], s[34:35]
	s_andn2_b64 s[28:29], s[30:31], exec
	s_and_b64 s[30:31], s[38:39], exec
	s_or_b64 s[30:31], s[28:29], s[30:31]
.LBB2_926:                              ;   in Loop: Header=BB2_927 Depth=3
	s_or_b64 exec, exec, s[36:37]
	s_and_b64 s[28:29], exec, s[30:31]
	s_or_b64 s[92:93], s[28:29], s[92:93]
	s_andn2_b64 s[28:29], s[94:95], exec
	s_and_b64 s[94:95], s[34:35], exec
	s_or_b64 s[94:95], s[28:29], s[94:95]
	s_andn2_b64 exec, exec, s[92:93]
	s_cbranch_execz .LBB2_931
.LBB2_927:                              ;   Parent Loop BB2_47 Depth=1
                                        ;     Parent Loop BB2_921 Depth=2
                                        ; =>    This Inner Loop Header: Depth=3
	s_sleep 1
	s_waitcnt vmcnt(0) lgkmcnt(0)
	flat_load_dwordx2 v[32:33], v[22:23] glc
	s_or_b64 s[34:35], s[34:35], exec
	s_or_b64 s[30:31], s[30:31], exec
                                        ; implicit-def: $vgpr3
	s_and_saveexec_b64 s[36:37], vcc
	s_cbranch_execz .LBB2_926
; %bb.928:                              ;   in Loop: Header=BB2_927 Depth=3
	s_cmpk_lt_i32 s58, 0x270f
	s_cselect_b64 s[50:51], -1, 0
	s_cmpk_gt_i32 s58, 0x270e
	s_mov_b64 s[38:39], -1
	s_cbranch_scc0 .LBB2_930
; %bb.929:                              ;   in Loop: Header=BB2_927 Depth=3
	s_trap 2
	ds_read_b64 v[10:11], v0
	s_andn2_b64 s[50:51], s[50:51], exec
	s_mov_b32 s58, 0
	s_mov_b64 s[48:49], 0
	s_waitcnt vmcnt(0) lgkmcnt(0)
	flat_load_dword v3, v[10:11] glc
	s_waitcnt vmcnt(0) lgkmcnt(0)
	buffer_wbinvl1_vol
	v_cmp_eq_u32_e64 s[28:29], 0, v3
	s_and_b64 s[28:29], s[28:29], exec
	s_or_b64 s[50:51], s[50:51], s[28:29]
	s_and_saveexec_b64 s[52:53], s[50:51]
	s_cbranch_execz .LBB2_925
	s_branch .LBB2_924
.LBB2_930:                              ;   in Loop: Header=BB2_927 Depth=3
	s_add_i32 s58, s58, 1
	s_mov_b64 s[48:49], -1
                                        ; implicit-def: $vgpr3
	s_and_saveexec_b64 s[52:53], s[50:51]
	s_cbranch_execz .LBB2_925
	s_branch .LBB2_924
.LBB2_931:                              ;   in Loop: Header=BB2_921 Depth=2
	s_or_b64 exec, exec, s[92:93]
	s_xor_b64 s[28:29], s[94:95], -1
	s_and_saveexec_b64 s[92:93], s[28:29]
	s_xor_b64 s[28:29], exec, s[92:93]
	s_cbranch_execz .LBB2_933
; %bb.932:                              ;   in Loop: Header=BB2_921 Depth=2
	v_or_b32_e32 v62, 64, v62
	s_waitcnt lgkmcnt(0)
	ds_write_b32 v0, v3
	s_trap 2
.LBB2_933:                              ;   in Loop: Header=BB2_921 Depth=2
	s_or_b64 exec, exec, s[28:29]
.LBB2_934:                              ;   in Loop: Header=BB2_921 Depth=2
	s_or_b64 exec, exec, s[90:91]
	v_and_b32_e32 v3, 0x108, v62
	v_cmp_ne_u32_e32 vcc, s64, v3
	;;#ASMSTART
	s_wakeup
	;;#ASMEND
                                        ; implicit-def: $vgpr10_vgpr11
	s_and_saveexec_b64 s[28:29], vcc
	s_xor_b64 s[28:29], exec, s[28:29]
; %bb.935:                              ;   in Loop: Header=BB2_921 Depth=2
	v_and_b32_e32 v10, 7, v50
	v_mov_b32_e32 v11, v2
                                        ; implicit-def: $vgpr50_vgpr51
; %bb.936:                              ;   in Loop: Header=BB2_921 Depth=2
	s_andn2_saveexec_b64 s[28:29], s[28:29]
	s_cbranch_execz .LBB2_938
; %bb.937:                              ;   in Loop: Header=BB2_921 Depth=2
	v_and_b32_e32 v10, 7, v50
	v_mad_u64_u32 v[12:13], s[90:91], v10, 24, v[6:7]
	v_ashrrev_i32_e32 v41, 31, v40
	v_lshlrev_b64 v[14:15], 1, v[40:41]
	v_mov_b32_e32 v11, v2
	flat_store_dwordx2 v[12:13], v[14:15] offset:8
.LBB2_938:                              ;   in Loop: Header=BB2_921 Depth=2
	s_or_b64 exec, exec, s[28:29]
	v_and_b32_e32 v3, 0x100, v62
	v_cmp_ne_u32_e32 vcc, 0, v3
	s_mov_b64 s[28:29], -1
                                        ; implicit-def: $vgpr12_vgpr13
	s_and_saveexec_b64 s[90:91], vcc
	s_cbranch_execz .LBB2_942
; %bb.939:                              ;   in Loop: Header=BB2_921 Depth=2
	v_mad_u64_u32 v[14:15], s[28:29], v10, 24, v[6:7]
	v_mov_b32_e32 v3, v15
	v_mad_u64_u32 v[12:13], s[28:29], v11, 24, v[3:4]
	v_mov_b32_e32 v15, v12
	flat_load_dword v3, v[14:15]
                                        ; implicit-def: $vgpr12_vgpr13
	s_waitcnt vmcnt(0) lgkmcnt(0)
	v_cmp_ne_u32_e32 vcc, 1, v3
	v_cmp_eq_u32_e64 s[28:29], 1, v3
	s_and_saveexec_b64 s[92:93], s[28:29]
	s_cbranch_execz .LBB2_941
; %bb.940:                              ;   in Loop: Header=BB2_921 Depth=2
	flat_load_dword v12, v[14:15] offset:4 glc
	s_waitcnt vmcnt(0) lgkmcnt(0)
	v_ashrrev_i32_e32 v13, 31, v12
	v_lshrrev_b64 v[12:13], 1, v[12:13]
.LBB2_941:                              ;   in Loop: Header=BB2_921 Depth=2
	s_or_b64 exec, exec, s[92:93]
	s_orn2_b64 s[28:29], vcc, exec
.LBB2_942:                              ;   in Loop: Header=BB2_921 Depth=2
	s_or_b64 exec, exec, s[90:91]
	s_and_saveexec_b64 s[90:91], s[28:29]
	s_cbranch_execz .LBB2_944
; %bb.943:                              ;   in Loop: Header=BB2_921 Depth=2
	v_mul_lo_u32 v3, v11, v30
	v_mul_lo_u32 v11, v10, v60
	v_mad_u64_u32 v[12:13], s[28:29], v10, v30, 0
	v_add3_u32 v13, v13, v11, v3
.LBB2_944:                              ;   in Loop: Header=BB2_921 Depth=2
	s_or_b64 exec, exec, s[90:91]
	v_lshlrev_b64 v[10:11], 1, v[12:13]
	v_cmp_eq_u32_e32 vcc, 0, v0
	v_mov_b32_e32 v0, 0x90
	v_mov_b32_e32 v3, 0xd0
	v_cndmask_b32_e32 v0, v3, v0, vcc
	v_add_co_u32_e32 v10, vcc, v24, v10
	v_addc_co_u32_e32 v11, vcc, v25, v11, vcc
	v_add_u32_e32 v0, v0, v0
	ds_write_b64 v0, v[10:11] offset:584
	v_and_b32_e32 v0, 0x2000, v62
	v_cmp_ne_u32_e32 vcc, 0, v0
	s_and_saveexec_b64 s[28:29], vcc
	s_cbranch_execz .LBB2_946
; %bb.945:                              ;   in Loop: Header=BB2_921 Depth=2
	ds_read_b64 v[10:11], v0 offset:872
	s_waitcnt lgkmcnt(0)
	v_add_co_u32_e32 v10, vcc, 1, v10
	v_addc_co_u32_e32 v11, vcc, 0, v11, vcc
	ds_write_b64 v0, v[10:11] offset:872
.LBB2_946:                              ;   in Loop: Header=BB2_921 Depth=2
	s_or_b64 exec, exec, s[28:29]
	v_mov_b32_e32 v51, v9
	v_mov_b32_e32 v50, v8
.LBB2_947:                              ;   in Loop: Header=BB2_921 Depth=2
	s_or_b64 exec, exec, s[88:89]
	s_xor_b64 s[28:29], s[44:45], -1
	s_and_b64 s[28:29], exec, s[28:29]
	s_or_b64 s[42:43], s[28:29], s[42:43]
	s_and_saveexec_b64 s[28:29], s[10:11]
	s_cbranch_execz .LBB2_966
; %bb.948:                              ;   in Loop: Header=BB2_921 Depth=2
	s_and_saveexec_b64 s[44:45], s[60:61]
	s_xor_b64 s[44:45], exec, s[44:45]
	s_cbranch_execz .LBB2_963
; %bb.949:                              ;   in Loop: Header=BB2_921 Depth=2
	s_and_saveexec_b64 s[88:89], s[16:17]
	s_cbranch_execz .LBB2_962
; %bb.950:                              ;   in Loop: Header=BB2_921 Depth=2
	s_mov_b64 s[92:93], exec
	v_mbcnt_lo_u32_b32 v0, s92, 0
	v_mbcnt_hi_u32_b32 v0, s93, v0
	v_cmp_eq_u32_e32 vcc, 0, v0
	s_waitcnt vmcnt(0) lgkmcnt(0)
	buffer_wbinvl1_vol
	s_and_saveexec_b64 s[90:91], vcc
	s_cbranch_execz .LBB2_952
; %bb.951:                              ;   in Loop: Header=BB2_921 Depth=2
	s_bcnt1_i32_b64 s58, s[92:93]
	v_mov_b32_e32 v8, s58
	v_mov_b32_e32 v9, v2
	ds_add_u64 v0, v[8:9]
	s_trap 2
.LBB2_952:                              ;   in Loop: Header=BB2_921 Depth=2
	s_or_b64 exec, exec, s[90:91]
	s_trap 2
	ds_read_b64 v[8:9], v0
	s_waitcnt lgkmcnt(0)
	v_add_co_u32_e32 v28, vcc, v28, v21
	v_addc_co_u32_e32 v29, vcc, 0, v29, vcc
	v_cmp_lt_u64_e32 vcc, v[8:9], v[28:29]
	s_and_saveexec_b64 s[90:91], vcc
	s_cbranch_execz .LBB2_961
; %bb.953:                              ;   in Loop: Header=BB2_921 Depth=2
	s_mov_b32 s58, 0
	s_mov_b64 s[92:93], 0
                                        ; implicit-def: $sgpr94_sgpr95
                                        ; implicit-def: $sgpr30_sgpr31
	s_branch .LBB2_955
.LBB2_954:                              ;   in Loop: Header=BB2_955 Depth=3
	s_or_b64 exec, exec, s[36:37]
	s_and_b64 vcc, exec, vcc
	s_or_b64 s[92:93], vcc, s[92:93]
	s_andn2_b64 s[94:95], s[94:95], exec
	s_and_b64 vcc, s[30:31], exec
	s_or_b64 s[94:95], s[94:95], vcc
	s_andn2_b64 exec, exec, s[92:93]
	s_cbranch_execz .LBB2_959
.LBB2_955:                              ;   Parent Loop BB2_47 Depth=1
                                        ;     Parent Loop BB2_921 Depth=2
                                        ; =>    This Inner Loop Header: Depth=3
	s_add_i32 s58, s58, 1
	s_cmpk_lg_i32 s58, 0x2710
	s_cselect_b64 s[34:35], -1, 0
	s_and_b64 vcc, exec, s[34:35]
	s_cbranch_vccz .LBB2_957
; %bb.956:                              ;   in Loop: Header=BB2_955 Depth=3
	s_mov_b64 vcc, -1
	s_or_b64 s[30:31], s[30:31], exec
	s_and_saveexec_b64 s[36:37], s[34:35]
	s_cbranch_execz .LBB2_954
	s_branch .LBB2_958
.LBB2_957:                              ;   in Loop: Header=BB2_955 Depth=3
	s_trap 2
	ds_read_b64 v[8:9], v0
	s_andn2_b64 s[34:35], s[34:35], exec
	s_mov_b32 s58, 0
	s_waitcnt lgkmcnt(0)
	flat_load_dword v0, v[8:9] glc
	s_waitcnt vmcnt(0) lgkmcnt(0)
	buffer_wbinvl1_vol
	v_cmp_eq_u32_e32 vcc, 0, v0
	s_and_b64 vcc, vcc, exec
	s_or_b64 s[34:35], s[34:35], vcc
	s_mov_b64 vcc, -1
	s_or_b64 s[30:31], s[30:31], exec
	s_and_saveexec_b64 s[36:37], s[34:35]
	s_cbranch_execz .LBB2_954
.LBB2_958:                              ;   in Loop: Header=BB2_955 Depth=3
	s_sleep 1
	s_trap 2
	ds_read_b64 v[8:9], v0
	s_waitcnt lgkmcnt(0)
	s_andn2_b64 s[30:31], s[30:31], exec
	v_cmp_ge_u64_e32 vcc, v[8:9], v[28:29]
	s_orn2_b64 vcc, vcc, exec
	s_branch .LBB2_954
.LBB2_959:                              ;   in Loop: Header=BB2_921 Depth=2
	s_or_b64 exec, exec, s[92:93]
	s_and_saveexec_b64 s[92:93], s[94:95]
	s_xor_b64 s[92:93], exec, s[92:93]
	s_cbranch_execz .LBB2_961
; %bb.960:                              ;   in Loop: Header=BB2_921 Depth=2
	ds_write_b32 v0, v37
	s_trap 2
.LBB2_961:                              ;   in Loop: Header=BB2_921 Depth=2
	s_or_b64 exec, exec, s[90:91]
	;;#ASMSTART
	s_wakeup
	;;#ASMEND
.LBB2_962:                              ;   in Loop: Header=BB2_921 Depth=2
	s_or_b64 exec, exec, s[88:89]
.LBB2_963:                              ;   in Loop: Header=BB2_921 Depth=2
	s_andn2_saveexec_b64 s[44:45], s[44:45]
	s_cbranch_execz .LBB2_965
; %bb.964:                              ;   in Loop: Header=BB2_921 Depth=2
	s_waitcnt vmcnt(0) lgkmcnt(0)
	buffer_wbinvl1_vol
	s_barrier
.LBB2_965:                              ;   in Loop: Header=BB2_921 Depth=2
	s_or_b64 exec, exec, s[44:45]
.LBB2_966:                              ;   in Loop: Header=BB2_921 Depth=2
	s_or_b64 exec, exec, s[28:29]
	v_and_b32_e32 v0, 16, v62
	s_and_saveexec_b64 s[28:29], s[24:25]
	s_xor_b64 s[28:29], exec, s[28:29]
	s_cbranch_execz .LBB2_970
; %bb.967:                              ;   in Loop: Header=BB2_921 Depth=2
	s_trap 2
	ds_read_b32 v0, v0
	v_cmp_lt_i32_e32 vcc, 0, v40
	v_and_b32_e32 v3, 16, v62
	s_waitcnt lgkmcnt(0)
	v_readfirstlane_b32 s44, v0
	s_cmp_eq_u32 s44, 0
	s_cselect_b64 s[44:45], -1, 0
	s_and_b64 s[44:45], vcc, s[44:45]
	v_cmp_ne_u32_e32 vcc, 0, v3
	v_and_b32_e32 v0, 16, v62
	s_and_b64 s[88:89], vcc, s[44:45]
	s_and_saveexec_b64 s[44:45], s[88:89]
	s_cbranch_execz .LBB2_969
; %bb.968:                              ;   in Loop: Header=BB2_921 Depth=2
	v_mov_b32_e32 v0, 1
	s_waitcnt vmcnt(0)
	buffer_wbinvl1_vol
.LBB2_969:                              ;   in Loop: Header=BB2_921 Depth=2
	s_or_b64 exec, exec, s[44:45]
.LBB2_970:                              ;   in Loop: Header=BB2_921 Depth=2
	s_andn2_saveexec_b64 s[28:29], s[28:29]
	s_cbranch_execz .LBB2_989
; %bb.971:                              ;   in Loop: Header=BB2_921 Depth=2
	s_and_saveexec_b64 s[44:45], s[60:61]
	s_xor_b64 s[44:45], exec, s[44:45]
	s_cbranch_execz .LBB2_986
; %bb.972:                              ;   in Loop: Header=BB2_921 Depth=2
	s_and_saveexec_b64 s[88:89], s[16:17]
	s_cbranch_execz .LBB2_985
; %bb.973:                              ;   in Loop: Header=BB2_921 Depth=2
	s_mov_b64 s[92:93], exec
	v_mbcnt_lo_u32_b32 v3, s92, 0
	v_mbcnt_hi_u32_b32 v3, s93, v3
	v_cmp_eq_u32_e32 vcc, 0, v3
	;;#ASMSTART
	s_waitcnt lgkmcnt(0) vmcnt(0)
	;;#ASMEND
	s_and_saveexec_b64 s[90:91], vcc
	s_cbranch_execz .LBB2_975
; %bb.974:                              ;   in Loop: Header=BB2_921 Depth=2
	s_bcnt1_i32_b64 s58, s[92:93]
	v_mov_b32_e32 v8, s58
	v_mov_b32_e32 v9, v2
	s_waitcnt lgkmcnt(0)
	ds_add_u64 v0, v[8:9]
	s_trap 2
.LBB2_975:                              ;   in Loop: Header=BB2_921 Depth=2
	s_or_b64 exec, exec, s[90:91]
	s_trap 2
	ds_read_b64 v[8:9], v0
	s_waitcnt lgkmcnt(0)
	v_add_co_u32_e32 v28, vcc, v28, v21
	v_addc_co_u32_e32 v29, vcc, 0, v29, vcc
	v_cmp_lt_u64_e32 vcc, v[8:9], v[28:29]
	s_and_saveexec_b64 s[90:91], vcc
	s_cbranch_execz .LBB2_984
; %bb.976:                              ;   in Loop: Header=BB2_921 Depth=2
	s_mov_b32 s58, 0
	s_mov_b64 s[92:93], 0
                                        ; implicit-def: $sgpr94_sgpr95
                                        ; implicit-def: $sgpr30_sgpr31
	s_branch .LBB2_978
.LBB2_977:                              ;   in Loop: Header=BB2_978 Depth=3
	s_or_b64 exec, exec, s[36:37]
	s_and_b64 vcc, exec, vcc
	s_or_b64 s[92:93], vcc, s[92:93]
	s_andn2_b64 s[94:95], s[94:95], exec
	s_and_b64 vcc, s[30:31], exec
	s_or_b64 s[94:95], s[94:95], vcc
	s_andn2_b64 exec, exec, s[92:93]
	s_cbranch_execz .LBB2_982
.LBB2_978:                              ;   Parent Loop BB2_47 Depth=1
                                        ;     Parent Loop BB2_921 Depth=2
                                        ; =>    This Inner Loop Header: Depth=3
	s_add_i32 s58, s58, 1
	s_cmpk_lg_i32 s58, 0x2710
	s_cselect_b64 s[34:35], -1, 0
	s_and_b64 vcc, exec, s[34:35]
	s_cbranch_vccz .LBB2_980
; %bb.979:                              ;   in Loop: Header=BB2_978 Depth=3
	s_mov_b64 vcc, -1
	s_or_b64 s[30:31], s[30:31], exec
	s_and_saveexec_b64 s[36:37], s[34:35]
	s_cbranch_execz .LBB2_977
	s_branch .LBB2_981
.LBB2_980:                              ;   in Loop: Header=BB2_978 Depth=3
	s_trap 2
	ds_read_b64 v[8:9], v0
	s_andn2_b64 s[34:35], s[34:35], exec
	s_mov_b32 s58, 0
	s_waitcnt vmcnt(0) lgkmcnt(0)
	flat_load_dword v3, v[8:9] glc
	s_waitcnt vmcnt(0) lgkmcnt(0)
	buffer_wbinvl1_vol
	v_cmp_eq_u32_e32 vcc, 0, v3
	s_and_b64 vcc, vcc, exec
	s_or_b64 s[34:35], s[34:35], vcc
	s_mov_b64 vcc, -1
	s_or_b64 s[30:31], s[30:31], exec
	s_and_saveexec_b64 s[36:37], s[34:35]
	s_cbranch_execz .LBB2_977
.LBB2_981:                              ;   in Loop: Header=BB2_978 Depth=3
	s_sleep 1
	s_trap 2
	ds_read_b64 v[8:9], v0
	s_waitcnt lgkmcnt(0)
	s_andn2_b64 s[30:31], s[30:31], exec
	v_cmp_ge_u64_e32 vcc, v[8:9], v[28:29]
	s_orn2_b64 vcc, vcc, exec
	s_branch .LBB2_977
.LBB2_982:                              ;   in Loop: Header=BB2_921 Depth=2
	s_or_b64 exec, exec, s[92:93]
	s_and_saveexec_b64 s[92:93], s[94:95]
	s_xor_b64 s[92:93], exec, s[92:93]
	s_cbranch_execz .LBB2_984
; %bb.983:                              ;   in Loop: Header=BB2_921 Depth=2
	ds_write_b32 v0, v37
	s_trap 2
.LBB2_984:                              ;   in Loop: Header=BB2_921 Depth=2
	s_or_b64 exec, exec, s[90:91]
	;;#ASMSTART
	s_wakeup
	;;#ASMEND
.LBB2_985:                              ;   in Loop: Header=BB2_921 Depth=2
	s_or_b64 exec, exec, s[88:89]
.LBB2_986:                              ;   in Loop: Header=BB2_921 Depth=2
	s_andn2_saveexec_b64 s[44:45], s[44:45]
	s_cbranch_execz .LBB2_988
; %bb.987:                              ;   in Loop: Header=BB2_921 Depth=2
	;;#ASMSTART
	s_waitcnt lgkmcnt(0) vmcnt(0)
	;;#ASMEND
	s_waitcnt vmcnt(0) lgkmcnt(0)
	s_barrier
.LBB2_988:                              ;   in Loop: Header=BB2_921 Depth=2
	s_or_b64 exec, exec, s[44:45]
.LBB2_989:                              ;   in Loop: Header=BB2_921 Depth=2
	s_or_b64 exec, exec, s[28:29]
	v_cmp_ne_u32_e32 vcc, 0, v0
	s_xor_b64 s[28:29], s[12:13], -1
	s_and_b64 s[44:45], vcc, s[28:29]
	s_and_saveexec_b64 s[28:29], s[44:45]
	s_cbranch_execz .LBB2_991
; %bb.990:                              ;   in Loop: Header=BB2_921 Depth=2
	flat_store_dword v[26:27], v37
.LBB2_991:                              ;   in Loop: Header=BB2_921 Depth=2
	s_or_b64 exec, exec, s[28:29]
	v_and_b32_e32 v0, 48, v62
	v_cmp_ne_u32_e32 vcc, 0, v0
	s_and_saveexec_b64 s[28:29], vcc
	s_cbranch_execz .LBB2_920
; %bb.992:                              ;   in Loop: Header=BB2_921 Depth=2
	v_add_co_u32_e32 v50, vcc, 2, v50
	v_addc_co_u32_e32 v51, vcc, 0, v51, vcc
	flat_store_dwordx2 v[22:23], v[50:51]
	s_branch .LBB2_920
.LBB2_993:                              ;   in Loop: Header=BB2_47 Depth=1
	s_or_b64 exec, exec, s[90:91]
	s_or_b64 exec, exec, s[88:89]
	v_cmp_gt_i32_e32 vcc, 2, v0
	s_and_saveexec_b64 s[40:41], vcc
	s_cbranch_execnz .LBB2_919
.LBB2_994:                              ;   in Loop: Header=BB2_47 Depth=1
	s_or_b64 exec, exec, s[40:41]
	s_and_b64 vcc, exec, s[26:27]
	s_cbranch_vccz .LBB2_996
	s_branch .LBB2_1254
.LBB2_995:                              ;   in Loop: Header=BB2_47 Depth=1
	s_or_b64 exec, exec, s[42:43]
	s_or_b64 exec, exec, s[40:41]
	s_and_b64 vcc, exec, s[26:27]
	s_cbranch_vccnz .LBB2_1254
.LBB2_996:                              ;   in Loop: Header=BB2_47 Depth=1
	s_mov_b32 s58, 1
.LBB2_997:                              ;   Parent Loop BB2_47 Depth=1
                                        ; =>  This Loop Header: Depth=2
                                        ;       Child Loop BB2_1000 Depth 3
                                        ;         Child Loop BB2_1008 Depth 4
                                        ;         Child Loop BB2_1036 Depth 4
	;; [unrolled: 1-line block ×4, first 2 shown]
                                        ;           Child Loop BB2_1079 Depth 5
                                        ;         Child Loop BB2_1085 Depth 4
                                        ;           Child Loop BB2_1086 Depth 5
                                        ;         Child Loop BB2_1093 Depth 4
                                        ;         Child Loop BB2_1098 Depth 4
                                        ;           Child Loop BB2_1099 Depth 5
                                        ;         Child Loop BB2_1111 Depth 4
                                        ;         Child Loop BB2_1116 Depth 4
	;; [unrolled: 1-line block ×6, first 2 shown]
                                        ;       Child Loop BB2_1178 Depth 3
                                        ;         Child Loop BB2_1184 Depth 4
                                        ;         Child Loop BB2_1212 Depth 4
	;; [unrolled: 1-line block ×3, first 2 shown]
	buffer_load_dword v12, off, s[0:3], s33 offset:92 ; 4-byte Folded Reload
	buffer_load_dword v13, off, s[0:3], s33 offset:96 ; 4-byte Folded Reload
	;; [unrolled: 1-line block ×4, first 2 shown]
	s_sub_i32 s26, s70, s58
	s_cmp_ge_i32 s26, s54
	s_cselect_b32 s27, s54, 0
	s_sub_i32 s26, s26, s27
	s_ashr_i32 s28, s26, 31
	v_mov_b32_e32 v14, 0
	s_waitcnt vmcnt(0)
	v_mul_lo_u32 v3, v12, s28
	v_mul_lo_u32 v0, v13, s26
	v_mad_u64_u32 v[8:9], s[26:27], v12, s26, 0
	v_add3_u32 v9, v9, v3, v0
	v_sub_co_u32_e32 v10, vcc, v10, v8
	v_subb_co_u32_e32 v11, vcc, v11, v9, vcc
	v_cmp_lt_i64_e32 vcc, v[12:13], v[10:11]
	v_cndmask_b32_e32 v0, v10, v12, vcc
	v_max_i32_e32 v3, 0, v0
	v_add_u32_e32 v10, 31, v3
	v_lshrrev_b32_e32 v10, 1, v10
	v_and_b32_e32 v10, 0x3ffffff0, v10
	v_cmp_lt_i32_e32 vcc, 0, v0
	v_max_i32_e32 v12, s81, v10
	s_and_b64 s[26:27], s[76:77], vcc
	v_mov_b32_e32 v0, 0
	s_and_saveexec_b64 s[42:43], s[26:27]
	s_cbranch_execz .LBB2_1175
; %bb.998:                              ;   in Loop: Header=BB2_997 Depth=2
	buffer_load_dword v10, off, s[0:3], s33 offset:60 ; 4-byte Folded Reload
	buffer_load_dword v11, off, s[0:3], s33 offset:64 ; 4-byte Folded Reload
	s_mov_b32 s79, 1
	s_mov_b64 s[88:89], -1
	v_mov_b32_e32 v14, 0
	s_mov_b64 s[44:45], 0
	s_waitcnt vmcnt(0)
	v_add_co_u32_e32 v8, vcc, v8, v10
	v_addc_co_u32_e32 v9, vcc, v9, v11, vcc
	v_lshlrev_b64 v[40:41], 1, v[8:9]
	s_branch .LBB2_1000
.LBB2_999:                              ;   in Loop: Header=BB2_1000 Depth=3
	s_or_b64 exec, exec, s[26:27]
	v_add_u32_e32 v14, v12, v14
	v_cmp_ge_i32_e32 vcc, v14, v3
	s_xor_b64 s[26:27], s[88:89], -1
	s_or_b64 s[26:27], s[26:27], vcc
	s_and_b64 s[26:27], exec, s[26:27]
	s_or_b64 s[44:45], s[26:27], s[44:45]
	s_mov_b64 s[88:89], 0
	v_mov_b32_e32 v0, s79
	s_mov_b32 s79, 2
	s_andn2_b64 exec, exec, s[44:45]
	s_cbranch_execz .LBB2_1250
.LBB2_1000:                             ;   Parent Loop BB2_47 Depth=1
                                        ;     Parent Loop BB2_997 Depth=2
                                        ; =>    This Loop Header: Depth=3
                                        ;         Child Loop BB2_1008 Depth 4
                                        ;         Child Loop BB2_1036 Depth 4
                                        ;         Child Loop BB2_1055 Depth 4
                                        ;         Child Loop BB2_1078 Depth 4
                                        ;           Child Loop BB2_1079 Depth 5
                                        ;         Child Loop BB2_1085 Depth 4
                                        ;           Child Loop BB2_1086 Depth 5
                                        ;         Child Loop BB2_1093 Depth 4
                                        ;         Child Loop BB2_1098 Depth 4
                                        ;           Child Loop BB2_1099 Depth 5
                                        ;         Child Loop BB2_1111 Depth 4
                                        ;         Child Loop BB2_1116 Depth 4
	;; [unrolled: 1-line block ×6, first 2 shown]
	s_and_saveexec_b64 s[26:27], s[4:5]
	s_cbranch_execz .LBB2_1002
; %bb.1001:                             ;   in Loop: Header=BB2_1000 Depth=3
	s_trap 2
	ds_read_b128 v[8:11], v0
	v_ashrrev_i32_e32 v15, 31, v14
	s_waitcnt lgkmcnt(0)
	v_add_co_u32_e32 v0, vcc, v8, v40
	v_addc_co_u32_e32 v13, vcc, v9, v41, vcc
	v_lshlrev_b64 v[8:9], 1, v[14:15]
	v_add_co_u32_e32 v18, vcc, v0, v8
	v_addc_co_u32_e32 v19, vcc, v13, v9, vcc
	ds_write_b64 v0, v[18:19]
	v_add_co_u32_e32 v0, vcc, v10, v40
	v_addc_co_u32_e32 v13, vcc, v11, v41, vcc
	v_add_co_u32_e32 v0, vcc, v0, v8
	v_addc_co_u32_e32 v8, vcc, v13, v9, vcc
	v_cmp_ne_u64_e32 vcc, 0, v[10:11]
	v_cndmask_b32_e32 v9, 0, v8, vcc
	v_cndmask_b32_e32 v8, 0, v0, vcc
	ds_write_b64 v0, v[8:9]
.LBB2_1002:                             ;   in Loop: Header=BB2_1000 Depth=3
	s_or_b64 exec, exec, s[26:27]
	v_sub_u32_e32 v0, v3, v14
	v_min_i32_e32 v12, v12, v0
	v_and_b32_e32 v0, 12, v62
	v_cmp_ne_u32_e32 vcc, 0, v0
	s_and_saveexec_b64 s[28:29], vcc
	s_cbranch_execz .LBB2_1028
; %bb.1003:                             ;   in Loop: Header=BB2_1000 Depth=3
	v_and_b32_e32 v0, 8, v62
	s_waitcnt vmcnt(0) lgkmcnt(0)
	v_add_co_u32_e32 v10, vcc, v32, v0
	v_addc_co_u32_e32 v11, vcc, 0, v33, vcc
	v_add_co_u32_e32 v8, vcc, 2, v50
	v_addc_co_u32_e32 v9, vcc, 0, v51, vcc
	v_cmp_lt_u64_e32 vcc, v[10:11], v[8:9]
	s_and_saveexec_b64 s[40:41], vcc
	s_cbranch_execz .LBB2_1015
; %bb.1004:                             ;   in Loop: Header=BB2_1000 Depth=3
	v_and_b32_e32 v10, 64, v62
	s_mov_b32 s52, 0
	v_cmp_eq_u32_e32 vcc, 0, v10
	s_mov_b64 s[90:91], 0
                                        ; implicit-def: $sgpr92_sgpr93
                                        ; implicit-def: $sgpr94_sgpr95
                                        ; implicit-def: $sgpr30_sgpr31
	s_branch .LBB2_1008
.LBB2_1005:                             ;   in Loop: Header=BB2_1008 Depth=4
	s_waitcnt vmcnt(0) lgkmcnt(0)
	v_add_co_u32_e64 v18, s[26:27], v32, v0
	v_addc_co_u32_e64 v19, s[26:27], 0, v33, s[26:27]
	v_cmp_ge_u64_e64 s[26:27], v[18:19], v[8:9]
	s_or_b64 s[38:39], s[38:39], exec
	s_orn2_b64 s[36:37], s[26:27], exec
.LBB2_1006:                             ;   in Loop: Header=BB2_1008 Depth=4
	s_or_b64 exec, exec, s[50:51]
	s_andn2_b64 s[26:27], s[30:31], exec
	s_and_b64 s[30:31], s[38:39], exec
	s_or_b64 s[30:31], s[26:27], s[30:31]
	s_andn2_b64 s[26:27], s[94:95], exec
	s_and_b64 s[94:95], s[36:37], exec
	s_or_b64 s[94:95], s[26:27], s[94:95]
.LBB2_1007:                             ;   in Loop: Header=BB2_1008 Depth=4
	s_or_b64 exec, exec, s[34:35]
	s_and_b64 s[26:27], exec, s[94:95]
	s_or_b64 s[90:91], s[26:27], s[90:91]
	s_andn2_b64 s[26:27], s[92:93], exec
	s_and_b64 s[92:93], s[30:31], exec
	s_or_b64 s[92:93], s[26:27], s[92:93]
	s_andn2_b64 exec, exec, s[90:91]
	s_cbranch_execz .LBB2_1012
.LBB2_1008:                             ;   Parent Loop BB2_47 Depth=1
                                        ;     Parent Loop BB2_997 Depth=2
                                        ;       Parent Loop BB2_1000 Depth=3
                                        ; =>      This Inner Loop Header: Depth=4
	s_sleep 1
	s_waitcnt vmcnt(0) lgkmcnt(0)
	flat_load_dwordx2 v[32:33], v[22:23] glc
	s_or_b64 s[30:31], s[30:31], exec
	s_or_b64 s[94:95], s[94:95], exec
                                        ; implicit-def: $vgpr10
	s_and_saveexec_b64 s[34:35], vcc
	s_cbranch_execz .LBB2_1007
; %bb.1009:                             ;   in Loop: Header=BB2_1008 Depth=4
	s_cmpk_lt_i32 s52, 0x270f
	s_cselect_b64 s[48:49], -1, 0
	s_cmpk_gt_i32 s52, 0x270e
	s_mov_b64 s[36:37], -1
	s_cbranch_scc0 .LBB2_1011
; %bb.1010:                             ;   in Loop: Header=BB2_1008 Depth=4
	s_trap 2
	ds_read_b64 v[10:11], v0
	s_andn2_b64 s[48:49], s[48:49], exec
	s_mov_b32 s52, 0
	s_mov_b64 s[38:39], 0
	s_waitcnt vmcnt(0) lgkmcnt(0)
	flat_load_dword v10, v[10:11] glc
	s_waitcnt vmcnt(0) lgkmcnt(0)
	buffer_wbinvl1_vol
	v_cmp_eq_u32_e64 s[26:27], 0, v10
	s_and_b64 s[26:27], s[26:27], exec
	s_or_b64 s[48:49], s[48:49], s[26:27]
	s_and_saveexec_b64 s[50:51], s[48:49]
	s_cbranch_execz .LBB2_1006
	s_branch .LBB2_1005
.LBB2_1011:                             ;   in Loop: Header=BB2_1008 Depth=4
	s_add_i32 s52, s52, 1
	s_mov_b64 s[38:39], -1
                                        ; implicit-def: $vgpr10
	s_and_saveexec_b64 s[50:51], s[48:49]
	s_cbranch_execz .LBB2_1006
	s_branch .LBB2_1005
.LBB2_1012:                             ;   in Loop: Header=BB2_1000 Depth=3
	s_or_b64 exec, exec, s[90:91]
	s_xor_b64 s[26:27], s[92:93], -1
	s_and_saveexec_b64 s[90:91], s[26:27]
	s_xor_b64 s[26:27], exec, s[90:91]
	s_cbranch_execz .LBB2_1014
; %bb.1013:                             ;   in Loop: Header=BB2_1000 Depth=3
	v_or_b32_e32 v62, 64, v62
	s_waitcnt lgkmcnt(0)
	ds_write_b32 v0, v10
	s_trap 2
.LBB2_1014:                             ;   in Loop: Header=BB2_1000 Depth=3
	s_or_b64 exec, exec, s[26:27]
.LBB2_1015:                             ;   in Loop: Header=BB2_1000 Depth=3
	s_or_b64 exec, exec, s[40:41]
	v_and_b32_e32 v10, 0x108, v62
	v_cmp_ne_u32_e32 vcc, s64, v10
	;;#ASMSTART
	s_wakeup
	;;#ASMEND
                                        ; implicit-def: $vgpr10_vgpr11
	s_and_saveexec_b64 s[26:27], vcc
	s_xor_b64 s[26:27], exec, s[26:27]
; %bb.1016:                             ;   in Loop: Header=BB2_1000 Depth=3
	v_and_b32_e32 v10, 7, v50
	v_mov_b32_e32 v11, v2
                                        ; implicit-def: $vgpr50_vgpr51
; %bb.1017:                             ;   in Loop: Header=BB2_1000 Depth=3
	s_andn2_saveexec_b64 s[26:27], s[26:27]
	s_cbranch_execz .LBB2_1019
; %bb.1018:                             ;   in Loop: Header=BB2_1000 Depth=3
	v_and_b32_e32 v10, 7, v50
	v_mad_u64_u32 v[18:19], s[40:41], v10, 24, v[6:7]
	v_ashrrev_i32_e32 v13, 31, v12
	v_lshlrev_b64 v[48:49], 1, v[12:13]
	v_mov_b32_e32 v11, v2
	flat_store_dwordx2 v[18:19], v[48:49] offset:8
.LBB2_1019:                             ;   in Loop: Header=BB2_1000 Depth=3
	s_or_b64 exec, exec, s[26:27]
	v_and_b32_e32 v13, 0x100, v62
	v_cmp_ne_u32_e32 vcc, 0, v13
	s_mov_b64 s[26:27], -1
                                        ; implicit-def: $vgpr18_vgpr19
	s_and_saveexec_b64 s[40:41], vcc
	s_cbranch_execz .LBB2_1023
; %bb.1020:                             ;   in Loop: Header=BB2_1000 Depth=3
	v_mad_u64_u32 v[50:51], s[26:27], v10, 24, v[6:7]
	v_mov_b32_e32 v13, v51
	v_mad_u64_u32 v[18:19], s[26:27], v11, 24, v[13:14]
	v_mov_b32_e32 v51, v18
	flat_load_dword v13, v[50:51]
                                        ; implicit-def: $vgpr18_vgpr19
	s_waitcnt vmcnt(0) lgkmcnt(0)
	v_cmp_ne_u32_e32 vcc, 1, v13
	v_cmp_eq_u32_e64 s[26:27], 1, v13
	s_and_saveexec_b64 s[90:91], s[26:27]
	s_cbranch_execz .LBB2_1022
; %bb.1021:                             ;   in Loop: Header=BB2_1000 Depth=3
	flat_load_dword v18, v[50:51] offset:4 glc
	s_waitcnt vmcnt(0) lgkmcnt(0)
	v_ashrrev_i32_e32 v19, 31, v18
	v_lshrrev_b64 v[18:19], 1, v[18:19]
.LBB2_1022:                             ;   in Loop: Header=BB2_1000 Depth=3
	s_or_b64 exec, exec, s[90:91]
	s_orn2_b64 s[26:27], vcc, exec
.LBB2_1023:                             ;   in Loop: Header=BB2_1000 Depth=3
	s_or_b64 exec, exec, s[40:41]
	s_and_saveexec_b64 s[40:41], s[26:27]
	s_cbranch_execz .LBB2_1025
; %bb.1024:                             ;   in Loop: Header=BB2_1000 Depth=3
	v_mul_lo_u32 v11, v11, v30
	v_mul_lo_u32 v13, v10, v60
	v_mad_u64_u32 v[18:19], s[26:27], v10, v30, 0
	v_add3_u32 v19, v19, v13, v11
.LBB2_1025:                             ;   in Loop: Header=BB2_1000 Depth=3
	s_or_b64 exec, exec, s[40:41]
	v_cmp_eq_u32_e32 vcc, 0, v0
	v_mov_b32_e32 v0, 0xd0
	v_mov_b32_e32 v10, 0x88
	v_cndmask_b32_e32 v0, v0, v10, vcc
	v_lshlrev_b64 v[10:11], 1, v[18:19]
	v_add_u32_e32 v0, v0, v0
	v_add_co_u32_e32 v10, vcc, v24, v10
	v_addc_co_u32_e32 v11, vcc, v25, v11, vcc
	ds_write_b64 v0, v[10:11] offset:584
	v_and_b32_e32 v0, 0x2000, v62
	v_cmp_ne_u32_e32 vcc, 0, v0
	s_and_saveexec_b64 s[26:27], vcc
	s_cbranch_execz .LBB2_1027
; %bb.1026:                             ;   in Loop: Header=BB2_1000 Depth=3
	ds_read_b64 v[10:11], v0 offset:872
	s_waitcnt lgkmcnt(0)
	v_add_co_u32_e32 v10, vcc, 1, v10
	v_addc_co_u32_e32 v11, vcc, 0, v11, vcc
	ds_write_b64 v0, v[10:11] offset:872
.LBB2_1027:                             ;   in Loop: Header=BB2_1000 Depth=3
	s_or_b64 exec, exec, s[26:27]
	v_mov_b32_e32 v51, v9
	v_mov_b32_e32 v50, v8
.LBB2_1028:                             ;   in Loop: Header=BB2_1000 Depth=3
	s_or_b64 exec, exec, s[28:29]
	s_and_saveexec_b64 s[26:27], s[10:11]
	s_cbranch_execz .LBB2_1047
; %bb.1029:                             ;   in Loop: Header=BB2_1000 Depth=3
	s_and_saveexec_b64 s[28:29], s[60:61]
	s_xor_b64 s[28:29], exec, s[28:29]
	s_cbranch_execz .LBB2_1044
; %bb.1030:                             ;   in Loop: Header=BB2_1000 Depth=3
	s_and_saveexec_b64 s[40:41], s[16:17]
	s_cbranch_execz .LBB2_1043
; %bb.1031:                             ;   in Loop: Header=BB2_1000 Depth=3
	s_mov_b64 s[92:93], exec
	v_mbcnt_lo_u32_b32 v0, s92, 0
	v_mbcnt_hi_u32_b32 v0, s93, v0
	v_cmp_eq_u32_e32 vcc, 0, v0
	s_waitcnt vmcnt(0) lgkmcnt(0)
	buffer_wbinvl1_vol
	s_and_saveexec_b64 s[90:91], vcc
	s_cbranch_execz .LBB2_1033
; %bb.1032:                             ;   in Loop: Header=BB2_1000 Depth=3
	s_bcnt1_i32_b64 s92, s[92:93]
	v_mov_b32_e32 v8, s92
	v_mov_b32_e32 v9, v2
	ds_add_u64 v0, v[8:9]
	s_trap 2
.LBB2_1033:                             ;   in Loop: Header=BB2_1000 Depth=3
	s_or_b64 exec, exec, s[90:91]
	s_trap 2
	ds_read_b64 v[8:9], v0
	s_waitcnt lgkmcnt(0)
	v_add_co_u32_e32 v28, vcc, v28, v21
	v_addc_co_u32_e32 v29, vcc, 0, v29, vcc
	v_cmp_lt_u64_e32 vcc, v[8:9], v[28:29]
	s_and_saveexec_b64 s[90:91], vcc
	s_cbranch_execz .LBB2_1042
; %bb.1034:                             ;   in Loop: Header=BB2_1000 Depth=3
	s_mov_b32 s38, 0
	s_mov_b64 s[92:93], 0
                                        ; implicit-def: $sgpr94_sgpr95
                                        ; implicit-def: $sgpr30_sgpr31
	s_branch .LBB2_1036
.LBB2_1035:                             ;   in Loop: Header=BB2_1036 Depth=4
	s_or_b64 exec, exec, s[36:37]
	s_and_b64 vcc, exec, vcc
	s_or_b64 s[92:93], vcc, s[92:93]
	s_andn2_b64 s[94:95], s[94:95], exec
	s_and_b64 vcc, s[30:31], exec
	s_or_b64 s[94:95], s[94:95], vcc
	s_andn2_b64 exec, exec, s[92:93]
	s_cbranch_execz .LBB2_1040
.LBB2_1036:                             ;   Parent Loop BB2_47 Depth=1
                                        ;     Parent Loop BB2_997 Depth=2
                                        ;       Parent Loop BB2_1000 Depth=3
                                        ; =>      This Inner Loop Header: Depth=4
	s_add_i32 s38, s38, 1
	s_cmpk_lg_i32 s38, 0x2710
	s_cselect_b64 s[34:35], -1, 0
	s_and_b64 vcc, exec, s[34:35]
	s_cbranch_vccz .LBB2_1038
; %bb.1037:                             ;   in Loop: Header=BB2_1036 Depth=4
	s_mov_b64 vcc, -1
	s_or_b64 s[30:31], s[30:31], exec
	s_and_saveexec_b64 s[36:37], s[34:35]
	s_cbranch_execz .LBB2_1035
	s_branch .LBB2_1039
.LBB2_1038:                             ;   in Loop: Header=BB2_1036 Depth=4
	s_trap 2
	ds_read_b64 v[8:9], v0
	s_andn2_b64 s[34:35], s[34:35], exec
	s_mov_b32 s38, 0
	s_waitcnt lgkmcnt(0)
	flat_load_dword v0, v[8:9] glc
	s_waitcnt vmcnt(0) lgkmcnt(0)
	buffer_wbinvl1_vol
	v_cmp_eq_u32_e32 vcc, 0, v0
	s_and_b64 vcc, vcc, exec
	s_or_b64 s[34:35], s[34:35], vcc
	s_mov_b64 vcc, -1
	s_or_b64 s[30:31], s[30:31], exec
	s_and_saveexec_b64 s[36:37], s[34:35]
	s_cbranch_execz .LBB2_1035
.LBB2_1039:                             ;   in Loop: Header=BB2_1036 Depth=4
	s_sleep 1
	s_trap 2
	ds_read_b64 v[8:9], v0
	s_waitcnt lgkmcnt(0)
	s_andn2_b64 s[30:31], s[30:31], exec
	v_cmp_ge_u64_e32 vcc, v[8:9], v[28:29]
	s_orn2_b64 vcc, vcc, exec
	s_branch .LBB2_1035
.LBB2_1040:                             ;   in Loop: Header=BB2_1000 Depth=3
	s_or_b64 exec, exec, s[92:93]
	s_and_saveexec_b64 s[92:93], s[94:95]
	s_xor_b64 s[92:93], exec, s[92:93]
	s_cbranch_execz .LBB2_1042
; %bb.1041:                             ;   in Loop: Header=BB2_1000 Depth=3
	ds_write_b32 v0, v37
	s_trap 2
.LBB2_1042:                             ;   in Loop: Header=BB2_1000 Depth=3
	s_or_b64 exec, exec, s[90:91]
	;;#ASMSTART
	s_wakeup
	;;#ASMEND
.LBB2_1043:                             ;   in Loop: Header=BB2_1000 Depth=3
	s_or_b64 exec, exec, s[40:41]
.LBB2_1044:                             ;   in Loop: Header=BB2_1000 Depth=3
	s_andn2_saveexec_b64 s[28:29], s[28:29]
	s_cbranch_execz .LBB2_1046
; %bb.1045:                             ;   in Loop: Header=BB2_1000 Depth=3
	s_waitcnt vmcnt(0) lgkmcnt(0)
	buffer_wbinvl1_vol
	s_barrier
.LBB2_1046:                             ;   in Loop: Header=BB2_1000 Depth=3
	s_or_b64 exec, exec, s[28:29]
.LBB2_1047:                             ;   in Loop: Header=BB2_1000 Depth=3
	s_or_b64 exec, exec, s[26:27]
	s_trap 2
	ds_read_b32 v0, v0
	v_and_b32_e32 v8, 0x4000, v62
	v_cmp_ne_u32_e32 vcc, 0, v8
	s_xor_b64 s[26:27], s[6:7], -1
	s_and_b64 s[28:29], s[26:27], vcc
	s_and_saveexec_b64 s[26:27], s[28:29]
	s_cbranch_execz .LBB2_1066
; %bb.1048:                             ;   in Loop: Header=BB2_1000 Depth=3
	s_and_saveexec_b64 s[28:29], s[60:61]
	s_xor_b64 s[28:29], exec, s[28:29]
	s_cbranch_execz .LBB2_1063
; %bb.1049:                             ;   in Loop: Header=BB2_1000 Depth=3
	s_and_saveexec_b64 s[40:41], s[16:17]
	s_cbranch_execz .LBB2_1062
; %bb.1050:                             ;   in Loop: Header=BB2_1000 Depth=3
	s_mov_b64 s[92:93], exec
	v_mbcnt_lo_u32_b32 v8, s92, 0
	v_mbcnt_hi_u32_b32 v8, s93, v8
	v_cmp_eq_u32_e32 vcc, 0, v8
	s_waitcnt vmcnt(0) lgkmcnt(0)
	buffer_wbinvl1_vol
	s_and_saveexec_b64 s[90:91], vcc
	s_cbranch_execz .LBB2_1052
; %bb.1051:                             ;   in Loop: Header=BB2_1000 Depth=3
	s_bcnt1_i32_b64 s92, s[92:93]
	v_mov_b32_e32 v8, s92
	v_mov_b32_e32 v9, v2
	ds_add_u64 v0, v[8:9]
	s_trap 2
.LBB2_1052:                             ;   in Loop: Header=BB2_1000 Depth=3
	s_or_b64 exec, exec, s[90:91]
	s_trap 2
	ds_read_b64 v[8:9], v0
	s_waitcnt lgkmcnt(0)
	v_add_co_u32_e32 v28, vcc, v28, v21
	v_addc_co_u32_e32 v29, vcc, 0, v29, vcc
	v_cmp_lt_u64_e32 vcc, v[8:9], v[28:29]
	s_and_saveexec_b64 s[90:91], vcc
	s_cbranch_execz .LBB2_1061
; %bb.1053:                             ;   in Loop: Header=BB2_1000 Depth=3
	s_mov_b32 s38, 0
	s_mov_b64 s[92:93], 0
                                        ; implicit-def: $sgpr94_sgpr95
                                        ; implicit-def: $sgpr30_sgpr31
	s_branch .LBB2_1055
.LBB2_1054:                             ;   in Loop: Header=BB2_1055 Depth=4
	s_or_b64 exec, exec, s[36:37]
	s_and_b64 vcc, exec, vcc
	s_or_b64 s[92:93], vcc, s[92:93]
	s_andn2_b64 s[94:95], s[94:95], exec
	s_and_b64 vcc, s[30:31], exec
	s_or_b64 s[94:95], s[94:95], vcc
	s_andn2_b64 exec, exec, s[92:93]
	s_cbranch_execz .LBB2_1059
.LBB2_1055:                             ;   Parent Loop BB2_47 Depth=1
                                        ;     Parent Loop BB2_997 Depth=2
                                        ;       Parent Loop BB2_1000 Depth=3
                                        ; =>      This Inner Loop Header: Depth=4
	s_add_i32 s38, s38, 1
	s_cmpk_lg_i32 s38, 0x2710
	s_cselect_b64 s[34:35], -1, 0
	s_and_b64 vcc, exec, s[34:35]
	s_cbranch_vccz .LBB2_1057
; %bb.1056:                             ;   in Loop: Header=BB2_1055 Depth=4
	s_mov_b64 vcc, -1
	s_or_b64 s[30:31], s[30:31], exec
	s_and_saveexec_b64 s[36:37], s[34:35]
	s_cbranch_execz .LBB2_1054
	s_branch .LBB2_1058
.LBB2_1057:                             ;   in Loop: Header=BB2_1055 Depth=4
	s_trap 2
	ds_read_b64 v[8:9], v0
	s_andn2_b64 s[34:35], s[34:35], exec
	s_mov_b32 s38, 0
	s_waitcnt lgkmcnt(0)
	flat_load_dword v8, v[8:9] glc
	s_waitcnt vmcnt(0) lgkmcnt(0)
	buffer_wbinvl1_vol
	v_cmp_eq_u32_e32 vcc, 0, v8
	s_and_b64 vcc, vcc, exec
	s_or_b64 s[34:35], s[34:35], vcc
	s_mov_b64 vcc, -1
	s_or_b64 s[30:31], s[30:31], exec
	s_and_saveexec_b64 s[36:37], s[34:35]
	s_cbranch_execz .LBB2_1054
.LBB2_1058:                             ;   in Loop: Header=BB2_1055 Depth=4
	s_sleep 1
	s_trap 2
	ds_read_b64 v[8:9], v0
	s_waitcnt lgkmcnt(0)
	s_andn2_b64 s[30:31], s[30:31], exec
	v_cmp_ge_u64_e32 vcc, v[8:9], v[28:29]
	s_orn2_b64 vcc, vcc, exec
	s_branch .LBB2_1054
.LBB2_1059:                             ;   in Loop: Header=BB2_1000 Depth=3
	s_or_b64 exec, exec, s[92:93]
	s_and_saveexec_b64 s[92:93], s[94:95]
	s_xor_b64 s[92:93], exec, s[92:93]
	s_cbranch_execz .LBB2_1061
; %bb.1060:                             ;   in Loop: Header=BB2_1000 Depth=3
	ds_write_b32 v0, v37
	s_trap 2
.LBB2_1061:                             ;   in Loop: Header=BB2_1000 Depth=3
	s_or_b64 exec, exec, s[90:91]
	;;#ASMSTART
	s_wakeup
	;;#ASMEND
.LBB2_1062:                             ;   in Loop: Header=BB2_1000 Depth=3
	s_or_b64 exec, exec, s[40:41]
.LBB2_1063:                             ;   in Loop: Header=BB2_1000 Depth=3
	s_andn2_saveexec_b64 s[28:29], s[28:29]
	s_cbranch_execz .LBB2_1065
; %bb.1064:                             ;   in Loop: Header=BB2_1000 Depth=3
	s_waitcnt vmcnt(0) lgkmcnt(0)
	buffer_wbinvl1_vol
	s_barrier
.LBB2_1065:                             ;   in Loop: Header=BB2_1000 Depth=3
	s_or_b64 exec, exec, s[28:29]
.LBB2_1066:                             ;   in Loop: Header=BB2_1000 Depth=3
	s_or_b64 exec, exec, s[26:27]
	s_trap 2
	s_waitcnt lgkmcnt(0)
	ds_read_b64 v[42:43], v0
	s_waitcnt lgkmcnt(0)
	v_cmp_eq_u64_e32 vcc, 0, v[42:43]
	s_cbranch_vccnz .LBB2_1075
; %bb.1067:                             ;   in Loop: Header=BB2_1000 Depth=3
	s_trap 2
	ds_read_b64 v[44:45], v0
	s_waitcnt lgkmcnt(0)
	v_cmp_eq_u64_e32 vcc, 0, v[44:45]
	s_cbranch_vccnz .LBB2_1075
; %bb.1068:                             ;   in Loop: Header=BB2_1000 Depth=3
	s_trap 2
	ds_read_b64 v[46:47], v0
	v_cmp_eq_u32_e32 vcc, 0, v0
	v_cndmask_b32_e32 v13, 0, v12, vcc
	v_lshlrev_b32_e32 v15, 1, v13
	s_mov_b64 s[26:27], -1
	s_waitcnt lgkmcnt(0)
	v_cmp_ne_u64_e32 vcc, 0, v[46:47]
	s_cbranch_vccz .LBB2_1102
; %bb.1069:                             ;   in Loop: Header=BB2_1000 Depth=3
	s_and_saveexec_b64 s[28:29], s[20:21]
	s_cbranch_execz .LBB2_1071
; %bb.1070:                             ;   in Loop: Header=BB2_1000 Depth=3
	ds_read_b32 v0, v0 offset:720
	s_waitcnt lgkmcnt(0)
	v_and_b32_e32 v0, 15, v0
	v_cmp_eq_u32_e32 vcc, 0, v0
	s_orn2_b64 s[26:27], vcc, exec
.LBB2_1071:                             ;   in Loop: Header=BB2_1000 Depth=3
	s_or_b64 exec, exec, s[28:29]
	s_and_saveexec_b64 s[28:29], s[22:23]
	s_cbranch_execz .LBB2_1073
; %bb.1072:                             ;   in Loop: Header=BB2_1000 Depth=3
	ds_read_b32 v0, v0 offset:784
	s_waitcnt lgkmcnt(0)
	v_and_b32_e32 v0, 15, v0
	v_cmp_eq_u32_e32 vcc, 0, v0
	s_and_b64 s[40:41], s[26:27], vcc
	s_andn2_b64 s[26:27], s[26:27], exec
	s_and_b64 s[40:41], s[40:41], exec
	s_or_b64 s[26:27], s[26:27], s[40:41]
.LBB2_1073:                             ;   in Loop: Header=BB2_1000 Depth=3
	s_or_b64 exec, exec, s[28:29]
	s_xor_b64 s[26:27], s[26:27], -1
	v_cndmask_b32_e64 v8, 0, 1, s[26:27]
	s_mov_b64 s[28:29], -1
	v_mov_b32_e32 v0, 0
	v_cmp_ne_u32_e32 vcc, 0, v8
	v_mov_b32_e32 v49, v15
	s_waitcnt vmcnt(0)
	v_mov_b32_e32 v55, v61
	s_cbranch_vccz .LBB2_1076
; %bb.1074:                             ;   in Loop: Header=BB2_1000 Depth=3
	s_and_saveexec_b64 s[40:41], s[28:29]
	s_cbranch_execnz .LBB2_1091
	s_branch .LBB2_1101
.LBB2_1075:                             ;   in Loop: Header=BB2_1000 Depth=3
	s_mov_b64 s[26:27], 0
	s_and_saveexec_b64 s[28:29], s[10:11]
	s_cbranch_execnz .LBB2_1130
	s_branch .LBB2_1148
.LBB2_1076:                             ;   in Loop: Header=BB2_1000 Depth=3
	buffer_load_dword v0, off, s[0:3], s33 offset:68 ; 4-byte Folded Reload
	v_ashrrev_i32_e32 v8, 31, v15
	v_lshrrev_b32_e32 v8, 22, v8
	v_add_u32_e32 v8, v15, v8
	v_and_b32_e32 v52, 0xfffffc00, v8
	v_ashrrev_i32_e32 v9, 10, v8
	v_sub_u32_e32 v54, v15, v52
	v_sub_u32_e32 v8, v9, v59
	v_cmp_lt_i32_e64 s[26:27], 15, v54
	v_addc_co_u32_e64 v53, vcc, 0, v8, s[26:27]
	s_waitcnt vmcnt(0)
	v_sub_u32_e32 v0, v15, v0
	v_cmp_lt_i32_e32 vcc, 15, v0
	s_and_saveexec_b64 s[90:91], vcc
	s_cbranch_execz .LBB2_1082
; %bb.1077:                             ;   in Loop: Header=BB2_1000 Depth=3
	buffer_load_dword v8, off, s[0:3], s33 offset:68 ; 4-byte Folded Reload
	s_mov_b64 s[92:93], 0
	s_waitcnt vmcnt(0)
	v_add_co_u32_e32 v18, vcc, v42, v8
	v_addc_co_u32_e32 v19, vcc, 0, v43, vcc
	v_add_co_u32_e32 v48, vcc, v44, v8
	v_addc_co_u32_e32 v49, vcc, 0, v45, vcc
	;; [unrolled: 2-line block ×3, first 2 shown]
.LBB2_1078:                             ;   Parent Loop BB2_47 Depth=1
                                        ;     Parent Loop BB2_997 Depth=2
                                        ;       Parent Loop BB2_1000 Depth=3
                                        ; =>      This Loop Header: Depth=4
                                        ;           Child Loop BB2_1079 Depth 5
	global_load_dwordx4 v[8:11], v[18:19], off glc slc
	s_mov_b64 s[94:95], -1
	s_mov_b64 s[30:31], 0
	s_waitcnt vmcnt(0)
.LBB2_1079:                             ;   Parent Loop BB2_47 Depth=1
                                        ;     Parent Loop BB2_997 Depth=2
                                        ;       Parent Loop BB2_1000 Depth=3
                                        ;         Parent Loop BB2_1078 Depth=4
                                        ; =>        This Inner Loop Header: Depth=5
	s_cmp_eq_u32 s30, 1
	s_cselect_b64 s[28:29], -1, 0
	v_cndmask_b32_e64 v57, v48, v55, s[28:29]
	v_cndmask_b32_e64 v58, v49, v56, s[28:29]
	v_add_co_u32_e32 v17, vcc, 0x400, v57
	s_cmp_eq_u32 s30, 0
	v_addc_co_u32_e32 v34, vcc, 0, v58, vcc
	s_cselect_b64 vcc, -1, 0
	s_and_b64 s[40:41], exec, s[94:95]
	s_mov_b64 s[30:31], 1
	v_cndmask_b32_e64 v55, v55, v17, s[28:29]
	s_mov_b64 s[94:95], 0
	v_cndmask_b32_e64 v56, v56, v34, s[28:29]
	v_cndmask_b32_e32 v49, v49, v34, vcc
	v_cndmask_b32_e32 v48, v48, v17, vcc
	s_mov_b64 vcc, s[40:41]
	global_store_dwordx4 v[57:58], v[8:11], off glc slc
	s_cbranch_vccnz .LBB2_1079
; %bb.1080:                             ;   in Loop: Header=BB2_1078 Depth=4
	v_add_co_u32_e32 v48, vcc, v48, v1
	v_addc_co_u32_e32 v49, vcc, v49, v36, vcc
	v_add_co_u32_e32 v55, vcc, v55, v1
	v_addc_co_u32_e32 v56, vcc, v56, v36, vcc
	;; [unrolled: 2-line block ×3, first 2 shown]
	v_sub_u32_e32 v0, v0, v35
	v_cmp_gt_i32_e32 vcc, 16, v0
	s_or_b64 s[92:93], vcc, s[92:93]
	v_sub_u32_e32 v53, v53, v21
	s_andn2_b64 exec, exec, s[92:93]
	s_cbranch_execnz .LBB2_1078
; %bb.1081:                             ;   in Loop: Header=BB2_1000 Depth=3
	s_or_b64 exec, exec, s[92:93]
	v_mov_b32_e32 v58, 0xc8
.LBB2_1082:                             ;   in Loop: Header=BB2_1000 Depth=3
	s_or_b64 exec, exec, s[90:91]
	v_and_b32_e32 v8, 14, v15
	v_cndmask_b32_e64 v48, v54, v8, s[26:27]
	v_mov_b32_e32 v0, 0
	v_cmp_ne_u32_e32 vcc, 0, v48
	s_mov_b64 s[28:29], 0
                                        ; implicit-def: $vgpr49
                                        ; implicit-def: $vgpr55
	s_and_saveexec_b64 s[90:91], vcc
	s_cbranch_execz .LBB2_1090
; %bb.1083:                             ;   in Loop: Header=BB2_1000 Depth=3
	buffer_load_dword v9, off, s[0:3], s33 offset:72 ; 4-byte Folded Reload
	v_cmp_lt_i32_e32 vcc, 0, v53
	v_sub_u32_e32 v0, v54, v8
	v_cndmask_b32_e32 v8, 0, v21, vcc
	v_sub_u32_e32 v8, v8, v53
	v_cndmask_b32_e64 v0, 0, v0, s[26:27]
	v_add_u32_e32 v0, v0, v52
	s_waitcnt vmcnt(0)
	v_lshl_or_b32 v8, v8, 6, v9
	v_ashrrev_i32_e32 v9, 31, v8
	v_lshrrev_b32_e32 v9, 26, v9
	v_add_u32_e32 v9, v8, v9
	v_ashrrev_i32_e32 v10, 6, v9
	v_and_b32_e32 v9, 0xffffffc0, v9
	v_sub_u32_e32 v52, v8, v9
	v_ashrrev_i32_e32 v9, 31, v48
	v_lshrrev_b32_e32 v9, 22, v9
	v_add_u32_e32 v9, v48, v9
	v_and_b32_e32 v49, 0xfffffc00, v9
	v_lshlrev_b32_e32 v8, 4, v52
	v_sub_u32_e32 v53, v48, v49
	v_lshl_add_u32 v8, v10, 10, v8
	v_ashrrev_i32_e32 v11, 10, v9
	v_cmp_lt_i32_e64 s[26:27], 15, v53
	v_sub_u32_e32 v55, v48, v8
	v_addc_co_u32_e64 v9, vcc, 0, v11, s[26:27]
	v_sub_u32_e32 v54, v9, v10
	v_cmp_lt_i32_e32 vcc, 15, v55
	s_and_saveexec_b64 s[92:93], vcc
	s_cbranch_execz .LBB2_1089
; %bb.1084:                             ;   in Loop: Header=BB2_1000 Depth=3
	v_add_u32_e32 v8, v8, v0
	v_ashrrev_i32_e32 v9, 31, v8
	v_add_co_u32_e32 v18, vcc, v8, v42
	v_addc_co_u32_e32 v19, vcc, v9, v43, vcc
	v_add_co_u32_e32 v56, vcc, v8, v44
	v_addc_co_u32_e32 v57, vcc, v9, v45, vcc
	;; [unrolled: 2-line block ×3, first 2 shown]
	s_mov_b64 s[94:95], 0
.LBB2_1085:                             ;   Parent Loop BB2_47 Depth=1
                                        ;     Parent Loop BB2_997 Depth=2
                                        ;       Parent Loop BB2_1000 Depth=3
                                        ; =>      This Loop Header: Depth=4
                                        ;           Child Loop BB2_1086 Depth 5
	global_load_dwordx4 v[8:11], v[18:19], off glc slc
	s_mov_b64 s[30:31], -1
	s_mov_b64 s[34:35], 0
	s_waitcnt vmcnt(0)
.LBB2_1086:                             ;   Parent Loop BB2_47 Depth=1
                                        ;     Parent Loop BB2_997 Depth=2
                                        ;       Parent Loop BB2_1000 Depth=3
                                        ;         Parent Loop BB2_1085 Depth=4
                                        ; =>        This Inner Loop Header: Depth=5
	s_cmp_eq_u32 s34, 1
	s_cselect_b64 s[28:29], -1, 0
	v_cndmask_b32_e64 v60, v56, v58, s[28:29]
	v_cndmask_b32_e64 v61, v57, v59, s[28:29]
	v_add_co_u32_e32 v17, vcc, 0x400, v60
	s_cmp_eq_u32 s34, 0
	v_addc_co_u32_e32 v34, vcc, 0, v61, vcc
	s_cselect_b64 vcc, -1, 0
	s_and_b64 s[40:41], exec, s[30:31]
	s_mov_b64 s[34:35], 1
	v_cndmask_b32_e64 v58, v58, v17, s[28:29]
	s_mov_b64 s[30:31], 0
	v_cndmask_b32_e64 v59, v59, v34, s[28:29]
	v_cndmask_b32_e32 v57, v57, v34, vcc
	v_cndmask_b32_e32 v56, v56, v17, vcc
	s_mov_b64 vcc, s[40:41]
	global_store_dwordx4 v[60:61], v[8:11], off glc slc
	s_cbranch_vccnz .LBB2_1086
; %bb.1087:                             ;   in Loop: Header=BB2_1085 Depth=4
	v_add_co_u32_e32 v56, vcc, v56, v1
	v_addc_co_u32_e32 v57, vcc, v57, v36, vcc
	v_add_co_u32_e32 v58, vcc, v58, v1
	v_addc_co_u32_e32 v59, vcc, v59, v36, vcc
	;; [unrolled: 2-line block ×3, first 2 shown]
	v_sub_u32_e32 v55, v55, v35
	v_cmp_gt_i32_e32 vcc, 16, v55
	s_or_b64 s[94:95], vcc, s[94:95]
	v_sub_u32_e32 v54, v54, v21
	s_andn2_b64 exec, exec, s[94:95]
	s_cbranch_execnz .LBB2_1085
; %bb.1088:                             ;   in Loop: Header=BB2_1000 Depth=3
	s_or_b64 exec, exec, s[94:95]
	buffer_load_dword v61, off, s[0:3], s33 offset:88 ; 4-byte Folded Reload
	buffer_load_dword v59, off, s[0:3], s33 offset:76 ; 4-byte Folded Reload
	v_ashrrev_i32_e32 v60, 31, v30
	v_mov_b32_e32 v58, 0xc8
.LBB2_1089:                             ;   in Loop: Header=BB2_1000 Depth=3
	s_or_b64 exec, exec, s[92:93]
	v_and_b32_e32 v8, 14, v48
	v_sub_u32_e32 v9, v53, v8
	v_cndmask_b32_e64 v9, 0, v9, s[26:27]
	v_cmp_lt_i32_e32 vcc, 0, v54
	v_add3_u32 v0, v49, v0, v9
	v_cndmask_b32_e64 v49, v53, v8, s[26:27]
	v_cndmask_b32_e32 v8, 0, v21, vcc
	v_sub_u32_e32 v8, v8, v54
	v_cmp_ne_u32_e32 vcc, 0, v49
	v_lshl_add_u32 v55, v8, 6, v52
	s_and_b64 s[28:29], vcc, exec
.LBB2_1090:                             ;   in Loop: Header=BB2_1000 Depth=3
	s_or_b64 exec, exec, s[90:91]
	s_and_saveexec_b64 s[40:41], s[28:29]
	s_cbranch_execz .LBB2_1101
.LBB2_1091:                             ;   in Loop: Header=BB2_1000 Depth=3
	v_ashrrev_i32_e32 v8, 31, v55
	v_ashrrev_i32_e32 v9, 31, v49
	v_lshrrev_b32_e32 v8, 26, v8
	v_lshrrev_b32_e32 v9, 23, v9
	v_add_u32_e32 v8, v55, v8
	v_add_u32_e32 v9, v49, v9
	v_ashrrev_i32_e32 v48, 6, v8
	v_ashrrev_i32_e32 v53, 9, v9
	v_sub_u32_e32 v52, v53, v48
	v_cmp_lt_i32_e32 vcc, 0, v52
	s_and_saveexec_b64 s[26:27], vcc
	s_cbranch_execz .LBB2_1095
; %bb.1092:                             ;   in Loop: Header=BB2_1000 Depth=3
	v_and_b32_e32 v8, 0x7fffffc0, v8
	v_sub_u32_e32 v8, v55, v8
	v_lshlrev_b32_e32 v8, 1, v8
	v_lshlrev_b32_e32 v9, 9, v48
	v_add3_u32 v17, v8, v0, v9
	v_ashrrev_i32_e32 v19, 31, v17
	v_add_co_u32_e32 v8, vcc, v17, v42
	v_addc_co_u32_e32 v9, vcc, v19, v43, vcc
	v_add_co_u32_e32 v10, vcc, v17, v44
	v_addc_co_u32_e32 v11, vcc, v19, v45, vcc
	;; [unrolled: 2-line block ×3, first 2 shown]
	s_mov_b64 s[28:29], 0
.LBB2_1093:                             ;   Parent Loop BB2_47 Depth=1
                                        ;     Parent Loop BB2_997 Depth=2
                                        ;       Parent Loop BB2_1000 Depth=3
                                        ; =>      This Inner Loop Header: Depth=4
	flat_load_ushort v17, v[8:9] glc slc
	flat_load_ushort v34, v[8:9] offset:128 glc slc
	flat_load_ushort v54, v[8:9] offset:256 glc slc
	;; [unrolled: 1-line block ×3, first 2 shown]
	v_add_co_u32_e32 v8, vcc, v8, v16
	v_addc_co_u32_e32 v9, vcc, 0, v9, vcc
	v_sub_u32_e32 v52, v52, v21
	v_cmp_gt_i32_e32 vcc, 1, v52
	s_or_b64 s[28:29], vcc, s[28:29]
	s_waitcnt vmcnt(0) lgkmcnt(0)
	flat_store_short v[10:11], v17 glc slc
	flat_store_short v[10:11], v34 offset:128 glc slc
	flat_store_short v[10:11], v54 offset:256 glc slc
	;; [unrolled: 1-line block ×3, first 2 shown]
	flat_store_short v[18:19], v17 glc slc
	flat_store_short v[18:19], v34 offset:128 glc slc
	flat_store_short v[18:19], v54 offset:256 glc slc
	;; [unrolled: 1-line block ×3, first 2 shown]
	v_add_co_u32_e32 v10, vcc, v10, v16
	v_addc_co_u32_e32 v11, vcc, 0, v11, vcc
	v_add_co_u32_e32 v18, vcc, v18, v16
	v_addc_co_u32_e32 v19, vcc, 0, v19, vcc
	s_andn2_b64 exec, exec, s[28:29]
	s_cbranch_execnz .LBB2_1093
; %bb.1094:                             ;   in Loop: Header=BB2_1000 Depth=3
	s_or_b64 exec, exec, s[28:29]
.LBB2_1095:                             ;   in Loop: Header=BB2_1000 Depth=3
	s_or_b64 exec, exec, s[26:27]
	v_lshlrev_b32_e32 v8, 9, v53
	v_cmp_ne_u32_e32 vcc, v49, v8
	s_and_b64 exec, exec, vcc
	s_cbranch_execz .LBB2_1101
; %bb.1096:                             ;   in Loop: Header=BB2_1000 Depth=3
	v_lshlrev_b32_e32 v9, 6, v48
	v_sub_u32_e32 v9, v55, v9
	v_lshlrev_b32_e32 v10, 6, v52
	v_sub_u32_e32 v9, v9, v10
	v_ashrrev_i32_e32 v10, 31, v9
	v_lshrrev_b32_e32 v10, 26, v10
	v_add_u32_e32 v10, v9, v10
	v_and_b32_e32 v11, 0x7fffffc0, v10
	v_sub_u32_e32 v9, v9, v11
	v_lshlrev_b32_e32 v10, 1, v10
	v_and_b32_e32 v10, 0xffffff80, v10
	v_lshlrev_b32_e32 v9, 1, v9
	v_add3_u32 v8, v10, v9, v8
	v_sub_u32_e32 v10, v49, v8
	v_cmp_lt_i32_e32 vcc, 1, v10
	s_and_b64 exec, exec, vcc
	s_cbranch_execz .LBB2_1101
; %bb.1097:                             ;   in Loop: Header=BB2_1000 Depth=3
	v_add_u32_e32 v17, v8, v0
	v_ashrrev_i32_e32 v19, 31, v17
	v_add_co_u32_e32 v8, vcc, v17, v42
	v_addc_co_u32_e32 v9, vcc, v19, v43, vcc
	v_add_co_u32_e32 v0, vcc, v17, v44
	v_addc_co_u32_e32 v11, vcc, v19, v45, vcc
	;; [unrolled: 2-line block ×3, first 2 shown]
	s_mov_b64 s[90:91], 0
.LBB2_1098:                             ;   Parent Loop BB2_47 Depth=1
                                        ;     Parent Loop BB2_997 Depth=2
                                        ;       Parent Loop BB2_1000 Depth=3
                                        ; =>      This Loop Header: Depth=4
                                        ;           Child Loop BB2_1099 Depth 5
	flat_load_ushort v48, v[8:9] glc slc
	s_mov_b64 s[92:93], -1
	s_mov_b64 s[94:95], 0
	s_waitcnt vmcnt(0)
.LBB2_1099:                             ;   Parent Loop BB2_47 Depth=1
                                        ;     Parent Loop BB2_997 Depth=2
                                        ;       Parent Loop BB2_1000 Depth=3
                                        ;         Parent Loop BB2_1098 Depth=4
                                        ; =>        This Inner Loop Header: Depth=5
	s_cmp_eq_u32 s94, 1
	s_cselect_b64 s[26:27], -1, 0
	v_cndmask_b32_e64 v52, v0, v18, s[26:27]
	v_cndmask_b32_e64 v53, v11, v19, s[26:27]
	v_add_co_u32_e32 v17, vcc, 0x80, v52
	s_cmp_eq_u32 s94, 0
	v_addc_co_u32_e32 v34, vcc, 0, v53, vcc
	s_cselect_b64 vcc, -1, 0
	s_and_b64 s[28:29], exec, s[92:93]
	s_mov_b64 s[94:95], 1
	v_cndmask_b32_e64 v18, v18, v17, s[26:27]
	s_mov_b64 s[92:93], 0
	v_cndmask_b32_e64 v19, v19, v34, s[26:27]
	v_cndmask_b32_e32 v11, v11, v34, vcc
	v_cndmask_b32_e32 v0, v0, v17, vcc
	s_mov_b64 vcc, s[28:29]
	s_waitcnt lgkmcnt(0)
	flat_store_short v[52:53], v48 glc slc
	s_cbranch_vccnz .LBB2_1099
; %bb.1100:                             ;   in Loop: Header=BB2_1098 Depth=4
	v_add_u32_e32 v17, 0xffffff80, v31
	v_add_co_u32_e32 v0, vcc, v0, v17
	v_addc_co_u32_e32 v11, vcc, v11, v4, vcc
	v_add_co_u32_e32 v18, vcc, v18, v17
	v_addc_co_u32_e32 v19, vcc, v19, v4, vcc
	v_sub_u32_e32 v10, v10, v31
	v_cmp_gt_i32_e32 vcc, 2, v10
	s_or_b64 s[90:91], vcc, s[90:91]
	v_add_co_u32_e32 v8, vcc, v5, v8
	v_addc_co_u32_e32 v9, vcc, v38, v9, vcc
	s_andn2_b64 exec, exec, s[90:91]
	s_cbranch_execnz .LBB2_1098
.LBB2_1101:                             ;   in Loop: Header=BB2_1000 Depth=3
	s_or_b64 exec, exec, s[40:41]
	s_mov_b64 s[26:27], 0
.LBB2_1102:                             ;   in Loop: Header=BB2_1000 Depth=3
	s_and_b64 vcc, exec, s[26:27]
	s_cbranch_vccz .LBB2_1129
; %bb.1103:                             ;   in Loop: Header=BB2_1000 Depth=3
	s_mov_b64 s[26:27], -1
	s_mov_b64 s[28:29], exec
	s_and_b64 s[40:41], s[28:29], s[20:21]
	v_lshlrev_b32_e32 v11, 11, v21
	s_mov_b64 exec, s[40:41]
	s_cbranch_execz .LBB2_1105
; %bb.1104:                             ;   in Loop: Header=BB2_1000 Depth=3
	ds_read_b32 v0, v0 offset:720
	s_waitcnt lgkmcnt(0)
	v_and_b32_e32 v0, 15, v0
	v_cmp_eq_u32_e32 vcc, 0, v0
	s_orn2_b64 s[26:27], vcc, exec
.LBB2_1105:                             ;   in Loop: Header=BB2_1000 Depth=3
	s_or_b64 exec, exec, s[28:29]
	s_and_saveexec_b64 s[28:29], s[18:19]
	s_cbranch_execz .LBB2_1107
; %bb.1106:                             ;   in Loop: Header=BB2_1000 Depth=3
	ds_read_b32 v0, v0 offset:784
	s_waitcnt lgkmcnt(0)
	v_and_b32_e32 v0, 15, v0
	v_cmp_eq_u32_e32 vcc, 0, v0
	s_and_b64 s[40:41], s[26:27], vcc
	s_andn2_b64 s[26:27], s[26:27], exec
	s_and_b64 s[40:41], s[40:41], exec
	s_or_b64 s[26:27], s[26:27], s[40:41]
.LBB2_1107:                             ;   in Loop: Header=BB2_1000 Depth=3
	s_or_b64 exec, exec, s[28:29]
	s_xor_b64 s[26:27], s[26:27], -1
	v_cndmask_b32_e64 v8, 0, 1, s[26:27]
	s_mov_b64 s[40:41], -1
	v_mov_b32_e32 v0, 0
	v_cmp_ne_u32_e32 vcc, 0, v8
	s_cbranch_vccz .LBB2_1109
; %bb.1108:                             ;   in Loop: Header=BB2_1000 Depth=3
	s_waitcnt vmcnt(0)
	v_mov_b32_e32 v18, v61
	s_and_saveexec_b64 s[26:27], s[40:41]
	s_cbranch_execnz .LBB2_1120
	s_branch .LBB2_1128
.LBB2_1109:                             ;   in Loop: Header=BB2_1000 Depth=3
	v_ashrrev_i32_e32 v0, 31, v15
	v_lshrrev_b32_e32 v0, 21, v0
	v_add_u32_e32 v0, v15, v0
	v_ashrrev_i32_e32 v0, 11, v0
	s_waitcnt vmcnt(0)
	v_sub_u32_e32 v10, v0, v59
	v_cmp_lt_i32_e32 vcc, 0, v10
	s_and_saveexec_b64 s[26:27], vcc
	s_cbranch_execz .LBB2_1113
; %bb.1110:                             ;   in Loop: Header=BB2_1000 Depth=3
	buffer_load_dword v8, off, s[0:3], s33 offset:108 ; 4-byte Folded Reload
	buffer_load_dword v9, off, s[0:3], s33 offset:112 ; 4-byte Folded Reload
	s_mov_b64 s[28:29], 0
.LBB2_1111:                             ;   Parent Loop BB2_47 Depth=1
                                        ;     Parent Loop BB2_997 Depth=2
                                        ;       Parent Loop BB2_1000 Depth=3
                                        ; =>      This Inner Loop Header: Depth=4
	s_waitcnt vmcnt(0)
	v_add_co_u32_e32 v18, vcc, v42, v8
	v_addc_co_u32_e32 v19, vcc, v43, v9, vcc
	global_load_dwordx4 v[52:55], v[18:19], off glc slc
	global_load_dwordx4 v[46:49], v[18:19], off offset:1024 glc slc
	v_add_co_u32_e32 v18, vcc, v44, v8
	v_addc_co_u32_e32 v19, vcc, v45, v9, vcc
	v_add_co_u32_e32 v8, vcc, v8, v11
	v_sub_u32_e32 v10, v10, v21
	v_addc_co_u32_e32 v9, vcc, 0, v9, vcc
	v_cmp_gt_i32_e32 vcc, 1, v10
	s_or_b64 s[28:29], vcc, s[28:29]
	s_waitcnt vmcnt(0)
	global_store_dwordx4 v[18:19], v[52:55], off glc slc
	global_store_dwordx4 v[18:19], v[46:49], off offset:1024 glc slc
	s_andn2_b64 exec, exec, s[28:29]
	s_cbranch_execnz .LBB2_1111
; %bb.1112:                             ;   in Loop: Header=BB2_1000 Depth=3
	s_or_b64 exec, exec, s[28:29]
.LBB2_1113:                             ;   in Loop: Header=BB2_1000 Depth=3
	s_or_b64 exec, exec, s[26:27]
	v_lshlrev_b32_e32 v8, 11, v0
	v_cmp_ne_u32_e32 vcc, v15, v8
	s_mov_b64 s[40:41], 0
	v_mov_b32_e32 v0, 0
                                        ; implicit-def: $vgpr18
	s_and_saveexec_b64 s[28:29], vcc
	s_cbranch_execz .LBB2_1119
; %bb.1114:                             ;   in Loop: Header=BB2_1000 Depth=3
	buffer_load_dword v9, off, s[0:3], s33 offset:72 ; 4-byte Folded Reload
	v_lshlrev_b32_e32 v0, 6, v10
	v_sub_u32_e32 v11, v15, v8
	s_waitcnt vmcnt(0)
	v_sub_u32_e32 v0, v9, v0
	v_ashrrev_i32_e32 v9, 31, v0
	v_lshrrev_b32_e32 v9, 26, v9
	v_add_u32_e32 v9, v0, v9
	v_ashrrev_i32_e32 v17, 6, v9
	v_and_b32_e32 v9, 0xffffffc0, v9
	v_sub_u32_e32 v9, v0, v9
	v_lshlrev_b32_e32 v0, 4, v9
	v_lshl_add_u32 v19, v17, 10, v0
	v_ashrrev_i32_e32 v0, 31, v11
	v_lshrrev_b32_e32 v0, 22, v0
	v_add_u32_e32 v0, v11, v0
	v_ashrrev_i32_e32 v34, 10, v0
	v_and_b32_e32 v0, 0xfffffc00, v0
	v_sub_u32_e32 v10, v11, v0
	v_cmp_lt_i32_e32 vcc, 15, v10
	v_sub_u32_e32 v18, v11, v19
	v_addc_co_u32_e64 v11, s[26:27], 0, v34, vcc
	v_sub_u32_e32 v11, v11, v17
	v_cmp_lt_i32_e64 s[26:27], 15, v18
	s_and_saveexec_b64 s[40:41], s[26:27]
	s_cbranch_execz .LBB2_1118
; %bb.1115:                             ;   in Loop: Header=BB2_1000 Depth=3
	v_add_u32_e32 v19, v19, v8
	v_ashrrev_i32_e32 v48, 31, v19
	s_mov_b64 s[90:91], 0
.LBB2_1116:                             ;   Parent Loop BB2_47 Depth=1
                                        ;     Parent Loop BB2_997 Depth=2
                                        ;       Parent Loop BB2_1000 Depth=3
                                        ; =>      This Inner Loop Header: Depth=4
	v_add_co_u32_e64 v52, s[26:27], v42, v19
	v_addc_co_u32_e64 v53, s[26:27], v43, v48, s[26:27]
	global_load_dwordx4 v[52:55], v[52:53], off glc slc
	v_add_co_u32_e64 v46, s[26:27], v44, v19
	v_addc_co_u32_e64 v47, s[26:27], v45, v48, s[26:27]
	v_add_co_u32_e64 v19, s[26:27], v19, v35
	v_sub_u32_e32 v18, v18, v35
	v_addc_co_u32_e64 v48, s[26:27], 0, v48, s[26:27]
	v_cmp_gt_i32_e64 s[26:27], 16, v18
	v_sub_u32_e32 v11, v11, v21
	s_or_b64 s[90:91], s[26:27], s[90:91]
	s_waitcnt vmcnt(0)
	global_store_dwordx4 v[46:47], v[52:55], off glc slc
	s_andn2_b64 exec, exec, s[90:91]
	s_cbranch_execnz .LBB2_1116
; %bb.1117:                             ;   in Loop: Header=BB2_1000 Depth=3
	s_or_b64 exec, exec, s[90:91]
.LBB2_1118:                             ;   in Loop: Header=BB2_1000 Depth=3
	s_or_b64 exec, exec, s[40:41]
	v_and_b32_e32 v15, 14, v15
	v_sub_u32_e32 v17, v10, v15
	v_cndmask_b32_e32 v17, 0, v17, vcc
	v_cndmask_b32_e32 v15, v10, v15, vcc
	v_cmp_lt_i32_e32 vcc, 0, v11
	v_add3_u32 v0, v0, v8, v17
	v_cndmask_b32_e32 v8, 0, v21, vcc
	v_sub_u32_e32 v8, v8, v11
	v_cmp_ne_u32_e32 vcc, 0, v15
	v_lshl_add_u32 v18, v8, 6, v9
	s_and_b64 s[40:41], vcc, exec
.LBB2_1119:                             ;   in Loop: Header=BB2_1000 Depth=3
	s_or_b64 exec, exec, s[28:29]
	s_and_saveexec_b64 s[26:27], s[40:41]
	s_cbranch_execz .LBB2_1128
.LBB2_1120:                             ;   in Loop: Header=BB2_1000 Depth=3
	v_ashrrev_i32_e32 v8, 31, v18
	v_ashrrev_i32_e32 v9, 31, v15
	v_lshrrev_b32_e32 v8, 26, v8
	v_lshrrev_b32_e32 v9, 23, v9
	v_add_u32_e32 v8, v18, v8
	v_add_u32_e32 v9, v15, v9
	v_ashrrev_i32_e32 v19, 6, v8
	v_ashrrev_i32_e32 v49, 9, v9
	v_sub_u32_e32 v48, v49, v19
	v_cmp_lt_i32_e32 vcc, 0, v48
	s_and_saveexec_b64 s[28:29], vcc
	s_cbranch_execz .LBB2_1124
; %bb.1121:                             ;   in Loop: Header=BB2_1000 Depth=3
	v_and_b32_e32 v8, 0x7fffffc0, v8
	v_sub_u32_e32 v8, v18, v8
	v_lshlrev_b32_e32 v8, 1, v8
	v_lshlrev_b32_e32 v9, 9, v19
	v_add3_u32 v52, v8, v0, v9
	v_mov_b32_e32 v8, v44
	v_mov_b32_e32 v10, v42
	v_ashrrev_i32_e32 v53, 31, v52
	s_mov_b64 s[40:41], 0
	v_mov_b32_e32 v9, v45
	v_mov_b32_e32 v11, v43
.LBB2_1122:                             ;   Parent Loop BB2_47 Depth=1
                                        ;     Parent Loop BB2_997 Depth=2
                                        ;       Parent Loop BB2_1000 Depth=3
                                        ; =>      This Inner Loop Header: Depth=4
	v_add_co_u32_e32 v54, vcc, v52, v10
	v_addc_co_u32_e32 v55, vcc, v53, v11, vcc
	flat_load_ushort v17, v[54:55] glc slc
	flat_load_ushort v34, v[54:55] offset:128 glc slc
	flat_load_ushort v46, v[54:55] offset:256 glc slc
	;; [unrolled: 1-line block ×3, first 2 shown]
	v_add_co_u32_e32 v54, vcc, v52, v8
	v_addc_co_u32_e32 v55, vcc, v53, v9, vcc
	v_add_co_u32_e32 v10, vcc, v10, v16
	v_addc_co_u32_e32 v11, vcc, 0, v11, vcc
	v_add_co_u32_e32 v8, vcc, v8, v16
	v_sub_u32_e32 v48, v48, v21
	v_addc_co_u32_e32 v9, vcc, 0, v9, vcc
	v_cmp_gt_i32_e32 vcc, 1, v48
	s_or_b64 s[40:41], vcc, s[40:41]
	s_waitcnt vmcnt(0) lgkmcnt(0)
	flat_store_short v[54:55], v17 glc slc
	flat_store_short v[54:55], v34 offset:128 glc slc
	flat_store_short v[54:55], v46 offset:256 glc slc
	;; [unrolled: 1-line block ×3, first 2 shown]
	s_andn2_b64 exec, exec, s[40:41]
	s_cbranch_execnz .LBB2_1122
; %bb.1123:                             ;   in Loop: Header=BB2_1000 Depth=3
	s_or_b64 exec, exec, s[40:41]
.LBB2_1124:                             ;   in Loop: Header=BB2_1000 Depth=3
	s_or_b64 exec, exec, s[28:29]
	v_lshlrev_b32_e32 v8, 9, v49
	v_cmp_ne_u32_e32 vcc, v15, v8
	s_and_b64 exec, exec, vcc
	s_cbranch_execz .LBB2_1128
; %bb.1125:                             ;   in Loop: Header=BB2_1000 Depth=3
	v_lshlrev_b32_e32 v9, 6, v19
	v_sub_u32_e32 v9, v18, v9
	v_lshlrev_b32_e32 v10, 6, v48
	v_sub_u32_e32 v9, v9, v10
	v_ashrrev_i32_e32 v10, 31, v9
	v_lshrrev_b32_e32 v10, 26, v10
	v_add_u32_e32 v10, v9, v10
	v_and_b32_e32 v11, 0x7fffffc0, v10
	v_sub_u32_e32 v9, v9, v11
	v_lshlrev_b32_e32 v10, 1, v10
	v_and_b32_e32 v10, 0xffffff80, v10
	v_lshlrev_b32_e32 v9, 1, v9
	v_add3_u32 v9, v10, v9, v8
	v_sub_u32_e32 v8, v15, v9
	v_cmp_lt_i32_e32 vcc, 1, v8
	s_and_b64 exec, exec, vcc
	s_cbranch_execz .LBB2_1128
; %bb.1126:                             ;   in Loop: Header=BB2_1000 Depth=3
	v_add_u32_e32 v0, v9, v0
	v_ashrrev_i32_e32 v9, 31, v0
	s_mov_b64 s[28:29], 0
.LBB2_1127:                             ;   Parent Loop BB2_47 Depth=1
                                        ;     Parent Loop BB2_997 Depth=2
                                        ;       Parent Loop BB2_1000 Depth=3
                                        ; =>      This Inner Loop Header: Depth=4
	v_add_co_u32_e32 v10, vcc, v42, v0
	v_addc_co_u32_e32 v11, vcc, v43, v9, vcc
	flat_load_ushort v15, v[10:11] glc slc
	v_add_co_u32_e32 v10, vcc, v44, v0
	v_addc_co_u32_e32 v11, vcc, v45, v9, vcc
	v_add_co_u32_e32 v0, vcc, v0, v31
	v_sub_u32_e32 v8, v8, v31
	v_addc_co_u32_e32 v9, vcc, 0, v9, vcc
	v_cmp_gt_i32_e32 vcc, 2, v8
	s_or_b64 s[28:29], vcc, s[28:29]
	s_waitcnt vmcnt(0) lgkmcnt(0)
	flat_store_short v[10:11], v15 glc slc
	s_andn2_b64 exec, exec, s[28:29]
	s_cbranch_execnz .LBB2_1127
.LBB2_1128:                             ;   in Loop: Header=BB2_1000 Depth=3
	s_or_b64 exec, exec, s[26:27]
.LBB2_1129:                             ;   in Loop: Header=BB2_1000 Depth=3
	v_cmp_lt_i32_e64 s[26:27], 0, v13
	s_and_saveexec_b64 s[28:29], s[10:11]
	s_cbranch_execz .LBB2_1148
.LBB2_1130:                             ;   in Loop: Header=BB2_1000 Depth=3
	s_and_saveexec_b64 s[40:41], s[60:61]
	s_xor_b64 s[40:41], exec, s[40:41]
	s_cbranch_execz .LBB2_1145
; %bb.1131:                             ;   in Loop: Header=BB2_1000 Depth=3
	s_and_saveexec_b64 s[90:91], s[16:17]
	s_cbranch_execz .LBB2_1144
; %bb.1132:                             ;   in Loop: Header=BB2_1000 Depth=3
	s_mov_b64 s[94:95], exec
	v_mbcnt_lo_u32_b32 v0, s94, 0
	v_mbcnt_hi_u32_b32 v0, s95, v0
	v_cmp_eq_u32_e32 vcc, 0, v0
	s_waitcnt vmcnt(0) lgkmcnt(0)
	buffer_wbinvl1_vol
	s_and_saveexec_b64 s[92:93], vcc
	s_cbranch_execz .LBB2_1134
; %bb.1133:                             ;   in Loop: Header=BB2_1000 Depth=3
	s_bcnt1_i32_b64 s94, s[94:95]
	v_mov_b32_e32 v8, s94
	v_mov_b32_e32 v9, v2
	ds_add_u64 v0, v[8:9]
	s_trap 2
.LBB2_1134:                             ;   in Loop: Header=BB2_1000 Depth=3
	s_or_b64 exec, exec, s[92:93]
	s_trap 2
	ds_read_b64 v[8:9], v0
	s_waitcnt lgkmcnt(0)
	v_add_co_u32_e32 v28, vcc, v28, v21
	v_addc_co_u32_e32 v29, vcc, 0, v29, vcc
	v_cmp_lt_u64_e32 vcc, v[8:9], v[28:29]
	s_and_saveexec_b64 s[92:93], vcc
	s_cbranch_execz .LBB2_1143
; %bb.1135:                             ;   in Loop: Header=BB2_1000 Depth=3
	s_mov_b32 s48, 0
	s_mov_b64 s[94:95], 0
                                        ; implicit-def: $sgpr30_sgpr31
                                        ; implicit-def: $sgpr34_sgpr35
	s_branch .LBB2_1137
.LBB2_1136:                             ;   in Loop: Header=BB2_1137 Depth=4
	s_or_b64 exec, exec, s[38:39]
	s_and_b64 vcc, exec, vcc
	s_or_b64 s[94:95], vcc, s[94:95]
	s_andn2_b64 vcc, s[30:31], exec
	s_and_b64 s[30:31], s[34:35], exec
	s_or_b64 s[30:31], vcc, s[30:31]
	s_andn2_b64 exec, exec, s[94:95]
	s_cbranch_execz .LBB2_1141
.LBB2_1137:                             ;   Parent Loop BB2_47 Depth=1
                                        ;     Parent Loop BB2_997 Depth=2
                                        ;       Parent Loop BB2_1000 Depth=3
                                        ; =>      This Inner Loop Header: Depth=4
	s_add_i32 s48, s48, 1
	s_cmpk_lg_i32 s48, 0x2710
	s_cselect_b64 s[36:37], -1, 0
	s_and_b64 vcc, exec, s[36:37]
	s_cbranch_vccz .LBB2_1139
; %bb.1138:                             ;   in Loop: Header=BB2_1137 Depth=4
	s_mov_b64 vcc, -1
	s_or_b64 s[34:35], s[34:35], exec
	s_and_saveexec_b64 s[38:39], s[36:37]
	s_cbranch_execz .LBB2_1136
	s_branch .LBB2_1140
.LBB2_1139:                             ;   in Loop: Header=BB2_1137 Depth=4
	s_trap 2
	ds_read_b64 v[8:9], v0
	s_andn2_b64 s[36:37], s[36:37], exec
	s_mov_b32 s48, 0
	s_waitcnt lgkmcnt(0)
	flat_load_dword v0, v[8:9] glc
	s_waitcnt vmcnt(0) lgkmcnt(0)
	buffer_wbinvl1_vol
	v_cmp_eq_u32_e32 vcc, 0, v0
	s_and_b64 vcc, vcc, exec
	s_or_b64 s[36:37], s[36:37], vcc
	s_mov_b64 vcc, -1
	s_or_b64 s[34:35], s[34:35], exec
	s_and_saveexec_b64 s[38:39], s[36:37]
	s_cbranch_execz .LBB2_1136
.LBB2_1140:                             ;   in Loop: Header=BB2_1137 Depth=4
	s_sleep 1
	s_trap 2
	ds_read_b64 v[8:9], v0
	s_waitcnt lgkmcnt(0)
	s_andn2_b64 s[34:35], s[34:35], exec
	v_cmp_ge_u64_e32 vcc, v[8:9], v[28:29]
	s_orn2_b64 vcc, vcc, exec
	s_branch .LBB2_1136
.LBB2_1141:                             ;   in Loop: Header=BB2_1000 Depth=3
	s_or_b64 exec, exec, s[94:95]
	s_and_saveexec_b64 s[94:95], s[30:31]
	s_xor_b64 s[94:95], exec, s[94:95]
	s_cbranch_execz .LBB2_1143
; %bb.1142:                             ;   in Loop: Header=BB2_1000 Depth=3
	ds_write_b32 v0, v37
	s_trap 2
.LBB2_1143:                             ;   in Loop: Header=BB2_1000 Depth=3
	s_or_b64 exec, exec, s[92:93]
	;;#ASMSTART
	s_wakeup
	;;#ASMEND
.LBB2_1144:                             ;   in Loop: Header=BB2_1000 Depth=3
	s_or_b64 exec, exec, s[90:91]
.LBB2_1145:                             ;   in Loop: Header=BB2_1000 Depth=3
	s_andn2_saveexec_b64 s[40:41], s[40:41]
	s_cbranch_execz .LBB2_1147
; %bb.1146:                             ;   in Loop: Header=BB2_1000 Depth=3
	s_waitcnt vmcnt(0) lgkmcnt(0)
	buffer_wbinvl1_vol
	s_barrier
.LBB2_1147:                             ;   in Loop: Header=BB2_1000 Depth=3
	s_or_b64 exec, exec, s[40:41]
.LBB2_1148:                             ;   in Loop: Header=BB2_1000 Depth=3
	s_or_b64 exec, exec, s[28:29]
	v_and_b32_e32 v0, 16, v62
	s_and_saveexec_b64 s[28:29], s[24:25]
	s_xor_b64 s[28:29], exec, s[28:29]
	s_cbranch_execz .LBB2_1152
; %bb.1149:                             ;   in Loop: Header=BB2_1000 Depth=3
	v_and_b32_e32 v8, 16, v62
	v_cmp_ne_u32_e32 vcc, 0, v8
	v_and_b32_e32 v0, 16, v62
	s_and_b64 s[40:41], vcc, s[26:27]
	s_and_saveexec_b64 s[26:27], s[40:41]
	s_cbranch_execz .LBB2_1151
; %bb.1150:                             ;   in Loop: Header=BB2_1000 Depth=3
	v_mov_b32_e32 v0, 1
	s_waitcnt vmcnt(0) lgkmcnt(0)
	buffer_wbinvl1_vol
.LBB2_1151:                             ;   in Loop: Header=BB2_1000 Depth=3
	s_or_b64 exec, exec, s[26:27]
.LBB2_1152:                             ;   in Loop: Header=BB2_1000 Depth=3
	s_andn2_saveexec_b64 s[26:27], s[28:29]
	s_cbranch_execz .LBB2_1171
; %bb.1153:                             ;   in Loop: Header=BB2_1000 Depth=3
	s_and_saveexec_b64 s[28:29], s[60:61]
	s_xor_b64 s[28:29], exec, s[28:29]
	s_cbranch_execz .LBB2_1168
; %bb.1154:                             ;   in Loop: Header=BB2_1000 Depth=3
	s_and_saveexec_b64 s[40:41], s[16:17]
	s_cbranch_execz .LBB2_1167
; %bb.1155:                             ;   in Loop: Header=BB2_1000 Depth=3
	s_mov_b64 s[92:93], exec
	v_mbcnt_lo_u32_b32 v8, s92, 0
	v_mbcnt_hi_u32_b32 v8, s93, v8
	v_cmp_eq_u32_e32 vcc, 0, v8
	;;#ASMSTART
	s_waitcnt lgkmcnt(0) vmcnt(0)
	;;#ASMEND
	s_and_saveexec_b64 s[90:91], vcc
	s_cbranch_execz .LBB2_1157
; %bb.1156:                             ;   in Loop: Header=BB2_1000 Depth=3
	s_bcnt1_i32_b64 s92, s[92:93]
	v_mov_b32_e32 v8, s92
	v_mov_b32_e32 v9, v2
	s_waitcnt lgkmcnt(0)
	ds_add_u64 v0, v[8:9]
	s_trap 2
.LBB2_1157:                             ;   in Loop: Header=BB2_1000 Depth=3
	s_or_b64 exec, exec, s[90:91]
	s_trap 2
	ds_read_b64 v[8:9], v0
	s_waitcnt lgkmcnt(0)
	v_add_co_u32_e32 v28, vcc, v28, v21
	v_addc_co_u32_e32 v29, vcc, 0, v29, vcc
	v_cmp_lt_u64_e32 vcc, v[8:9], v[28:29]
	s_and_saveexec_b64 s[90:91], vcc
	s_cbranch_execz .LBB2_1166
; %bb.1158:                             ;   in Loop: Header=BB2_1000 Depth=3
	s_mov_b32 s38, 0
	s_mov_b64 s[92:93], 0
                                        ; implicit-def: $sgpr94_sgpr95
                                        ; implicit-def: $sgpr30_sgpr31
	s_branch .LBB2_1160
.LBB2_1159:                             ;   in Loop: Header=BB2_1160 Depth=4
	s_or_b64 exec, exec, s[36:37]
	s_and_b64 vcc, exec, vcc
	s_or_b64 s[92:93], vcc, s[92:93]
	s_andn2_b64 s[94:95], s[94:95], exec
	s_and_b64 vcc, s[30:31], exec
	s_or_b64 s[94:95], s[94:95], vcc
	s_andn2_b64 exec, exec, s[92:93]
	s_cbranch_execz .LBB2_1164
.LBB2_1160:                             ;   Parent Loop BB2_47 Depth=1
                                        ;     Parent Loop BB2_997 Depth=2
                                        ;       Parent Loop BB2_1000 Depth=3
                                        ; =>      This Inner Loop Header: Depth=4
	s_add_i32 s38, s38, 1
	s_cmpk_lg_i32 s38, 0x2710
	s_cselect_b64 s[34:35], -1, 0
	s_and_b64 vcc, exec, s[34:35]
	s_cbranch_vccz .LBB2_1162
; %bb.1161:                             ;   in Loop: Header=BB2_1160 Depth=4
	s_mov_b64 vcc, -1
	s_or_b64 s[30:31], s[30:31], exec
	s_and_saveexec_b64 s[36:37], s[34:35]
	s_cbranch_execz .LBB2_1159
	s_branch .LBB2_1163
.LBB2_1162:                             ;   in Loop: Header=BB2_1160 Depth=4
	s_trap 2
	ds_read_b64 v[8:9], v0
	s_andn2_b64 s[34:35], s[34:35], exec
	s_mov_b32 s38, 0
	s_waitcnt vmcnt(0) lgkmcnt(0)
	flat_load_dword v8, v[8:9] glc
	s_waitcnt vmcnt(0) lgkmcnt(0)
	buffer_wbinvl1_vol
	v_cmp_eq_u32_e32 vcc, 0, v8
	s_and_b64 vcc, vcc, exec
	s_or_b64 s[34:35], s[34:35], vcc
	s_mov_b64 vcc, -1
	s_or_b64 s[30:31], s[30:31], exec
	s_and_saveexec_b64 s[36:37], s[34:35]
	s_cbranch_execz .LBB2_1159
.LBB2_1163:                             ;   in Loop: Header=BB2_1160 Depth=4
	s_sleep 1
	s_trap 2
	ds_read_b64 v[8:9], v0
	s_waitcnt lgkmcnt(0)
	s_andn2_b64 s[30:31], s[30:31], exec
	v_cmp_ge_u64_e32 vcc, v[8:9], v[28:29]
	s_orn2_b64 vcc, vcc, exec
	s_branch .LBB2_1159
.LBB2_1164:                             ;   in Loop: Header=BB2_1000 Depth=3
	s_or_b64 exec, exec, s[92:93]
	s_and_saveexec_b64 s[92:93], s[94:95]
	s_xor_b64 s[92:93], exec, s[92:93]
	s_cbranch_execz .LBB2_1166
; %bb.1165:                             ;   in Loop: Header=BB2_1000 Depth=3
	ds_write_b32 v0, v37
	s_trap 2
.LBB2_1166:                             ;   in Loop: Header=BB2_1000 Depth=3
	s_or_b64 exec, exec, s[90:91]
	;;#ASMSTART
	s_wakeup
	;;#ASMEND
.LBB2_1167:                             ;   in Loop: Header=BB2_1000 Depth=3
	s_or_b64 exec, exec, s[40:41]
.LBB2_1168:                             ;   in Loop: Header=BB2_1000 Depth=3
	s_andn2_saveexec_b64 s[28:29], s[28:29]
	s_cbranch_execz .LBB2_1170
; %bb.1169:                             ;   in Loop: Header=BB2_1000 Depth=3
	;;#ASMSTART
	s_waitcnt lgkmcnt(0) vmcnt(0)
	;;#ASMEND
	s_waitcnt vmcnt(0) lgkmcnt(0)
	s_barrier
.LBB2_1170:                             ;   in Loop: Header=BB2_1000 Depth=3
	s_or_b64 exec, exec, s[28:29]
.LBB2_1171:                             ;   in Loop: Header=BB2_1000 Depth=3
	s_or_b64 exec, exec, s[26:27]
	v_cmp_ne_u32_e32 vcc, 0, v0
	s_xor_b64 s[26:27], s[12:13], -1
	s_and_b64 s[28:29], vcc, s[26:27]
	s_and_saveexec_b64 s[26:27], s[28:29]
	s_cbranch_execz .LBB2_1173
; %bb.1172:                             ;   in Loop: Header=BB2_1000 Depth=3
	flat_store_dword v[26:27], v37
.LBB2_1173:                             ;   in Loop: Header=BB2_1000 Depth=3
	s_or_b64 exec, exec, s[26:27]
	v_and_b32_e32 v0, 48, v62
	v_cmp_ne_u32_e32 vcc, 0, v0
	s_and_saveexec_b64 s[26:27], vcc
	s_cbranch_execz .LBB2_999
; %bb.1174:                             ;   in Loop: Header=BB2_1000 Depth=3
	v_add_co_u32_e32 v50, vcc, 2, v50
	v_addc_co_u32_e32 v51, vcc, 0, v51, vcc
	flat_store_dwordx2 v[22:23], v[50:51]
	s_branch .LBB2_999
.LBB2_1175:                             ;   in Loop: Header=BB2_997 Depth=2
	s_or_b64 exec, exec, s[42:43]
	v_cmp_gt_i32_e32 vcc, 2, v0
	s_and_saveexec_b64 s[28:29], vcc
	s_cbranch_execz .LBB2_1251
.LBB2_1176:                             ;   in Loop: Header=BB2_997 Depth=2
	v_cmp_eq_u32_e64 s[42:43], 0, v0
	s_mov_b64 s[40:41], 0
	s_branch .LBB2_1178
.LBB2_1177:                             ;   in Loop: Header=BB2_1178 Depth=3
	s_or_b64 exec, exec, s[26:27]
	v_add_u32_e32 v14, v12, v14
	s_mov_b64 s[42:43], 0
	s_andn2_b64 exec, exec, s[40:41]
	s_cbranch_execz .LBB2_1252
.LBB2_1178:                             ;   Parent Loop BB2_47 Depth=1
                                        ;     Parent Loop BB2_997 Depth=2
                                        ; =>    This Loop Header: Depth=3
                                        ;         Child Loop BB2_1184 Depth 4
                                        ;         Child Loop BB2_1212 Depth 4
	;; [unrolled: 1-line block ×3, first 2 shown]
	v_sub_u32_e32 v0, v3, v14
	v_min_i32_e32 v12, v12, v0
	v_and_b32_e32 v0, 12, v62
	v_cmp_ne_u32_e32 vcc, 0, v0
	s_and_saveexec_b64 s[44:45], vcc
	s_cbranch_execz .LBB2_1204
; %bb.1179:                             ;   in Loop: Header=BB2_1178 Depth=3
	v_and_b32_e32 v0, 8, v62
	s_waitcnt vmcnt(0) lgkmcnt(0)
	v_add_co_u32_e32 v10, vcc, v32, v0
	v_addc_co_u32_e32 v11, vcc, 0, v33, vcc
	v_add_co_u32_e32 v8, vcc, 2, v50
	v_addc_co_u32_e32 v9, vcc, 0, v51, vcc
	v_cmp_lt_u64_e32 vcc, v[10:11], v[8:9]
	s_and_saveexec_b64 s[88:89], vcc
	s_cbranch_execz .LBB2_1191
; %bb.1180:                             ;   in Loop: Header=BB2_1178 Depth=3
	v_and_b32_e32 v10, 64, v62
	s_mov_b32 s79, 0
	v_cmp_eq_u32_e32 vcc, 0, v10
	s_mov_b64 s[90:91], 0
                                        ; implicit-def: $sgpr92_sgpr93
                                        ; implicit-def: $sgpr94_sgpr95
                                        ; implicit-def: $sgpr30_sgpr31
	s_branch .LBB2_1184
.LBB2_1181:                             ;   in Loop: Header=BB2_1184 Depth=4
	s_waitcnt vmcnt(0) lgkmcnt(0)
	v_add_co_u32_e64 v18, s[26:27], v32, v0
	v_addc_co_u32_e64 v19, s[26:27], 0, v33, s[26:27]
	v_cmp_ge_u64_e64 s[26:27], v[18:19], v[8:9]
	s_or_b64 s[38:39], s[38:39], exec
	s_orn2_b64 s[36:37], s[26:27], exec
.LBB2_1182:                             ;   in Loop: Header=BB2_1184 Depth=4
	s_or_b64 exec, exec, s[50:51]
	s_andn2_b64 s[26:27], s[30:31], exec
	s_and_b64 s[30:31], s[38:39], exec
	s_or_b64 s[30:31], s[26:27], s[30:31]
	s_andn2_b64 s[26:27], s[94:95], exec
	s_and_b64 s[94:95], s[36:37], exec
	s_or_b64 s[94:95], s[26:27], s[94:95]
.LBB2_1183:                             ;   in Loop: Header=BB2_1184 Depth=4
	s_or_b64 exec, exec, s[34:35]
	s_and_b64 s[26:27], exec, s[94:95]
	s_or_b64 s[90:91], s[26:27], s[90:91]
	s_andn2_b64 s[26:27], s[92:93], exec
	s_and_b64 s[92:93], s[30:31], exec
	s_or_b64 s[92:93], s[26:27], s[92:93]
	s_andn2_b64 exec, exec, s[90:91]
	s_cbranch_execz .LBB2_1188
.LBB2_1184:                             ;   Parent Loop BB2_47 Depth=1
                                        ;     Parent Loop BB2_997 Depth=2
                                        ;       Parent Loop BB2_1178 Depth=3
                                        ; =>      This Inner Loop Header: Depth=4
	s_sleep 1
	s_waitcnt vmcnt(0) lgkmcnt(0)
	flat_load_dwordx2 v[32:33], v[22:23] glc
	s_or_b64 s[30:31], s[30:31], exec
	s_or_b64 s[94:95], s[94:95], exec
                                        ; implicit-def: $vgpr10
	s_and_saveexec_b64 s[34:35], vcc
	s_cbranch_execz .LBB2_1183
; %bb.1185:                             ;   in Loop: Header=BB2_1184 Depth=4
	s_cmpk_lt_i32 s79, 0x270f
	s_cselect_b64 s[48:49], -1, 0
	s_cmpk_gt_i32 s79, 0x270e
	s_mov_b64 s[36:37], -1
	s_cbranch_scc0 .LBB2_1187
; %bb.1186:                             ;   in Loop: Header=BB2_1184 Depth=4
	s_trap 2
	ds_read_b64 v[10:11], v0
	s_andn2_b64 s[48:49], s[48:49], exec
	s_mov_b32 s79, 0
	s_mov_b64 s[38:39], 0
	s_waitcnt vmcnt(0) lgkmcnt(0)
	flat_load_dword v10, v[10:11] glc
	s_waitcnt vmcnt(0) lgkmcnt(0)
	buffer_wbinvl1_vol
	v_cmp_eq_u32_e64 s[26:27], 0, v10
	s_and_b64 s[26:27], s[26:27], exec
	s_or_b64 s[48:49], s[48:49], s[26:27]
	s_and_saveexec_b64 s[50:51], s[48:49]
	s_cbranch_execz .LBB2_1182
	s_branch .LBB2_1181
.LBB2_1187:                             ;   in Loop: Header=BB2_1184 Depth=4
	s_add_i32 s79, s79, 1
	s_mov_b64 s[38:39], -1
                                        ; implicit-def: $vgpr10
	s_and_saveexec_b64 s[50:51], s[48:49]
	s_cbranch_execz .LBB2_1182
	s_branch .LBB2_1181
.LBB2_1188:                             ;   in Loop: Header=BB2_1178 Depth=3
	s_or_b64 exec, exec, s[90:91]
	s_xor_b64 s[26:27], s[92:93], -1
	s_and_saveexec_b64 s[90:91], s[26:27]
	s_xor_b64 s[26:27], exec, s[90:91]
	s_cbranch_execz .LBB2_1190
; %bb.1189:                             ;   in Loop: Header=BB2_1178 Depth=3
	v_or_b32_e32 v62, 64, v62
	s_waitcnt lgkmcnt(0)
	ds_write_b32 v0, v10
	s_trap 2
.LBB2_1190:                             ;   in Loop: Header=BB2_1178 Depth=3
	s_or_b64 exec, exec, s[26:27]
.LBB2_1191:                             ;   in Loop: Header=BB2_1178 Depth=3
	s_or_b64 exec, exec, s[88:89]
	v_and_b32_e32 v10, 0x108, v62
	v_cmp_ne_u32_e32 vcc, s64, v10
	;;#ASMSTART
	s_wakeup
	;;#ASMEND
                                        ; implicit-def: $vgpr10_vgpr11
	s_and_saveexec_b64 s[26:27], vcc
	s_xor_b64 s[26:27], exec, s[26:27]
; %bb.1192:                             ;   in Loop: Header=BB2_1178 Depth=3
	v_and_b32_e32 v10, 7, v50
	v_mov_b32_e32 v11, v2
                                        ; implicit-def: $vgpr50_vgpr51
; %bb.1193:                             ;   in Loop: Header=BB2_1178 Depth=3
	s_andn2_saveexec_b64 s[26:27], s[26:27]
	s_cbranch_execz .LBB2_1195
; %bb.1194:                             ;   in Loop: Header=BB2_1178 Depth=3
	v_and_b32_e32 v10, 7, v50
	v_mad_u64_u32 v[18:19], s[88:89], v10, 24, v[6:7]
	v_ashrrev_i32_e32 v13, 31, v12
	v_lshlrev_b64 v[48:49], 1, v[12:13]
	v_mov_b32_e32 v11, v2
	flat_store_dwordx2 v[18:19], v[48:49] offset:8
.LBB2_1195:                             ;   in Loop: Header=BB2_1178 Depth=3
	s_or_b64 exec, exec, s[26:27]
	v_and_b32_e32 v13, 0x100, v62
	v_cmp_ne_u32_e32 vcc, 0, v13
	s_mov_b64 s[26:27], -1
                                        ; implicit-def: $vgpr18_vgpr19
	s_and_saveexec_b64 s[88:89], vcc
	s_cbranch_execz .LBB2_1199
; %bb.1196:                             ;   in Loop: Header=BB2_1178 Depth=3
	v_mad_u64_u32 v[50:51], s[26:27], v10, 24, v[6:7]
	v_mov_b32_e32 v13, v51
	v_mad_u64_u32 v[18:19], s[26:27], v11, 24, v[13:14]
	v_mov_b32_e32 v51, v18
	flat_load_dword v13, v[50:51]
                                        ; implicit-def: $vgpr18_vgpr19
	s_waitcnt vmcnt(0) lgkmcnt(0)
	v_cmp_ne_u32_e32 vcc, 1, v13
	v_cmp_eq_u32_e64 s[26:27], 1, v13
	s_and_saveexec_b64 s[90:91], s[26:27]
	s_cbranch_execz .LBB2_1198
; %bb.1197:                             ;   in Loop: Header=BB2_1178 Depth=3
	flat_load_dword v18, v[50:51] offset:4 glc
	s_waitcnt vmcnt(0) lgkmcnt(0)
	v_ashrrev_i32_e32 v19, 31, v18
	v_lshrrev_b64 v[18:19], 1, v[18:19]
.LBB2_1198:                             ;   in Loop: Header=BB2_1178 Depth=3
	s_or_b64 exec, exec, s[90:91]
	s_orn2_b64 s[26:27], vcc, exec
.LBB2_1199:                             ;   in Loop: Header=BB2_1178 Depth=3
	s_or_b64 exec, exec, s[88:89]
	s_and_saveexec_b64 s[88:89], s[26:27]
	s_cbranch_execz .LBB2_1201
; %bb.1200:                             ;   in Loop: Header=BB2_1178 Depth=3
	v_mul_lo_u32 v11, v11, v30
	v_mul_lo_u32 v13, v10, v60
	v_mad_u64_u32 v[18:19], s[26:27], v10, v30, 0
	v_add3_u32 v19, v19, v13, v11
.LBB2_1201:                             ;   in Loop: Header=BB2_1178 Depth=3
	s_or_b64 exec, exec, s[88:89]
	v_cmp_eq_u32_e32 vcc, 0, v0
	v_mov_b32_e32 v0, 0xd0
	v_mov_b32_e32 v10, 0x88
	v_cndmask_b32_e32 v0, v0, v10, vcc
	v_lshlrev_b64 v[10:11], 1, v[18:19]
	v_add_u32_e32 v0, v0, v0
	v_add_co_u32_e32 v10, vcc, v24, v10
	v_addc_co_u32_e32 v11, vcc, v25, v11, vcc
	ds_write_b64 v0, v[10:11] offset:584
	v_and_b32_e32 v0, 0x2000, v62
	v_cmp_ne_u32_e32 vcc, 0, v0
	s_and_saveexec_b64 s[26:27], vcc
	s_cbranch_execz .LBB2_1203
; %bb.1202:                             ;   in Loop: Header=BB2_1178 Depth=3
	ds_read_b64 v[10:11], v0 offset:872
	s_waitcnt lgkmcnt(0)
	v_add_co_u32_e32 v10, vcc, 1, v10
	v_addc_co_u32_e32 v11, vcc, 0, v11, vcc
	ds_write_b64 v0, v[10:11] offset:872
.LBB2_1203:                             ;   in Loop: Header=BB2_1178 Depth=3
	s_or_b64 exec, exec, s[26:27]
	v_mov_b32_e32 v51, v9
	v_mov_b32_e32 v50, v8
.LBB2_1204:                             ;   in Loop: Header=BB2_1178 Depth=3
	s_or_b64 exec, exec, s[44:45]
	s_xor_b64 s[26:27], s[42:43], -1
	s_and_b64 s[26:27], exec, s[26:27]
	s_or_b64 s[40:41], s[26:27], s[40:41]
	s_and_saveexec_b64 s[26:27], s[10:11]
	s_cbranch_execz .LBB2_1223
; %bb.1205:                             ;   in Loop: Header=BB2_1178 Depth=3
	s_and_saveexec_b64 s[42:43], s[60:61]
	s_xor_b64 s[42:43], exec, s[42:43]
	s_cbranch_execz .LBB2_1220
; %bb.1206:                             ;   in Loop: Header=BB2_1178 Depth=3
	s_and_saveexec_b64 s[44:45], s[16:17]
	s_cbranch_execz .LBB2_1219
; %bb.1207:                             ;   in Loop: Header=BB2_1178 Depth=3
	s_mov_b64 s[90:91], exec
	v_mbcnt_lo_u32_b32 v0, s90, 0
	v_mbcnt_hi_u32_b32 v0, s91, v0
	v_cmp_eq_u32_e32 vcc, 0, v0
	s_waitcnt vmcnt(0) lgkmcnt(0)
	buffer_wbinvl1_vol
	s_and_saveexec_b64 s[88:89], vcc
	s_cbranch_execz .LBB2_1209
; %bb.1208:                             ;   in Loop: Header=BB2_1178 Depth=3
	s_bcnt1_i32_b64 s79, s[90:91]
	v_mov_b32_e32 v8, s79
	v_mov_b32_e32 v9, v2
	ds_add_u64 v0, v[8:9]
	s_trap 2
.LBB2_1209:                             ;   in Loop: Header=BB2_1178 Depth=3
	s_or_b64 exec, exec, s[88:89]
	s_trap 2
	ds_read_b64 v[8:9], v0
	s_waitcnt lgkmcnt(0)
	v_add_co_u32_e32 v28, vcc, v28, v21
	v_addc_co_u32_e32 v29, vcc, 0, v29, vcc
	v_cmp_lt_u64_e32 vcc, v[8:9], v[28:29]
	s_and_saveexec_b64 s[88:89], vcc
	s_cbranch_execz .LBB2_1218
; %bb.1210:                             ;   in Loop: Header=BB2_1178 Depth=3
	s_mov_b32 s79, 0
	s_mov_b64 s[90:91], 0
                                        ; implicit-def: $sgpr92_sgpr93
                                        ; implicit-def: $sgpr94_sgpr95
	s_branch .LBB2_1212
.LBB2_1211:                             ;   in Loop: Header=BB2_1212 Depth=4
	s_or_b64 exec, exec, s[34:35]
	s_and_b64 vcc, exec, vcc
	s_or_b64 s[90:91], vcc, s[90:91]
	s_andn2_b64 s[92:93], s[92:93], exec
	s_and_b64 vcc, s[94:95], exec
	s_or_b64 s[92:93], s[92:93], vcc
	s_andn2_b64 exec, exec, s[90:91]
	s_cbranch_execz .LBB2_1216
.LBB2_1212:                             ;   Parent Loop BB2_47 Depth=1
                                        ;     Parent Loop BB2_997 Depth=2
                                        ;       Parent Loop BB2_1178 Depth=3
                                        ; =>      This Inner Loop Header: Depth=4
	s_add_i32 s79, s79, 1
	s_cmpk_lg_i32 s79, 0x2710
	s_cselect_b64 s[30:31], -1, 0
	s_and_b64 vcc, exec, s[30:31]
	s_cbranch_vccz .LBB2_1214
; %bb.1213:                             ;   in Loop: Header=BB2_1212 Depth=4
	s_mov_b64 vcc, -1
	s_or_b64 s[94:95], s[94:95], exec
	s_and_saveexec_b64 s[34:35], s[30:31]
	s_cbranch_execz .LBB2_1211
	s_branch .LBB2_1215
.LBB2_1214:                             ;   in Loop: Header=BB2_1212 Depth=4
	s_trap 2
	ds_read_b64 v[8:9], v0
	s_andn2_b64 s[30:31], s[30:31], exec
	s_mov_b32 s79, 0
	s_waitcnt lgkmcnt(0)
	flat_load_dword v0, v[8:9] glc
	s_waitcnt vmcnt(0) lgkmcnt(0)
	buffer_wbinvl1_vol
	v_cmp_eq_u32_e32 vcc, 0, v0
	s_and_b64 vcc, vcc, exec
	s_or_b64 s[30:31], s[30:31], vcc
	s_mov_b64 vcc, -1
	s_or_b64 s[94:95], s[94:95], exec
	s_and_saveexec_b64 s[34:35], s[30:31]
	s_cbranch_execz .LBB2_1211
.LBB2_1215:                             ;   in Loop: Header=BB2_1212 Depth=4
	s_sleep 1
	s_trap 2
	ds_read_b64 v[8:9], v0
	s_waitcnt lgkmcnt(0)
	s_andn2_b64 s[94:95], s[94:95], exec
	v_cmp_ge_u64_e32 vcc, v[8:9], v[28:29]
	s_orn2_b64 vcc, vcc, exec
	s_branch .LBB2_1211
.LBB2_1216:                             ;   in Loop: Header=BB2_1178 Depth=3
	s_or_b64 exec, exec, s[90:91]
	s_and_saveexec_b64 s[90:91], s[92:93]
	s_xor_b64 s[90:91], exec, s[90:91]
	s_cbranch_execz .LBB2_1218
; %bb.1217:                             ;   in Loop: Header=BB2_1178 Depth=3
	ds_write_b32 v0, v37
	s_trap 2
.LBB2_1218:                             ;   in Loop: Header=BB2_1178 Depth=3
	s_or_b64 exec, exec, s[88:89]
	;;#ASMSTART
	s_wakeup
	;;#ASMEND
.LBB2_1219:                             ;   in Loop: Header=BB2_1178 Depth=3
	s_or_b64 exec, exec, s[44:45]
.LBB2_1220:                             ;   in Loop: Header=BB2_1178 Depth=3
	s_andn2_saveexec_b64 s[42:43], s[42:43]
	s_cbranch_execz .LBB2_1222
; %bb.1221:                             ;   in Loop: Header=BB2_1178 Depth=3
	s_waitcnt vmcnt(0) lgkmcnt(0)
	buffer_wbinvl1_vol
	s_barrier
.LBB2_1222:                             ;   in Loop: Header=BB2_1178 Depth=3
	s_or_b64 exec, exec, s[42:43]
.LBB2_1223:                             ;   in Loop: Header=BB2_1178 Depth=3
	s_or_b64 exec, exec, s[26:27]
	v_and_b32_e32 v0, 16, v62
	s_and_saveexec_b64 s[26:27], s[24:25]
	s_xor_b64 s[26:27], exec, s[26:27]
	s_cbranch_execz .LBB2_1227
; %bb.1224:                             ;   in Loop: Header=BB2_1178 Depth=3
	s_trap 2
	ds_read_b32 v0, v0
	v_cmp_lt_i32_e32 vcc, 0, v12
	v_and_b32_e32 v8, 16, v62
	s_waitcnt lgkmcnt(0)
	v_readfirstlane_b32 s42, v0
	s_cmp_eq_u32 s42, 0
	s_cselect_b64 s[42:43], -1, 0
	s_and_b64 s[42:43], vcc, s[42:43]
	v_cmp_ne_u32_e32 vcc, 0, v8
	v_and_b32_e32 v0, 16, v62
	s_and_b64 s[44:45], vcc, s[42:43]
	s_and_saveexec_b64 s[42:43], s[44:45]
	s_cbranch_execz .LBB2_1226
; %bb.1225:                             ;   in Loop: Header=BB2_1178 Depth=3
	v_mov_b32_e32 v0, 1
	s_waitcnt vmcnt(0)
	buffer_wbinvl1_vol
.LBB2_1226:                             ;   in Loop: Header=BB2_1178 Depth=3
	s_or_b64 exec, exec, s[42:43]
.LBB2_1227:                             ;   in Loop: Header=BB2_1178 Depth=3
	s_andn2_saveexec_b64 s[26:27], s[26:27]
	s_cbranch_execz .LBB2_1246
; %bb.1228:                             ;   in Loop: Header=BB2_1178 Depth=3
	s_and_saveexec_b64 s[42:43], s[60:61]
	s_xor_b64 s[42:43], exec, s[42:43]
	s_cbranch_execz .LBB2_1243
; %bb.1229:                             ;   in Loop: Header=BB2_1178 Depth=3
	s_and_saveexec_b64 s[44:45], s[16:17]
	s_cbranch_execz .LBB2_1242
; %bb.1230:                             ;   in Loop: Header=BB2_1178 Depth=3
	s_mov_b64 s[90:91], exec
	v_mbcnt_lo_u32_b32 v8, s90, 0
	v_mbcnt_hi_u32_b32 v8, s91, v8
	v_cmp_eq_u32_e32 vcc, 0, v8
	;;#ASMSTART
	s_waitcnt lgkmcnt(0) vmcnt(0)
	;;#ASMEND
	s_and_saveexec_b64 s[88:89], vcc
	s_cbranch_execz .LBB2_1232
; %bb.1231:                             ;   in Loop: Header=BB2_1178 Depth=3
	s_bcnt1_i32_b64 s79, s[90:91]
	v_mov_b32_e32 v8, s79
	v_mov_b32_e32 v9, v2
	s_waitcnt lgkmcnt(0)
	ds_add_u64 v0, v[8:9]
	s_trap 2
.LBB2_1232:                             ;   in Loop: Header=BB2_1178 Depth=3
	s_or_b64 exec, exec, s[88:89]
	s_trap 2
	ds_read_b64 v[8:9], v0
	s_waitcnt lgkmcnt(0)
	v_add_co_u32_e32 v28, vcc, v28, v21
	v_addc_co_u32_e32 v29, vcc, 0, v29, vcc
	v_cmp_lt_u64_e32 vcc, v[8:9], v[28:29]
	s_and_saveexec_b64 s[88:89], vcc
	s_cbranch_execz .LBB2_1241
; %bb.1233:                             ;   in Loop: Header=BB2_1178 Depth=3
	s_mov_b32 s79, 0
	s_mov_b64 s[90:91], 0
                                        ; implicit-def: $sgpr92_sgpr93
                                        ; implicit-def: $sgpr94_sgpr95
	s_branch .LBB2_1235
.LBB2_1234:                             ;   in Loop: Header=BB2_1235 Depth=4
	s_or_b64 exec, exec, s[34:35]
	s_and_b64 vcc, exec, vcc
	s_or_b64 s[90:91], vcc, s[90:91]
	s_andn2_b64 s[92:93], s[92:93], exec
	s_and_b64 vcc, s[94:95], exec
	s_or_b64 s[92:93], s[92:93], vcc
	s_andn2_b64 exec, exec, s[90:91]
	s_cbranch_execz .LBB2_1239
.LBB2_1235:                             ;   Parent Loop BB2_47 Depth=1
                                        ;     Parent Loop BB2_997 Depth=2
                                        ;       Parent Loop BB2_1178 Depth=3
                                        ; =>      This Inner Loop Header: Depth=4
	s_add_i32 s79, s79, 1
	s_cmpk_lg_i32 s79, 0x2710
	s_cselect_b64 s[30:31], -1, 0
	s_and_b64 vcc, exec, s[30:31]
	s_cbranch_vccz .LBB2_1237
; %bb.1236:                             ;   in Loop: Header=BB2_1235 Depth=4
	s_mov_b64 vcc, -1
	s_or_b64 s[94:95], s[94:95], exec
	s_and_saveexec_b64 s[34:35], s[30:31]
	s_cbranch_execz .LBB2_1234
	s_branch .LBB2_1238
.LBB2_1237:                             ;   in Loop: Header=BB2_1235 Depth=4
	s_trap 2
	ds_read_b64 v[8:9], v0
	s_andn2_b64 s[30:31], s[30:31], exec
	s_mov_b32 s79, 0
	s_waitcnt vmcnt(0) lgkmcnt(0)
	flat_load_dword v8, v[8:9] glc
	s_waitcnt vmcnt(0) lgkmcnt(0)
	buffer_wbinvl1_vol
	v_cmp_eq_u32_e32 vcc, 0, v8
	s_and_b64 vcc, vcc, exec
	s_or_b64 s[30:31], s[30:31], vcc
	s_mov_b64 vcc, -1
	s_or_b64 s[94:95], s[94:95], exec
	s_and_saveexec_b64 s[34:35], s[30:31]
	s_cbranch_execz .LBB2_1234
.LBB2_1238:                             ;   in Loop: Header=BB2_1235 Depth=4
	s_sleep 1
	s_trap 2
	ds_read_b64 v[8:9], v0
	s_waitcnt lgkmcnt(0)
	s_andn2_b64 s[94:95], s[94:95], exec
	v_cmp_ge_u64_e32 vcc, v[8:9], v[28:29]
	s_orn2_b64 vcc, vcc, exec
	s_branch .LBB2_1234
.LBB2_1239:                             ;   in Loop: Header=BB2_1178 Depth=3
	s_or_b64 exec, exec, s[90:91]
	s_and_saveexec_b64 s[90:91], s[92:93]
	s_xor_b64 s[90:91], exec, s[90:91]
	s_cbranch_execz .LBB2_1241
; %bb.1240:                             ;   in Loop: Header=BB2_1178 Depth=3
	ds_write_b32 v0, v37
	s_trap 2
.LBB2_1241:                             ;   in Loop: Header=BB2_1178 Depth=3
	s_or_b64 exec, exec, s[88:89]
	;;#ASMSTART
	s_wakeup
	;;#ASMEND
.LBB2_1242:                             ;   in Loop: Header=BB2_1178 Depth=3
	s_or_b64 exec, exec, s[44:45]
.LBB2_1243:                             ;   in Loop: Header=BB2_1178 Depth=3
	s_andn2_saveexec_b64 s[42:43], s[42:43]
	s_cbranch_execz .LBB2_1245
; %bb.1244:                             ;   in Loop: Header=BB2_1178 Depth=3
	;;#ASMSTART
	s_waitcnt lgkmcnt(0) vmcnt(0)
	;;#ASMEND
	s_waitcnt vmcnt(0) lgkmcnt(0)
	s_barrier
.LBB2_1245:                             ;   in Loop: Header=BB2_1178 Depth=3
	s_or_b64 exec, exec, s[42:43]
.LBB2_1246:                             ;   in Loop: Header=BB2_1178 Depth=3
	s_or_b64 exec, exec, s[26:27]
	v_cmp_ne_u32_e32 vcc, 0, v0
	s_xor_b64 s[26:27], s[12:13], -1
	s_and_b64 s[42:43], vcc, s[26:27]
	s_and_saveexec_b64 s[26:27], s[42:43]
	s_cbranch_execz .LBB2_1248
; %bb.1247:                             ;   in Loop: Header=BB2_1178 Depth=3
	flat_store_dword v[26:27], v37
.LBB2_1248:                             ;   in Loop: Header=BB2_1178 Depth=3
	s_or_b64 exec, exec, s[26:27]
	v_and_b32_e32 v0, 48, v62
	v_cmp_ne_u32_e32 vcc, 0, v0
	s_and_saveexec_b64 s[26:27], vcc
	s_cbranch_execz .LBB2_1177
; %bb.1249:                             ;   in Loop: Header=BB2_1178 Depth=3
	v_add_co_u32_e32 v50, vcc, 2, v50
	v_addc_co_u32_e32 v51, vcc, 0, v51, vcc
	flat_store_dwordx2 v[22:23], v[50:51]
	s_branch .LBB2_1177
.LBB2_1250:                             ;   in Loop: Header=BB2_997 Depth=2
	s_or_b64 exec, exec, s[44:45]
	s_or_b64 exec, exec, s[42:43]
	v_cmp_gt_i32_e32 vcc, 2, v0
	s_and_saveexec_b64 s[28:29], vcc
	s_cbranch_execnz .LBB2_1176
.LBB2_1251:                             ;   in Loop: Header=BB2_997 Depth=2
	s_or_b64 exec, exec, s[28:29]
	s_add_i32 s26, s58, 1
	s_cmp_eq_u32 s58, s82
	s_cbranch_scc0 .LBB2_1253
	s_branch .LBB2_1254
.LBB2_1252:                             ;   in Loop: Header=BB2_997 Depth=2
	s_or_b64 exec, exec, s[40:41]
	s_or_b64 exec, exec, s[28:29]
	s_add_i32 s26, s58, 1
	s_cmp_eq_u32 s58, s82
	s_cbranch_scc1 .LBB2_1254
.LBB2_1253:                             ;   in Loop: Header=BB2_997 Depth=2
	s_mov_b32 s58, s26
	s_branch .LBB2_997
.LBB2_1254:                             ;   in Loop: Header=BB2_47 Depth=1
	buffer_load_dword v13, off, s[0:3], s33 offset:92 ; 4-byte Folded Reload
	buffer_load_dword v14, off, s[0:3], s33 offset:96 ; 4-byte Folded Reload
	;; [unrolled: 1-line block ×4, first 2 shown]
	s_waitcnt vmcnt(0)
	v_mul_lo_u32 v3, v13, s84
	v_mul_lo_u32 v0, v14, s83
	v_mad_u64_u32 v[9:10], s[26:27], v13, s83, 0
	v_sub_co_u32_e32 v11, vcc, v11, v9
	v_add3_u32 v10, v10, v3, v0
	v_subb_co_u32_e32 v12, vcc, v12, v10, vcc
	v_cmp_lt_i64_e32 vcc, v[13:14], v[11:12]
	v_mov_b32_e32 v0, 0
	v_cndmask_b32_e32 v8, v11, v13, vcc
	v_max_i32_e32 v3, 0, v8
	v_add_u32_e32 v11, 31, v3
	v_lshrrev_b32_e32 v11, 1, v11
	v_and_b32_e32 v11, 0x3ffffff0, v11
	v_cmp_lt_i32_e32 vcc, 0, v8
	v_max_i32_e32 v40, s81, v11
	s_and_b64 s[26:27], s[76:77], vcc
	v_mov_b32_e32 v8, 0
	s_and_saveexec_b64 s[28:29], s[26:27]
	s_cbranch_execz .LBB2_1392
; %bb.1255:                             ;   in Loop: Header=BB2_47 Depth=1
	buffer_load_dword v11, off, s[0:3], s33 offset:60 ; 4-byte Folded Reload
	buffer_load_dword v12, off, s[0:3], s33 offset:64 ; 4-byte Folded Reload
	s_mov_b32 s58, 1
	s_mov_b64 s[42:43], -1
	v_mov_b32_e32 v8, 0
	s_mov_b64 s[40:41], 0
	s_waitcnt vmcnt(0)
	v_add_co_u32_e32 v9, vcc, v9, v11
	v_addc_co_u32_e32 v10, vcc, v10, v12, vcc
	v_lshlrev_b64 v[10:11], 1, v[9:10]
	s_branch .LBB2_1257
.LBB2_1256:                             ;   in Loop: Header=BB2_1257 Depth=2
	s_or_b64 exec, exec, s[26:27]
	v_add_u32_e32 v8, v40, v8
	v_cmp_ge_i32_e32 vcc, v8, v3
	s_xor_b64 s[26:27], s[42:43], -1
	s_or_b64 s[26:27], s[26:27], vcc
	s_and_b64 s[26:27], exec, s[26:27]
	s_or_b64 s[40:41], s[26:27], s[40:41]
	s_mov_b64 s[42:43], 0
	v_mov_b32_e32 v0, s58
	s_mov_b32 s58, 2
	s_andn2_b64 exec, exec, s[40:41]
	s_cbranch_execz .LBB2_1391
.LBB2_1257:                             ;   Parent Loop BB2_47 Depth=1
                                        ; =>  This Loop Header: Depth=2
                                        ;       Child Loop BB2_1265 Depth 3
                                        ;       Child Loop BB2_1289 Depth 3
	;; [unrolled: 1-line block ×9, first 2 shown]
	s_and_saveexec_b64 s[26:27], s[4:5]
	s_cbranch_execz .LBB2_1259
; %bb.1258:                             ;   in Loop: Header=BB2_1257 Depth=2
	s_trap 2
	ds_read_b128 v[12:15], v0
	v_ashrrev_i32_e32 v9, 31, v8
	s_waitcnt lgkmcnt(0)
	v_add_co_u32_e32 v0, vcc, v12, v10
	v_addc_co_u32_e32 v17, vcc, v13, v11, vcc
	v_lshlrev_b64 v[12:13], 1, v[8:9]
	v_add_co_u32_e32 v18, vcc, v0, v12
	v_addc_co_u32_e32 v19, vcc, v17, v13, vcc
	ds_write_b64 v0, v[18:19]
	v_add_co_u32_e32 v0, vcc, v14, v10
	v_addc_co_u32_e32 v9, vcc, v15, v11, vcc
	v_add_co_u32_e32 v0, vcc, v0, v12
	v_addc_co_u32_e32 v9, vcc, v9, v13, vcc
	v_cmp_ne_u64_e32 vcc, 0, v[14:15]
	v_cndmask_b32_e32 v13, 0, v9, vcc
	v_cndmask_b32_e32 v12, 0, v0, vcc
	ds_write_b64 v0, v[12:13]
.LBB2_1259:                             ;   in Loop: Header=BB2_1257 Depth=2
	s_or_b64 exec, exec, s[26:27]
	v_and_b32_e32 v0, 4, v62
	v_cmp_ne_u32_e32 vcc, 0, v0
	s_and_saveexec_b64 s[44:45], vcc
	s_cbranch_execz .LBB2_1281
; %bb.1260:                             ;   in Loop: Header=BB2_1257 Depth=2
	v_add_co_u32_e32 v12, vcc, 2, v50
	v_addc_co_u32_e32 v13, vcc, 0, v51, vcc
	s_waitcnt vmcnt(0) lgkmcnt(0)
	v_cmp_lt_u64_e32 vcc, v[32:33], v[12:13]
	s_and_saveexec_b64 s[88:89], vcc
	s_cbranch_execz .LBB2_1272
; %bb.1261:                             ;   in Loop: Header=BB2_1257 Depth=2
	v_and_b32_e32 v0, 64, v62
	s_mov_b32 s79, 0
	v_cmp_eq_u32_e32 vcc, 0, v0
	s_mov_b64 s[90:91], 0
                                        ; implicit-def: $sgpr92_sgpr93
                                        ; implicit-def: $sgpr94_sgpr95
                                        ; implicit-def: $sgpr30_sgpr31
	s_branch .LBB2_1265
.LBB2_1262:                             ;   in Loop: Header=BB2_1265 Depth=3
	s_waitcnt vmcnt(0) lgkmcnt(0)
	v_cmp_ge_u64_e64 s[26:27], v[32:33], v[12:13]
	s_or_b64 s[38:39], s[38:39], exec
	s_orn2_b64 s[36:37], s[26:27], exec
.LBB2_1263:                             ;   in Loop: Header=BB2_1265 Depth=3
	s_or_b64 exec, exec, s[50:51]
	s_andn2_b64 s[26:27], s[30:31], exec
	s_and_b64 s[30:31], s[38:39], exec
	s_or_b64 s[30:31], s[26:27], s[30:31]
	s_andn2_b64 s[26:27], s[94:95], exec
	s_and_b64 s[94:95], s[36:37], exec
	s_or_b64 s[94:95], s[26:27], s[94:95]
.LBB2_1264:                             ;   in Loop: Header=BB2_1265 Depth=3
	s_or_b64 exec, exec, s[34:35]
	s_and_b64 s[26:27], exec, s[94:95]
	s_or_b64 s[90:91], s[26:27], s[90:91]
	s_andn2_b64 s[26:27], s[92:93], exec
	s_and_b64 s[92:93], s[30:31], exec
	s_or_b64 s[92:93], s[26:27], s[92:93]
	s_andn2_b64 exec, exec, s[90:91]
	s_cbranch_execz .LBB2_1269
.LBB2_1265:                             ;   Parent Loop BB2_47 Depth=1
                                        ;     Parent Loop BB2_1257 Depth=2
                                        ; =>    This Inner Loop Header: Depth=3
	s_sleep 1
	s_waitcnt vmcnt(0) lgkmcnt(0)
	flat_load_dwordx2 v[32:33], v[22:23] glc
	s_or_b64 s[30:31], s[30:31], exec
	s_or_b64 s[94:95], s[94:95], exec
                                        ; implicit-def: $vgpr0
	s_and_saveexec_b64 s[34:35], vcc
	s_cbranch_execz .LBB2_1264
; %bb.1266:                             ;   in Loop: Header=BB2_1265 Depth=3
	s_cmpk_lt_i32 s79, 0x270f
	s_cselect_b64 s[48:49], -1, 0
	s_cmpk_gt_i32 s79, 0x270e
	s_mov_b64 s[36:37], -1
	s_cbranch_scc0 .LBB2_1268
; %bb.1267:                             ;   in Loop: Header=BB2_1265 Depth=3
	s_trap 2
	ds_read_b64 v[14:15], v0
	s_andn2_b64 s[48:49], s[48:49], exec
	s_mov_b32 s79, 0
	s_mov_b64 s[38:39], 0
	s_waitcnt vmcnt(0) lgkmcnt(0)
	flat_load_dword v0, v[14:15] glc
	s_waitcnt vmcnt(0) lgkmcnt(0)
	buffer_wbinvl1_vol
	v_cmp_eq_u32_e64 s[26:27], 0, v0
	s_and_b64 s[26:27], s[26:27], exec
	s_or_b64 s[48:49], s[48:49], s[26:27]
	s_and_saveexec_b64 s[50:51], s[48:49]
	s_cbranch_execz .LBB2_1263
	s_branch .LBB2_1262
.LBB2_1268:                             ;   in Loop: Header=BB2_1265 Depth=3
	s_add_i32 s79, s79, 1
	s_mov_b64 s[38:39], -1
                                        ; implicit-def: $vgpr0
	s_and_saveexec_b64 s[50:51], s[48:49]
	s_cbranch_execz .LBB2_1263
	s_branch .LBB2_1262
.LBB2_1269:                             ;   in Loop: Header=BB2_1257 Depth=2
	s_or_b64 exec, exec, s[90:91]
	s_xor_b64 s[26:27], s[92:93], -1
	s_and_saveexec_b64 s[90:91], s[26:27]
	s_xor_b64 s[26:27], exec, s[90:91]
	s_cbranch_execz .LBB2_1271
; %bb.1270:                             ;   in Loop: Header=BB2_1257 Depth=2
	v_or_b32_e32 v62, 64, v62
	s_waitcnt lgkmcnt(0)
	ds_write_b32 v0, v0
	s_trap 2
.LBB2_1271:                             ;   in Loop: Header=BB2_1257 Depth=2
	s_or_b64 exec, exec, s[26:27]
.LBB2_1272:                             ;   in Loop: Header=BB2_1257 Depth=2
	s_or_b64 exec, exec, s[88:89]
	v_and_b32_e32 v0, 0x100, v62
	v_cmp_ne_u32_e32 vcc, 0, v0
	v_and_b32_e32 v0, 7, v50
	s_mov_b64 s[26:27], -1
	;;#ASMSTART
	s_wakeup
	;;#ASMEND
                                        ; implicit-def: $vgpr14_vgpr15
	s_and_saveexec_b64 s[88:89], vcc
	s_cbranch_execz .LBB2_1276
; %bb.1273:                             ;   in Loop: Header=BB2_1257 Depth=2
	v_mad_u64_u32 v[18:19], s[26:27], v0, 24, v[6:7]
                                        ; implicit-def: $vgpr14_vgpr15
	flat_load_dword v9, v[18:19]
	s_waitcnt vmcnt(0) lgkmcnt(0)
	v_cmp_ne_u32_e32 vcc, 1, v9
	v_cmp_eq_u32_e64 s[26:27], 1, v9
	s_and_saveexec_b64 s[90:91], s[26:27]
	s_cbranch_execz .LBB2_1275
; %bb.1274:                             ;   in Loop: Header=BB2_1257 Depth=2
	flat_load_dword v14, v[18:19] offset:4 glc
	s_waitcnt vmcnt(0) lgkmcnt(0)
	v_ashrrev_i32_e32 v15, 31, v14
	v_lshrrev_b64 v[14:15], 1, v[14:15]
.LBB2_1275:                             ;   in Loop: Header=BB2_1257 Depth=2
	s_or_b64 exec, exec, s[90:91]
	s_orn2_b64 s[26:27], vcc, exec
.LBB2_1276:                             ;   in Loop: Header=BB2_1257 Depth=2
	s_or_b64 exec, exec, s[88:89]
	s_and_saveexec_b64 s[88:89], s[26:27]
; %bb.1277:                             ;   in Loop: Header=BB2_1257 Depth=2
	v_mad_i64_i32 v[14:15], s[26:27], v0, v30, 0
; %bb.1278:                             ;   in Loop: Header=BB2_1257 Depth=2
	s_or_b64 exec, exec, s[88:89]
	v_lshlrev_b64 v[14:15], 1, v[14:15]
	v_add_co_u32_e32 v14, vcc, v24, v14
	v_addc_co_u32_e32 v15, vcc, v25, v15, vcc
	ds_write_b64 v0, v[14:15] offset:720
	v_and_b32_e32 v0, 0x2000, v62
	v_cmp_ne_u32_e32 vcc, 0, v0
	s_and_saveexec_b64 s[26:27], vcc
	s_cbranch_execz .LBB2_1280
; %bb.1279:                             ;   in Loop: Header=BB2_1257 Depth=2
	ds_read_b64 v[14:15], v0 offset:872
	s_waitcnt lgkmcnt(0)
	v_add_co_u32_e32 v14, vcc, 1, v14
	v_addc_co_u32_e32 v15, vcc, 0, v15, vcc
	ds_write_b64 v0, v[14:15] offset:872
.LBB2_1280:                             ;   in Loop: Header=BB2_1257 Depth=2
	s_or_b64 exec, exec, s[26:27]
	v_mov_b32_e32 v51, v13
	v_mov_b32_e32 v50, v12
.LBB2_1281:                             ;   in Loop: Header=BB2_1257 Depth=2
	s_or_b64 exec, exec, s[44:45]
	s_and_saveexec_b64 s[26:27], s[10:11]
	s_cbranch_execz .LBB2_1300
; %bb.1282:                             ;   in Loop: Header=BB2_1257 Depth=2
	s_and_saveexec_b64 s[44:45], s[60:61]
	s_xor_b64 s[44:45], exec, s[44:45]
	s_cbranch_execz .LBB2_1297
; %bb.1283:                             ;   in Loop: Header=BB2_1257 Depth=2
	s_and_saveexec_b64 s[88:89], s[16:17]
	s_cbranch_execz .LBB2_1296
; %bb.1284:                             ;   in Loop: Header=BB2_1257 Depth=2
	s_mov_b64 s[92:93], exec
	v_mbcnt_lo_u32_b32 v0, s92, 0
	v_mbcnt_hi_u32_b32 v0, s93, v0
	v_cmp_eq_u32_e32 vcc, 0, v0
	s_waitcnt vmcnt(0) lgkmcnt(0)
	buffer_wbinvl1_vol
	s_and_saveexec_b64 s[90:91], vcc
	s_cbranch_execz .LBB2_1286
; %bb.1285:                             ;   in Loop: Header=BB2_1257 Depth=2
	s_bcnt1_i32_b64 s79, s[92:93]
	v_mov_b32_e32 v12, s79
	v_mov_b32_e32 v13, v2
	ds_add_u64 v0, v[12:13]
	s_trap 2
.LBB2_1286:                             ;   in Loop: Header=BB2_1257 Depth=2
	s_or_b64 exec, exec, s[90:91]
	s_trap 2
	ds_read_b64 v[12:13], v0
	s_waitcnt lgkmcnt(0)
	v_add_co_u32_e32 v28, vcc, v28, v21
	v_addc_co_u32_e32 v29, vcc, 0, v29, vcc
	v_cmp_lt_u64_e32 vcc, v[12:13], v[28:29]
	s_and_saveexec_b64 s[90:91], vcc
	s_cbranch_execz .LBB2_1295
; %bb.1287:                             ;   in Loop: Header=BB2_1257 Depth=2
	s_mov_b32 s79, 0
	s_mov_b64 s[92:93], 0
                                        ; implicit-def: $sgpr94_sgpr95
                                        ; implicit-def: $sgpr30_sgpr31
	s_branch .LBB2_1289
.LBB2_1288:                             ;   in Loop: Header=BB2_1289 Depth=3
	s_or_b64 exec, exec, s[36:37]
	s_and_b64 vcc, exec, vcc
	s_or_b64 s[92:93], vcc, s[92:93]
	s_andn2_b64 s[94:95], s[94:95], exec
	s_and_b64 vcc, s[30:31], exec
	s_or_b64 s[94:95], s[94:95], vcc
	s_andn2_b64 exec, exec, s[92:93]
	s_cbranch_execz .LBB2_1293
.LBB2_1289:                             ;   Parent Loop BB2_47 Depth=1
                                        ;     Parent Loop BB2_1257 Depth=2
                                        ; =>    This Inner Loop Header: Depth=3
	s_add_i32 s79, s79, 1
	s_cmpk_lg_i32 s79, 0x2710
	s_cselect_b64 s[34:35], -1, 0
	s_and_b64 vcc, exec, s[34:35]
	s_cbranch_vccz .LBB2_1291
; %bb.1290:                             ;   in Loop: Header=BB2_1289 Depth=3
	s_mov_b64 vcc, -1
	s_or_b64 s[30:31], s[30:31], exec
	s_and_saveexec_b64 s[36:37], s[34:35]
	s_cbranch_execz .LBB2_1288
	s_branch .LBB2_1292
.LBB2_1291:                             ;   in Loop: Header=BB2_1289 Depth=3
	s_trap 2
	ds_read_b64 v[12:13], v0
	s_andn2_b64 s[34:35], s[34:35], exec
	s_mov_b32 s79, 0
	s_waitcnt lgkmcnt(0)
	flat_load_dword v0, v[12:13] glc
	s_waitcnt vmcnt(0) lgkmcnt(0)
	buffer_wbinvl1_vol
	v_cmp_eq_u32_e32 vcc, 0, v0
	s_and_b64 vcc, vcc, exec
	s_or_b64 s[34:35], s[34:35], vcc
	s_mov_b64 vcc, -1
	s_or_b64 s[30:31], s[30:31], exec
	s_and_saveexec_b64 s[36:37], s[34:35]
	s_cbranch_execz .LBB2_1288
.LBB2_1292:                             ;   in Loop: Header=BB2_1289 Depth=3
	s_sleep 1
	s_trap 2
	ds_read_b64 v[12:13], v0
	s_waitcnt lgkmcnt(0)
	s_andn2_b64 s[30:31], s[30:31], exec
	v_cmp_ge_u64_e32 vcc, v[12:13], v[28:29]
	s_orn2_b64 vcc, vcc, exec
	s_branch .LBB2_1288
.LBB2_1293:                             ;   in Loop: Header=BB2_1257 Depth=2
	s_or_b64 exec, exec, s[92:93]
	s_and_saveexec_b64 s[92:93], s[94:95]
	s_xor_b64 s[92:93], exec, s[92:93]
	s_cbranch_execz .LBB2_1295
; %bb.1294:                             ;   in Loop: Header=BB2_1257 Depth=2
	ds_write_b32 v0, v37
	s_trap 2
.LBB2_1295:                             ;   in Loop: Header=BB2_1257 Depth=2
	s_or_b64 exec, exec, s[90:91]
	;;#ASMSTART
	s_wakeup
	;;#ASMEND
.LBB2_1296:                             ;   in Loop: Header=BB2_1257 Depth=2
	s_or_b64 exec, exec, s[88:89]
.LBB2_1297:                             ;   in Loop: Header=BB2_1257 Depth=2
	s_andn2_saveexec_b64 s[44:45], s[44:45]
	s_cbranch_execz .LBB2_1299
; %bb.1298:                             ;   in Loop: Header=BB2_1257 Depth=2
	s_waitcnt vmcnt(0) lgkmcnt(0)
	buffer_wbinvl1_vol
	s_barrier
.LBB2_1299:                             ;   in Loop: Header=BB2_1257 Depth=2
	s_or_b64 exec, exec, s[44:45]
.LBB2_1300:                             ;   in Loop: Header=BB2_1257 Depth=2
	s_or_b64 exec, exec, s[26:27]
	s_trap 2
	ds_read_b32 v0, v0
	v_and_b32_e32 v9, 0x4000, v62
	v_cmp_ne_u32_e32 vcc, 0, v9
	s_xor_b64 s[26:27], s[6:7], -1
	s_and_b64 s[44:45], s[26:27], vcc
	s_and_saveexec_b64 s[26:27], s[44:45]
	s_cbranch_execz .LBB2_1319
; %bb.1301:                             ;   in Loop: Header=BB2_1257 Depth=2
	s_and_saveexec_b64 s[44:45], s[60:61]
	s_xor_b64 s[44:45], exec, s[44:45]
	s_cbranch_execz .LBB2_1316
; %bb.1302:                             ;   in Loop: Header=BB2_1257 Depth=2
	s_and_saveexec_b64 s[88:89], s[16:17]
	s_cbranch_execz .LBB2_1315
; %bb.1303:                             ;   in Loop: Header=BB2_1257 Depth=2
	s_mov_b64 s[92:93], exec
	v_mbcnt_lo_u32_b32 v9, s92, 0
	v_mbcnt_hi_u32_b32 v9, s93, v9
	v_cmp_eq_u32_e32 vcc, 0, v9
	s_waitcnt vmcnt(0) lgkmcnt(0)
	buffer_wbinvl1_vol
	s_and_saveexec_b64 s[90:91], vcc
	s_cbranch_execz .LBB2_1305
; %bb.1304:                             ;   in Loop: Header=BB2_1257 Depth=2
	s_bcnt1_i32_b64 s79, s[92:93]
	v_mov_b32_e32 v12, s79
	v_mov_b32_e32 v13, v2
	ds_add_u64 v0, v[12:13]
	s_trap 2
.LBB2_1305:                             ;   in Loop: Header=BB2_1257 Depth=2
	s_or_b64 exec, exec, s[90:91]
	s_trap 2
	ds_read_b64 v[12:13], v0
	s_waitcnt lgkmcnt(0)
	v_add_co_u32_e32 v28, vcc, v28, v21
	v_addc_co_u32_e32 v29, vcc, 0, v29, vcc
	v_cmp_lt_u64_e32 vcc, v[12:13], v[28:29]
	s_and_saveexec_b64 s[90:91], vcc
	s_cbranch_execz .LBB2_1314
; %bb.1306:                             ;   in Loop: Header=BB2_1257 Depth=2
	s_mov_b32 s79, 0
	s_mov_b64 s[92:93], 0
                                        ; implicit-def: $sgpr94_sgpr95
                                        ; implicit-def: $sgpr30_sgpr31
	s_branch .LBB2_1308
.LBB2_1307:                             ;   in Loop: Header=BB2_1308 Depth=3
	s_or_b64 exec, exec, s[36:37]
	s_and_b64 vcc, exec, vcc
	s_or_b64 s[92:93], vcc, s[92:93]
	s_andn2_b64 s[94:95], s[94:95], exec
	s_and_b64 vcc, s[30:31], exec
	s_or_b64 s[94:95], s[94:95], vcc
	s_andn2_b64 exec, exec, s[92:93]
	s_cbranch_execz .LBB2_1312
.LBB2_1308:                             ;   Parent Loop BB2_47 Depth=1
                                        ;     Parent Loop BB2_1257 Depth=2
                                        ; =>    This Inner Loop Header: Depth=3
	s_add_i32 s79, s79, 1
	s_cmpk_lg_i32 s79, 0x2710
	s_cselect_b64 s[34:35], -1, 0
	s_and_b64 vcc, exec, s[34:35]
	s_cbranch_vccz .LBB2_1310
; %bb.1309:                             ;   in Loop: Header=BB2_1308 Depth=3
	s_mov_b64 vcc, -1
	s_or_b64 s[30:31], s[30:31], exec
	s_and_saveexec_b64 s[36:37], s[34:35]
	s_cbranch_execz .LBB2_1307
	s_branch .LBB2_1311
.LBB2_1310:                             ;   in Loop: Header=BB2_1308 Depth=3
	s_trap 2
	ds_read_b64 v[12:13], v0
	s_andn2_b64 s[34:35], s[34:35], exec
	s_mov_b32 s79, 0
	s_waitcnt lgkmcnt(0)
	flat_load_dword v9, v[12:13] glc
	s_waitcnt vmcnt(0) lgkmcnt(0)
	buffer_wbinvl1_vol
	v_cmp_eq_u32_e32 vcc, 0, v9
	s_and_b64 vcc, vcc, exec
	s_or_b64 s[34:35], s[34:35], vcc
	s_mov_b64 vcc, -1
	s_or_b64 s[30:31], s[30:31], exec
	s_and_saveexec_b64 s[36:37], s[34:35]
	s_cbranch_execz .LBB2_1307
.LBB2_1311:                             ;   in Loop: Header=BB2_1308 Depth=3
	s_sleep 1
	s_trap 2
	ds_read_b64 v[12:13], v0
	s_waitcnt lgkmcnt(0)
	s_andn2_b64 s[30:31], s[30:31], exec
	v_cmp_ge_u64_e32 vcc, v[12:13], v[28:29]
	s_orn2_b64 vcc, vcc, exec
	s_branch .LBB2_1307
.LBB2_1312:                             ;   in Loop: Header=BB2_1257 Depth=2
	s_or_b64 exec, exec, s[92:93]
	s_and_saveexec_b64 s[92:93], s[94:95]
	s_xor_b64 s[92:93], exec, s[92:93]
	s_cbranch_execz .LBB2_1314
; %bb.1313:                             ;   in Loop: Header=BB2_1257 Depth=2
	ds_write_b32 v0, v37
	s_trap 2
.LBB2_1314:                             ;   in Loop: Header=BB2_1257 Depth=2
	s_or_b64 exec, exec, s[90:91]
	;;#ASMSTART
	s_wakeup
	;;#ASMEND
.LBB2_1315:                             ;   in Loop: Header=BB2_1257 Depth=2
	s_or_b64 exec, exec, s[88:89]
.LBB2_1316:                             ;   in Loop: Header=BB2_1257 Depth=2
	s_andn2_saveexec_b64 s[44:45], s[44:45]
	s_cbranch_execz .LBB2_1318
; %bb.1317:                             ;   in Loop: Header=BB2_1257 Depth=2
	s_waitcnt vmcnt(0) lgkmcnt(0)
	buffer_wbinvl1_vol
	s_barrier
.LBB2_1318:                             ;   in Loop: Header=BB2_1257 Depth=2
	s_or_b64 exec, exec, s[44:45]
.LBB2_1319:                             ;   in Loop: Header=BB2_1257 Depth=2
	s_or_b64 exec, exec, s[26:27]
	s_trap 2
	s_waitcnt lgkmcnt(0)
	ds_read_b64 v[12:13], v0
	v_sub_u32_e32 v9, v3, v8
	v_min_i32_e32 v40, v40, v9
	s_waitcnt lgkmcnt(0)
	v_cmp_eq_u64_e32 vcc, 0, v[12:13]
	s_cbranch_vccnz .LBB2_1327
; %bb.1320:                             ;   in Loop: Header=BB2_1257 Depth=2
	s_trap 2
	ds_read_b64 v[14:15], v0
	s_waitcnt lgkmcnt(0)
	v_cmp_eq_u64_e32 vcc, 0, v[14:15]
	s_cbranch_vccnz .LBB2_1327
; %bb.1321:                             ;   in Loop: Header=BB2_1257 Depth=2
	s_mov_b64 s[26:27], -1
	s_and_saveexec_b64 s[44:45], s[20:21]
	s_cbranch_execz .LBB2_1323
; %bb.1322:                             ;   in Loop: Header=BB2_1257 Depth=2
	ds_read_b32 v9, v0 offset:720
	s_waitcnt lgkmcnt(0)
	v_and_b32_e32 v9, 15, v9
	v_cmp_eq_u32_e32 vcc, 0, v9
	s_orn2_b64 s[26:27], vcc, exec
.LBB2_1323:                             ;   in Loop: Header=BB2_1257 Depth=2
	s_or_b64 exec, exec, s[44:45]
	s_and_saveexec_b64 s[44:45], s[18:19]
	s_cbranch_execz .LBB2_1325
; %bb.1324:                             ;   in Loop: Header=BB2_1257 Depth=2
	ds_read_b32 v9, v0 offset:784
	s_waitcnt lgkmcnt(0)
	v_and_b32_e32 v9, 15, v9
	v_cmp_eq_u32_e32 vcc, 0, v9
	s_and_b64 s[88:89], s[26:27], vcc
	s_andn2_b64 s[26:27], s[26:27], exec
	s_and_b64 s[88:89], s[88:89], exec
	s_or_b64 s[26:27], s[26:27], s[88:89]
.LBB2_1325:                             ;   in Loop: Header=BB2_1257 Depth=2
	s_or_b64 exec, exec, s[44:45]
	v_cmp_eq_u32_e32 vcc, 0, v0
	s_xor_b64 s[26:27], s[26:27], -1
	v_cndmask_b32_e32 v0, 0, v40, vcc
	v_cndmask_b32_e64 v17, 0, 1, s[26:27]
	v_lshlrev_b32_e32 v9, 1, v0
	s_mov_b64 s[88:89], -1
	v_cmp_ne_u32_e32 vcc, 0, v17
	v_mov_b32_e32 v48, 0
	s_cbranch_vccz .LBB2_1332
; %bb.1326:                             ;   in Loop: Header=BB2_1257 Depth=2
	v_mov_b32_e32 v49, v61
	s_and_saveexec_b64 s[26:27], s[88:89]
	s_cbranch_execnz .LBB2_1343
	s_branch .LBB2_1351
.LBB2_1327:                             ;   in Loop: Header=BB2_1257 Depth=2
	s_mov_b64 s[26:27], 0
	s_and_saveexec_b64 s[44:45], s[10:11]
	s_cbranch_execnz .LBB2_1352
.LBB2_1328:                             ;   in Loop: Header=BB2_1257 Depth=2
	s_or_b64 exec, exec, s[44:45]
	s_and_saveexec_b64 s[44:45], s[24:25]
	s_xor_b64 s[44:45], exec, s[44:45]
	s_cbranch_execz .LBB2_1370
.LBB2_1329:                             ;   in Loop: Header=BB2_1257 Depth=2
	v_and_b32_e32 v0, 16, v62
	v_cmp_ne_u32_e32 vcc, 0, v0
	s_and_b64 s[88:89], vcc, s[26:27]
	s_and_saveexec_b64 s[26:27], s[88:89]
	s_cbranch_execz .LBB2_1331
; %bb.1330:                             ;   in Loop: Header=BB2_1257 Depth=2
	s_waitcnt vmcnt(0) lgkmcnt(0)
	buffer_wbinvl1_vol
.LBB2_1331:                             ;   in Loop: Header=BB2_1257 Depth=2
	s_or_b64 exec, exec, s[26:27]
	s_andn2_saveexec_b64 s[26:27], s[44:45]
	s_cbranch_execz .LBB2_1389
	s_branch .LBB2_1371
.LBB2_1332:                             ;   in Loop: Header=BB2_1257 Depth=2
	v_ashrrev_i32_e32 v17, 31, v9
	v_lshrrev_b32_e32 v17, 21, v17
	v_add_u32_e32 v17, v9, v17
	v_ashrrev_i32_e32 v48, 11, v17
	v_sub_u32_e32 v52, v48, v59
	v_cmp_lt_i32_e32 vcc, 0, v52
	s_and_saveexec_b64 s[26:27], vcc
	s_cbranch_execz .LBB2_1336
; %bb.1333:                             ;   in Loop: Header=BB2_1257 Depth=2
	buffer_load_dword v18, off, s[0:3], s33 offset:108 ; 4-byte Folded Reload
	buffer_load_dword v19, off, s[0:3], s33 offset:112 ; 4-byte Folded Reload
	s_mov_b64 s[44:45], 0
	v_lshlrev_b32_e32 v17, 11, v21
.LBB2_1334:                             ;   Parent Loop BB2_47 Depth=1
                                        ;     Parent Loop BB2_1257 Depth=2
                                        ; =>    This Inner Loop Header: Depth=3
	s_waitcnt vmcnt(0)
	v_add_co_u32_e32 v53, vcc, v12, v18
	v_addc_co_u32_e32 v54, vcc, v13, v19, vcc
	global_load_dwordx4 v[41:44], v[53:54], off glc slc
	s_nop 0
	global_load_dwordx4 v[53:56], v[53:54], off offset:1024 glc slc
	v_add_co_u32_e32 v45, vcc, v14, v18
	v_addc_co_u32_e32 v46, vcc, v15, v19, vcc
	v_add_co_u32_e32 v18, vcc, v18, v17
	v_sub_u32_e32 v52, v52, v21
	v_addc_co_u32_e32 v19, vcc, 0, v19, vcc
	v_cmp_gt_i32_e32 vcc, 1, v52
	s_or_b64 s[44:45], vcc, s[44:45]
	s_waitcnt vmcnt(1)
	global_store_dwordx4 v[45:46], v[41:44], off glc slc
	s_waitcnt vmcnt(1)
	global_store_dwordx4 v[45:46], v[53:56], off offset:1024 glc slc
	s_andn2_b64 exec, exec, s[44:45]
	s_cbranch_execnz .LBB2_1334
; %bb.1335:                             ;   in Loop: Header=BB2_1257 Depth=2
	s_or_b64 exec, exec, s[44:45]
.LBB2_1336:                             ;   in Loop: Header=BB2_1257 Depth=2
	s_or_b64 exec, exec, s[26:27]
	v_lshlrev_b32_e32 v18, 11, v48
	v_cmp_ne_u32_e32 vcc, v9, v18
	s_mov_b64 s[88:89], 0
	v_mov_b32_e32 v48, 0
                                        ; implicit-def: $vgpr49
	s_and_saveexec_b64 s[44:45], vcc
	s_cbranch_execz .LBB2_1342
; %bb.1337:                             ;   in Loop: Header=BB2_1257 Depth=2
	buffer_load_dword v34, off, s[0:3], s33 offset:72 ; 4-byte Folded Reload
	v_lshlrev_b32_e32 v19, 6, v52
	v_sub_u32_e32 v17, v9, v18
	v_ashrrev_i32_e32 v48, 31, v17
	v_lshrrev_b32_e32 v48, 22, v48
	v_add_u32_e32 v48, v17, v48
	v_ashrrev_i32_e32 v54, 10, v48
	v_and_b32_e32 v48, 0xfffffc00, v48
	v_sub_u32_e32 v49, v17, v48
	v_cmp_lt_i32_e32 vcc, 15, v49
	s_waitcnt vmcnt(0)
	v_sub_u32_e32 v19, v34, v19
	v_ashrrev_i32_e32 v34, 31, v19
	v_lshrrev_b32_e32 v34, 26, v34
	v_add_u32_e32 v34, v19, v34
	v_ashrrev_i32_e32 v52, 6, v34
	v_and_b32_e32 v34, 0xffffffc0, v34
	v_sub_u32_e32 v19, v19, v34
	v_lshlrev_b32_e32 v34, 4, v19
	v_lshl_add_u32 v34, v52, 10, v34
	v_sub_u32_e32 v53, v17, v34
	v_addc_co_u32_e64 v17, s[26:27], 0, v54, vcc
	v_sub_u32_e32 v52, v17, v52
	v_cmp_lt_i32_e64 s[26:27], 15, v53
	s_and_saveexec_b64 s[88:89], s[26:27]
	s_cbranch_execz .LBB2_1341
; %bb.1338:                             ;   in Loop: Header=BB2_1257 Depth=2
	v_add_u32_e32 v54, v34, v18
	v_ashrrev_i32_e32 v55, 31, v54
	s_mov_b64 s[90:91], 0
.LBB2_1339:                             ;   Parent Loop BB2_47 Depth=1
                                        ;     Parent Loop BB2_1257 Depth=2
                                        ; =>    This Inner Loop Header: Depth=3
	v_add_co_u32_e64 v41, s[26:27], v12, v54
	v_addc_co_u32_e64 v42, s[26:27], v13, v55, s[26:27]
	global_load_dwordx4 v[41:44], v[41:42], off glc slc
	v_add_co_u32_e64 v45, s[26:27], v14, v54
	v_addc_co_u32_e64 v46, s[26:27], v15, v55, s[26:27]
	v_add_co_u32_e64 v54, s[26:27], v54, v35
	v_sub_u32_e32 v53, v53, v35
	v_addc_co_u32_e64 v55, s[26:27], 0, v55, s[26:27]
	v_cmp_gt_i32_e64 s[26:27], 16, v53
	v_sub_u32_e32 v52, v52, v21
	s_or_b64 s[90:91], s[26:27], s[90:91]
	s_waitcnt vmcnt(0)
	global_store_dwordx4 v[45:46], v[41:44], off glc slc
	s_andn2_b64 exec, exec, s[90:91]
	s_cbranch_execnz .LBB2_1339
; %bb.1340:                             ;   in Loop: Header=BB2_1257 Depth=2
	s_or_b64 exec, exec, s[90:91]
.LBB2_1341:                             ;   in Loop: Header=BB2_1257 Depth=2
	s_or_b64 exec, exec, s[88:89]
	v_and_b32_e32 v9, 14, v9
	v_sub_u32_e32 v17, v49, v9
	v_cndmask_b32_e32 v17, 0, v17, vcc
	v_cndmask_b32_e32 v9, v49, v9, vcc
	v_cmp_lt_i32_e32 vcc, 0, v52
	v_add3_u32 v48, v48, v18, v17
	v_cndmask_b32_e32 v17, 0, v21, vcc
	v_sub_u32_e32 v17, v17, v52
	v_cmp_ne_u32_e32 vcc, 0, v9
	v_lshl_add_u32 v49, v17, 6, v19
	s_and_b64 s[88:89], vcc, exec
.LBB2_1342:                             ;   in Loop: Header=BB2_1257 Depth=2
	s_or_b64 exec, exec, s[44:45]
	s_and_saveexec_b64 s[26:27], s[88:89]
	s_cbranch_execz .LBB2_1351
.LBB2_1343:                             ;   in Loop: Header=BB2_1257 Depth=2
	v_ashrrev_i32_e32 v17, 31, v49
	v_lshrrev_b32_e32 v17, 26, v17
	v_add_u32_e32 v18, v49, v17
	v_ashrrev_i32_e32 v17, 31, v9
	v_lshrrev_b32_e32 v17, 23, v17
	v_add_u32_e32 v17, v9, v17
	v_ashrrev_i32_e32 v54, 6, v18
	v_ashrrev_i32_e32 v41, 9, v17
	v_sub_u32_e32 v55, v41, v54
	v_cmp_lt_i32_e32 vcc, 0, v55
	s_and_saveexec_b64 s[44:45], vcc
	s_cbranch_execz .LBB2_1347
; %bb.1344:                             ;   in Loop: Header=BB2_1257 Depth=2
	v_and_b32_e32 v17, 0x7fffffc0, v18
	v_sub_u32_e32 v17, v49, v17
	v_lshlrev_b32_e32 v17, 1, v17
	v_lshlrev_b32_e32 v18, 9, v54
	v_add3_u32 v42, v17, v48, v18
	v_mov_b32_e32 v19, v15
	v_mov_b32_e32 v53, v13
	v_ashrrev_i32_e32 v43, 31, v42
	s_mov_b64 s[88:89], 0
	v_mov_b32_e32 v18, v14
	v_mov_b32_e32 v52, v12
.LBB2_1345:                             ;   Parent Loop BB2_47 Depth=1
                                        ;     Parent Loop BB2_1257 Depth=2
                                        ; =>    This Inner Loop Header: Depth=3
	v_add_co_u32_e32 v44, vcc, v42, v52
	v_addc_co_u32_e32 v45, vcc, v43, v53, vcc
	flat_load_ushort v17, v[44:45] glc slc
	flat_load_ushort v34, v[44:45] offset:128 glc slc
	flat_load_ushort v46, v[44:45] offset:256 glc slc
	;; [unrolled: 1-line block ×3, first 2 shown]
	v_add_co_u32_e32 v44, vcc, v42, v18
	v_addc_co_u32_e32 v45, vcc, v43, v19, vcc
	v_add_co_u32_e32 v52, vcc, v52, v16
	v_addc_co_u32_e32 v53, vcc, 0, v53, vcc
	v_add_co_u32_e32 v18, vcc, v18, v16
	v_sub_u32_e32 v55, v55, v21
	v_addc_co_u32_e32 v19, vcc, 0, v19, vcc
	v_cmp_gt_i32_e32 vcc, 1, v55
	s_or_b64 s[88:89], vcc, s[88:89]
	s_waitcnt vmcnt(0) lgkmcnt(0)
	flat_store_short v[44:45], v17 glc slc
	flat_store_short v[44:45], v34 offset:128 glc slc
	flat_store_short v[44:45], v46 offset:256 glc slc
	;; [unrolled: 1-line block ×3, first 2 shown]
	s_andn2_b64 exec, exec, s[88:89]
	s_cbranch_execnz .LBB2_1345
; %bb.1346:                             ;   in Loop: Header=BB2_1257 Depth=2
	s_or_b64 exec, exec, s[88:89]
.LBB2_1347:                             ;   in Loop: Header=BB2_1257 Depth=2
	s_or_b64 exec, exec, s[44:45]
	v_lshlrev_b32_e32 v18, 9, v41
	v_cmp_ne_u32_e32 vcc, v9, v18
	s_and_b64 exec, exec, vcc
	s_cbranch_execz .LBB2_1351
; %bb.1348:                             ;   in Loop: Header=BB2_1257 Depth=2
	v_lshlrev_b32_e32 v17, 6, v54
	v_sub_u32_e32 v17, v49, v17
	v_lshlrev_b32_e32 v19, 6, v55
	v_sub_u32_e32 v17, v17, v19
	v_ashrrev_i32_e32 v19, 31, v17
	v_lshrrev_b32_e32 v19, 26, v19
	v_add_u32_e32 v19, v17, v19
	v_and_b32_e32 v34, 0x7fffffc0, v19
	v_sub_u32_e32 v17, v17, v34
	v_lshlrev_b32_e32 v19, 1, v19
	v_and_b32_e32 v19, 0xffffff80, v19
	v_lshlrev_b32_e32 v17, 1, v17
	v_add3_u32 v18, v19, v17, v18
	v_sub_u32_e32 v9, v9, v18
	v_cmp_lt_i32_e32 vcc, 1, v9
	s_and_b64 exec, exec, vcc
	s_cbranch_execz .LBB2_1351
; %bb.1349:                             ;   in Loop: Header=BB2_1257 Depth=2
	v_add_u32_e32 v18, v18, v48
	v_ashrrev_i32_e32 v19, 31, v18
	s_mov_b64 s[44:45], 0
.LBB2_1350:                             ;   Parent Loop BB2_47 Depth=1
                                        ;     Parent Loop BB2_1257 Depth=2
                                        ; =>    This Inner Loop Header: Depth=3
	v_add_co_u32_e32 v48, vcc, v12, v18
	v_addc_co_u32_e32 v49, vcc, v13, v19, vcc
	flat_load_ushort v17, v[48:49] glc slc
	v_add_co_u32_e32 v48, vcc, v14, v18
	v_addc_co_u32_e32 v49, vcc, v15, v19, vcc
	v_add_co_u32_e32 v18, vcc, v18, v31
	v_sub_u32_e32 v9, v9, v31
	v_addc_co_u32_e32 v19, vcc, 0, v19, vcc
	v_cmp_gt_i32_e32 vcc, 2, v9
	s_or_b64 s[44:45], vcc, s[44:45]
	s_waitcnt vmcnt(0) lgkmcnt(0)
	flat_store_short v[48:49], v17 glc slc
	s_andn2_b64 exec, exec, s[44:45]
	s_cbranch_execnz .LBB2_1350
.LBB2_1351:                             ;   in Loop: Header=BB2_1257 Depth=2
	s_or_b64 exec, exec, s[26:27]
	v_cmp_lt_i32_e64 s[26:27], 0, v0
	s_and_saveexec_b64 s[44:45], s[10:11]
	s_cbranch_execz .LBB2_1328
.LBB2_1352:                             ;   in Loop: Header=BB2_1257 Depth=2
	s_and_saveexec_b64 s[88:89], s[60:61]
	s_xor_b64 s[88:89], exec, s[88:89]
	s_cbranch_execz .LBB2_1367
; %bb.1353:                             ;   in Loop: Header=BB2_1257 Depth=2
	s_and_saveexec_b64 s[90:91], s[16:17]
	s_cbranch_execz .LBB2_1366
; %bb.1354:                             ;   in Loop: Header=BB2_1257 Depth=2
	s_mov_b64 s[94:95], exec
	v_mbcnt_lo_u32_b32 v0, s94, 0
	v_mbcnt_hi_u32_b32 v0, s95, v0
	v_cmp_eq_u32_e32 vcc, 0, v0
	s_waitcnt vmcnt(0) lgkmcnt(0)
	buffer_wbinvl1_vol
	s_and_saveexec_b64 s[92:93], vcc
	s_cbranch_execz .LBB2_1356
; %bb.1355:                             ;   in Loop: Header=BB2_1257 Depth=2
	s_bcnt1_i32_b64 s79, s[94:95]
	v_mov_b32_e32 v12, s79
	v_mov_b32_e32 v13, v2
	ds_add_u64 v0, v[12:13]
	s_trap 2
.LBB2_1356:                             ;   in Loop: Header=BB2_1257 Depth=2
	s_or_b64 exec, exec, s[92:93]
	s_trap 2
	ds_read_b64 v[12:13], v0
	s_waitcnt lgkmcnt(0)
	v_add_co_u32_e32 v28, vcc, v28, v21
	v_addc_co_u32_e32 v29, vcc, 0, v29, vcc
	v_cmp_lt_u64_e32 vcc, v[12:13], v[28:29]
	s_and_saveexec_b64 s[92:93], vcc
	s_cbranch_execz .LBB2_1365
; %bb.1357:                             ;   in Loop: Header=BB2_1257 Depth=2
	s_mov_b32 s79, 0
	s_mov_b64 s[94:95], 0
                                        ; implicit-def: $sgpr30_sgpr31
                                        ; implicit-def: $sgpr34_sgpr35
	s_branch .LBB2_1359
.LBB2_1358:                             ;   in Loop: Header=BB2_1359 Depth=3
	s_or_b64 exec, exec, s[38:39]
	s_and_b64 vcc, exec, vcc
	s_or_b64 s[94:95], vcc, s[94:95]
	s_andn2_b64 vcc, s[30:31], exec
	s_and_b64 s[30:31], s[34:35], exec
	s_or_b64 s[30:31], vcc, s[30:31]
	s_andn2_b64 exec, exec, s[94:95]
	s_cbranch_execz .LBB2_1363
.LBB2_1359:                             ;   Parent Loop BB2_47 Depth=1
                                        ;     Parent Loop BB2_1257 Depth=2
                                        ; =>    This Inner Loop Header: Depth=3
	s_add_i32 s79, s79, 1
	s_cmpk_lg_i32 s79, 0x2710
	s_cselect_b64 s[36:37], -1, 0
	s_and_b64 vcc, exec, s[36:37]
	s_cbranch_vccz .LBB2_1361
; %bb.1360:                             ;   in Loop: Header=BB2_1359 Depth=3
	s_mov_b64 vcc, -1
	s_or_b64 s[34:35], s[34:35], exec
	s_and_saveexec_b64 s[38:39], s[36:37]
	s_cbranch_execz .LBB2_1358
	s_branch .LBB2_1362
.LBB2_1361:                             ;   in Loop: Header=BB2_1359 Depth=3
	s_trap 2
	ds_read_b64 v[12:13], v0
	s_andn2_b64 s[36:37], s[36:37], exec
	s_mov_b32 s79, 0
	s_waitcnt lgkmcnt(0)
	flat_load_dword v0, v[12:13] glc
	s_waitcnt vmcnt(0) lgkmcnt(0)
	buffer_wbinvl1_vol
	v_cmp_eq_u32_e32 vcc, 0, v0
	s_and_b64 vcc, vcc, exec
	s_or_b64 s[36:37], s[36:37], vcc
	s_mov_b64 vcc, -1
	s_or_b64 s[34:35], s[34:35], exec
	s_and_saveexec_b64 s[38:39], s[36:37]
	s_cbranch_execz .LBB2_1358
.LBB2_1362:                             ;   in Loop: Header=BB2_1359 Depth=3
	s_sleep 1
	s_trap 2
	ds_read_b64 v[12:13], v0
	s_waitcnt lgkmcnt(0)
	s_andn2_b64 s[34:35], s[34:35], exec
	v_cmp_ge_u64_e32 vcc, v[12:13], v[28:29]
	s_orn2_b64 vcc, vcc, exec
	s_branch .LBB2_1358
.LBB2_1363:                             ;   in Loop: Header=BB2_1257 Depth=2
	s_or_b64 exec, exec, s[94:95]
	s_and_saveexec_b64 s[94:95], s[30:31]
	s_xor_b64 s[94:95], exec, s[94:95]
	s_cbranch_execz .LBB2_1365
; %bb.1364:                             ;   in Loop: Header=BB2_1257 Depth=2
	ds_write_b32 v0, v37
	s_trap 2
.LBB2_1365:                             ;   in Loop: Header=BB2_1257 Depth=2
	s_or_b64 exec, exec, s[92:93]
	;;#ASMSTART
	s_wakeup
	;;#ASMEND
.LBB2_1366:                             ;   in Loop: Header=BB2_1257 Depth=2
	s_or_b64 exec, exec, s[90:91]
.LBB2_1367:                             ;   in Loop: Header=BB2_1257 Depth=2
	s_andn2_saveexec_b64 s[88:89], s[88:89]
	s_cbranch_execz .LBB2_1369
; %bb.1368:                             ;   in Loop: Header=BB2_1257 Depth=2
	s_waitcnt vmcnt(0) lgkmcnt(0)
	buffer_wbinvl1_vol
	s_barrier
.LBB2_1369:                             ;   in Loop: Header=BB2_1257 Depth=2
	s_or_b64 exec, exec, s[88:89]
	s_or_b64 exec, exec, s[44:45]
	s_and_saveexec_b64 s[44:45], s[24:25]
	s_xor_b64 s[44:45], exec, s[44:45]
	s_cbranch_execnz .LBB2_1329
.LBB2_1370:                             ;   in Loop: Header=BB2_1257 Depth=2
	s_andn2_saveexec_b64 s[26:27], s[44:45]
	s_cbranch_execz .LBB2_1389
.LBB2_1371:                             ;   in Loop: Header=BB2_1257 Depth=2
	s_and_saveexec_b64 s[44:45], s[60:61]
	s_xor_b64 s[44:45], exec, s[44:45]
	s_cbranch_execz .LBB2_1386
; %bb.1372:                             ;   in Loop: Header=BB2_1257 Depth=2
	s_and_saveexec_b64 s[88:89], s[16:17]
	s_cbranch_execz .LBB2_1385
; %bb.1373:                             ;   in Loop: Header=BB2_1257 Depth=2
	s_mov_b64 s[92:93], exec
	v_mbcnt_lo_u32_b32 v0, s92, 0
	v_mbcnt_hi_u32_b32 v0, s93, v0
	v_cmp_eq_u32_e32 vcc, 0, v0
	;;#ASMSTART
	s_waitcnt lgkmcnt(0) vmcnt(0)
	;;#ASMEND
	s_and_saveexec_b64 s[90:91], vcc
	s_cbranch_execz .LBB2_1375
; %bb.1374:                             ;   in Loop: Header=BB2_1257 Depth=2
	s_bcnt1_i32_b64 s79, s[92:93]
	v_mov_b32_e32 v12, s79
	v_mov_b32_e32 v13, v2
	s_waitcnt lgkmcnt(0)
	ds_add_u64 v0, v[12:13]
	s_trap 2
.LBB2_1375:                             ;   in Loop: Header=BB2_1257 Depth=2
	s_or_b64 exec, exec, s[90:91]
	s_trap 2
	ds_read_b64 v[12:13], v0
	s_waitcnt lgkmcnt(0)
	v_add_co_u32_e32 v28, vcc, v28, v21
	v_addc_co_u32_e32 v29, vcc, 0, v29, vcc
	v_cmp_lt_u64_e32 vcc, v[12:13], v[28:29]
	s_and_saveexec_b64 s[90:91], vcc
	s_cbranch_execz .LBB2_1384
; %bb.1376:                             ;   in Loop: Header=BB2_1257 Depth=2
	s_mov_b32 s79, 0
	s_mov_b64 s[92:93], 0
                                        ; implicit-def: $sgpr94_sgpr95
                                        ; implicit-def: $sgpr30_sgpr31
	s_branch .LBB2_1378
.LBB2_1377:                             ;   in Loop: Header=BB2_1378 Depth=3
	s_or_b64 exec, exec, s[36:37]
	s_and_b64 vcc, exec, vcc
	s_or_b64 s[92:93], vcc, s[92:93]
	s_andn2_b64 s[94:95], s[94:95], exec
	s_and_b64 vcc, s[30:31], exec
	s_or_b64 s[94:95], s[94:95], vcc
	s_andn2_b64 exec, exec, s[92:93]
	s_cbranch_execz .LBB2_1382
.LBB2_1378:                             ;   Parent Loop BB2_47 Depth=1
                                        ;     Parent Loop BB2_1257 Depth=2
                                        ; =>    This Inner Loop Header: Depth=3
	s_add_i32 s79, s79, 1
	s_cmpk_lg_i32 s79, 0x2710
	s_cselect_b64 s[34:35], -1, 0
	s_and_b64 vcc, exec, s[34:35]
	s_cbranch_vccz .LBB2_1380
; %bb.1379:                             ;   in Loop: Header=BB2_1378 Depth=3
	s_mov_b64 vcc, -1
	s_or_b64 s[30:31], s[30:31], exec
	s_and_saveexec_b64 s[36:37], s[34:35]
	s_cbranch_execz .LBB2_1377
	s_branch .LBB2_1381
.LBB2_1380:                             ;   in Loop: Header=BB2_1378 Depth=3
	s_trap 2
	ds_read_b64 v[12:13], v0
	s_andn2_b64 s[34:35], s[34:35], exec
	s_mov_b32 s79, 0
	s_waitcnt vmcnt(0) lgkmcnt(0)
	flat_load_dword v0, v[12:13] glc
	s_waitcnt vmcnt(0) lgkmcnt(0)
	buffer_wbinvl1_vol
	v_cmp_eq_u32_e32 vcc, 0, v0
	s_and_b64 vcc, vcc, exec
	s_or_b64 s[34:35], s[34:35], vcc
	s_mov_b64 vcc, -1
	s_or_b64 s[30:31], s[30:31], exec
	s_and_saveexec_b64 s[36:37], s[34:35]
	s_cbranch_execz .LBB2_1377
.LBB2_1381:                             ;   in Loop: Header=BB2_1378 Depth=3
	s_sleep 1
	s_trap 2
	ds_read_b64 v[12:13], v0
	s_waitcnt lgkmcnt(0)
	s_andn2_b64 s[30:31], s[30:31], exec
	v_cmp_ge_u64_e32 vcc, v[12:13], v[28:29]
	s_orn2_b64 vcc, vcc, exec
	s_branch .LBB2_1377
.LBB2_1382:                             ;   in Loop: Header=BB2_1257 Depth=2
	s_or_b64 exec, exec, s[92:93]
	s_and_saveexec_b64 s[92:93], s[94:95]
	s_xor_b64 s[92:93], exec, s[92:93]
	s_cbranch_execz .LBB2_1384
; %bb.1383:                             ;   in Loop: Header=BB2_1257 Depth=2
	ds_write_b32 v0, v37
	s_trap 2
.LBB2_1384:                             ;   in Loop: Header=BB2_1257 Depth=2
	s_or_b64 exec, exec, s[90:91]
	;;#ASMSTART
	s_wakeup
	;;#ASMEND
.LBB2_1385:                             ;   in Loop: Header=BB2_1257 Depth=2
	s_or_b64 exec, exec, s[88:89]
.LBB2_1386:                             ;   in Loop: Header=BB2_1257 Depth=2
	s_andn2_saveexec_b64 s[44:45], s[44:45]
	s_cbranch_execz .LBB2_1388
; %bb.1387:                             ;   in Loop: Header=BB2_1257 Depth=2
	;;#ASMSTART
	s_waitcnt lgkmcnt(0) vmcnt(0)
	;;#ASMEND
	s_waitcnt vmcnt(0) lgkmcnt(0)
	s_barrier
.LBB2_1388:                             ;   in Loop: Header=BB2_1257 Depth=2
	s_or_b64 exec, exec, s[44:45]
.LBB2_1389:                             ;   in Loop: Header=BB2_1257 Depth=2
	s_or_b64 exec, exec, s[26:27]
	v_and_b32_e32 v0, 32, v62
	v_cmp_ne_u32_e32 vcc, 0, v0
	s_and_saveexec_b64 s[26:27], vcc
	s_cbranch_execz .LBB2_1256
; %bb.1390:                             ;   in Loop: Header=BB2_1257 Depth=2
	v_add_co_u32_e32 v50, vcc, 2, v50
	v_addc_co_u32_e32 v51, vcc, 0, v51, vcc
	flat_store_dwordx2 v[22:23], v[50:51]
	s_branch .LBB2_1256
.LBB2_1391:                             ;   in Loop: Header=BB2_47 Depth=1
	s_or_b64 exec, exec, s[40:41]
.LBB2_1392:                             ;   in Loop: Header=BB2_47 Depth=1
	s_or_b64 exec, exec, s[28:29]
	v_cmp_gt_i32_e32 vcc, 2, v0
	s_and_saveexec_b64 s[28:29], vcc
	s_cbranch_execz .LBB2_46
; %bb.1393:                             ;   in Loop: Header=BB2_47 Depth=1
	v_cmp_eq_u32_e64 s[42:43], 0, v0
	s_mov_b64 s[40:41], 0
	s_branch .LBB2_1395
.LBB2_1394:                             ;   in Loop: Header=BB2_1395 Depth=2
	s_or_b64 exec, exec, s[26:27]
	v_add_u32_e32 v8, v40, v8
	s_mov_b64 s[42:43], 0
	s_andn2_b64 exec, exec, s[40:41]
	s_cbranch_execz .LBB2_45
.LBB2_1395:                             ;   Parent Loop BB2_47 Depth=1
                                        ; =>  This Loop Header: Depth=2
                                        ;       Child Loop BB2_1401 Depth 3
                                        ;       Child Loop BB2_1425 Depth 3
	;; [unrolled: 1-line block ×3, first 2 shown]
	v_and_b32_e32 v0, 4, v62
	v_cmp_ne_u32_e32 vcc, 0, v0
	s_and_saveexec_b64 s[44:45], vcc
	s_cbranch_execz .LBB2_1417
; %bb.1396:                             ;   in Loop: Header=BB2_1395 Depth=2
	v_add_co_u32_e32 v9, vcc, 2, v50
	v_addc_co_u32_e32 v10, vcc, 0, v51, vcc
	s_waitcnt vmcnt(0) lgkmcnt(0)
	v_cmp_lt_u64_e32 vcc, v[32:33], v[9:10]
	s_and_saveexec_b64 s[88:89], vcc
	s_cbranch_execz .LBB2_1408
; %bb.1397:                             ;   in Loop: Header=BB2_1395 Depth=2
	v_and_b32_e32 v0, 64, v62
	s_mov_b32 s58, 0
	v_cmp_eq_u32_e32 vcc, 0, v0
	s_mov_b64 s[90:91], 0
                                        ; implicit-def: $sgpr92_sgpr93
                                        ; implicit-def: $sgpr94_sgpr95
                                        ; implicit-def: $sgpr30_sgpr31
	s_branch .LBB2_1401
.LBB2_1398:                             ;   in Loop: Header=BB2_1401 Depth=3
	s_waitcnt vmcnt(0) lgkmcnt(0)
	v_cmp_ge_u64_e64 s[26:27], v[32:33], v[9:10]
	s_or_b64 s[38:39], s[38:39], exec
	s_orn2_b64 s[36:37], s[26:27], exec
.LBB2_1399:                             ;   in Loop: Header=BB2_1401 Depth=3
	s_or_b64 exec, exec, s[50:51]
	s_andn2_b64 s[26:27], s[30:31], exec
	s_and_b64 s[30:31], s[38:39], exec
	s_or_b64 s[30:31], s[26:27], s[30:31]
	s_andn2_b64 s[26:27], s[94:95], exec
	s_and_b64 s[94:95], s[36:37], exec
	s_or_b64 s[94:95], s[26:27], s[94:95]
.LBB2_1400:                             ;   in Loop: Header=BB2_1401 Depth=3
	s_or_b64 exec, exec, s[34:35]
	s_and_b64 s[26:27], exec, s[94:95]
	s_or_b64 s[90:91], s[26:27], s[90:91]
	s_andn2_b64 s[26:27], s[92:93], exec
	s_and_b64 s[92:93], s[30:31], exec
	s_or_b64 s[92:93], s[26:27], s[92:93]
	s_andn2_b64 exec, exec, s[90:91]
	s_cbranch_execz .LBB2_1405
.LBB2_1401:                             ;   Parent Loop BB2_47 Depth=1
                                        ;     Parent Loop BB2_1395 Depth=2
                                        ; =>    This Inner Loop Header: Depth=3
	s_sleep 1
	s_waitcnt vmcnt(0) lgkmcnt(0)
	flat_load_dwordx2 v[32:33], v[22:23] glc
	s_or_b64 s[30:31], s[30:31], exec
	s_or_b64 s[94:95], s[94:95], exec
                                        ; implicit-def: $vgpr0
	s_and_saveexec_b64 s[34:35], vcc
	s_cbranch_execz .LBB2_1400
; %bb.1402:                             ;   in Loop: Header=BB2_1401 Depth=3
	s_cmpk_lt_i32 s58, 0x270f
	s_cselect_b64 s[48:49], -1, 0
	s_cmpk_gt_i32 s58, 0x270e
	s_mov_b64 s[36:37], -1
	s_cbranch_scc0 .LBB2_1404
; %bb.1403:                             ;   in Loop: Header=BB2_1401 Depth=3
	s_trap 2
	ds_read_b64 v[11:12], v0
	s_andn2_b64 s[48:49], s[48:49], exec
	s_mov_b32 s58, 0
	s_mov_b64 s[38:39], 0
	s_waitcnt vmcnt(0) lgkmcnt(0)
	flat_load_dword v0, v[11:12] glc
	s_waitcnt vmcnt(0) lgkmcnt(0)
	buffer_wbinvl1_vol
	v_cmp_eq_u32_e64 s[26:27], 0, v0
	s_and_b64 s[26:27], s[26:27], exec
	s_or_b64 s[48:49], s[48:49], s[26:27]
	s_and_saveexec_b64 s[50:51], s[48:49]
	s_cbranch_execz .LBB2_1399
	s_branch .LBB2_1398
.LBB2_1404:                             ;   in Loop: Header=BB2_1401 Depth=3
	s_add_i32 s58, s58, 1
	s_mov_b64 s[38:39], -1
                                        ; implicit-def: $vgpr0
	s_and_saveexec_b64 s[50:51], s[48:49]
	s_cbranch_execz .LBB2_1399
	s_branch .LBB2_1398
.LBB2_1405:                             ;   in Loop: Header=BB2_1395 Depth=2
	s_or_b64 exec, exec, s[90:91]
	s_xor_b64 s[26:27], s[92:93], -1
	s_and_saveexec_b64 s[90:91], s[26:27]
	s_xor_b64 s[26:27], exec, s[90:91]
	s_cbranch_execz .LBB2_1407
; %bb.1406:                             ;   in Loop: Header=BB2_1395 Depth=2
	v_or_b32_e32 v62, 64, v62
	s_waitcnt lgkmcnt(0)
	ds_write_b32 v0, v0
	s_trap 2
.LBB2_1407:                             ;   in Loop: Header=BB2_1395 Depth=2
	s_or_b64 exec, exec, s[26:27]
.LBB2_1408:                             ;   in Loop: Header=BB2_1395 Depth=2
	s_or_b64 exec, exec, s[88:89]
	v_and_b32_e32 v0, 0x100, v62
	v_cmp_ne_u32_e32 vcc, 0, v0
	v_and_b32_e32 v0, 7, v50
	s_mov_b64 s[26:27], -1
	;;#ASMSTART
	s_wakeup
	;;#ASMEND
                                        ; implicit-def: $vgpr11_vgpr12
	s_and_saveexec_b64 s[88:89], vcc
	s_cbranch_execz .LBB2_1412
; %bb.1409:                             ;   in Loop: Header=BB2_1395 Depth=2
	v_mad_u64_u32 v[13:14], s[26:27], v0, 24, v[6:7]
	flat_load_dword v11, v[13:14]
	s_waitcnt vmcnt(0) lgkmcnt(0)
	v_cmp_ne_u32_e32 vcc, 1, v11
	v_cmp_eq_u32_e64 s[26:27], 1, v11
                                        ; implicit-def: $vgpr11_vgpr12
	s_and_saveexec_b64 s[90:91], s[26:27]
	s_cbranch_execz .LBB2_1411
; %bb.1410:                             ;   in Loop: Header=BB2_1395 Depth=2
	flat_load_dword v11, v[13:14] offset:4 glc
	s_waitcnt vmcnt(0) lgkmcnt(0)
	v_ashrrev_i32_e32 v12, 31, v11
	v_lshrrev_b64 v[11:12], 1, v[11:12]
.LBB2_1411:                             ;   in Loop: Header=BB2_1395 Depth=2
	s_or_b64 exec, exec, s[90:91]
	s_orn2_b64 s[26:27], vcc, exec
.LBB2_1412:                             ;   in Loop: Header=BB2_1395 Depth=2
	s_or_b64 exec, exec, s[88:89]
	s_and_saveexec_b64 s[88:89], s[26:27]
; %bb.1413:                             ;   in Loop: Header=BB2_1395 Depth=2
	v_mad_i64_i32 v[11:12], s[26:27], v0, v30, 0
; %bb.1414:                             ;   in Loop: Header=BB2_1395 Depth=2
	s_or_b64 exec, exec, s[88:89]
	v_lshlrev_b64 v[11:12], 1, v[11:12]
	v_add_co_u32_e32 v11, vcc, v24, v11
	v_addc_co_u32_e32 v12, vcc, v25, v12, vcc
	ds_write_b64 v0, v[11:12] offset:720
	v_and_b32_e32 v0, 0x2000, v62
	v_cmp_ne_u32_e32 vcc, 0, v0
	s_and_saveexec_b64 s[26:27], vcc
	s_cbranch_execz .LBB2_1416
; %bb.1415:                             ;   in Loop: Header=BB2_1395 Depth=2
	ds_read_b64 v[11:12], v0 offset:872
	s_waitcnt lgkmcnt(0)
	v_add_co_u32_e32 v11, vcc, 1, v11
	v_addc_co_u32_e32 v12, vcc, 0, v12, vcc
	ds_write_b64 v0, v[11:12] offset:872
.LBB2_1416:                             ;   in Loop: Header=BB2_1395 Depth=2
	s_or_b64 exec, exec, s[26:27]
	v_mov_b32_e32 v51, v10
	v_mov_b32_e32 v50, v9
.LBB2_1417:                             ;   in Loop: Header=BB2_1395 Depth=2
	s_or_b64 exec, exec, s[44:45]
	s_xor_b64 s[26:27], s[42:43], -1
	s_and_b64 s[26:27], exec, s[26:27]
	s_or_b64 s[40:41], s[26:27], s[40:41]
	s_and_saveexec_b64 s[26:27], s[10:11]
	s_cbranch_execz .LBB2_1436
; %bb.1418:                             ;   in Loop: Header=BB2_1395 Depth=2
	s_and_saveexec_b64 s[42:43], s[60:61]
	s_xor_b64 s[42:43], exec, s[42:43]
	s_cbranch_execz .LBB2_1433
; %bb.1419:                             ;   in Loop: Header=BB2_1395 Depth=2
	s_and_saveexec_b64 s[44:45], s[16:17]
	s_cbranch_execz .LBB2_1432
; %bb.1420:                             ;   in Loop: Header=BB2_1395 Depth=2
	s_mov_b64 s[90:91], exec
	v_mbcnt_lo_u32_b32 v0, s90, 0
	v_mbcnt_hi_u32_b32 v0, s91, v0
	v_cmp_eq_u32_e32 vcc, 0, v0
	s_waitcnt vmcnt(0) lgkmcnt(0)
	buffer_wbinvl1_vol
	s_and_saveexec_b64 s[88:89], vcc
	s_cbranch_execz .LBB2_1422
; %bb.1421:                             ;   in Loop: Header=BB2_1395 Depth=2
	s_bcnt1_i32_b64 s58, s[90:91]
	v_mov_b32_e32 v9, s58
	v_mov_b32_e32 v10, v2
	ds_add_u64 v0, v[9:10]
	s_trap 2
.LBB2_1422:                             ;   in Loop: Header=BB2_1395 Depth=2
	s_or_b64 exec, exec, s[88:89]
	s_trap 2
	ds_read_b64 v[9:10], v0
	s_waitcnt lgkmcnt(0)
	v_add_co_u32_e32 v28, vcc, v28, v21
	v_addc_co_u32_e32 v29, vcc, 0, v29, vcc
	v_cmp_lt_u64_e32 vcc, v[9:10], v[28:29]
	s_and_saveexec_b64 s[88:89], vcc
	s_cbranch_execz .LBB2_1431
; %bb.1423:                             ;   in Loop: Header=BB2_1395 Depth=2
	s_mov_b32 s58, 0
	s_mov_b64 s[90:91], 0
                                        ; implicit-def: $sgpr92_sgpr93
                                        ; implicit-def: $sgpr94_sgpr95
	s_branch .LBB2_1425
.LBB2_1424:                             ;   in Loop: Header=BB2_1425 Depth=3
	s_or_b64 exec, exec, s[34:35]
	s_and_b64 vcc, exec, vcc
	s_or_b64 s[90:91], vcc, s[90:91]
	s_andn2_b64 s[92:93], s[92:93], exec
	s_and_b64 vcc, s[94:95], exec
	s_or_b64 s[92:93], s[92:93], vcc
	s_andn2_b64 exec, exec, s[90:91]
	s_cbranch_execz .LBB2_1429
.LBB2_1425:                             ;   Parent Loop BB2_47 Depth=1
                                        ;     Parent Loop BB2_1395 Depth=2
                                        ; =>    This Inner Loop Header: Depth=3
	s_add_i32 s58, s58, 1
	s_cmpk_lg_i32 s58, 0x2710
	s_cselect_b64 s[30:31], -1, 0
	s_and_b64 vcc, exec, s[30:31]
	s_cbranch_vccz .LBB2_1427
; %bb.1426:                             ;   in Loop: Header=BB2_1425 Depth=3
	s_mov_b64 vcc, -1
	s_or_b64 s[94:95], s[94:95], exec
	s_and_saveexec_b64 s[34:35], s[30:31]
	s_cbranch_execz .LBB2_1424
	s_branch .LBB2_1428
.LBB2_1427:                             ;   in Loop: Header=BB2_1425 Depth=3
	s_trap 2
	ds_read_b64 v[9:10], v0
	s_andn2_b64 s[30:31], s[30:31], exec
	s_mov_b32 s58, 0
	s_waitcnt lgkmcnt(0)
	flat_load_dword v0, v[9:10] glc
	s_waitcnt vmcnt(0) lgkmcnt(0)
	buffer_wbinvl1_vol
	v_cmp_eq_u32_e32 vcc, 0, v0
	s_and_b64 vcc, vcc, exec
	s_or_b64 s[30:31], s[30:31], vcc
	s_mov_b64 vcc, -1
	s_or_b64 s[94:95], s[94:95], exec
	s_and_saveexec_b64 s[34:35], s[30:31]
	s_cbranch_execz .LBB2_1424
.LBB2_1428:                             ;   in Loop: Header=BB2_1425 Depth=3
	s_sleep 1
	s_trap 2
	ds_read_b64 v[9:10], v0
	s_waitcnt lgkmcnt(0)
	s_andn2_b64 s[94:95], s[94:95], exec
	v_cmp_ge_u64_e32 vcc, v[9:10], v[28:29]
	s_orn2_b64 vcc, vcc, exec
	s_branch .LBB2_1424
.LBB2_1429:                             ;   in Loop: Header=BB2_1395 Depth=2
	s_or_b64 exec, exec, s[90:91]
	s_and_saveexec_b64 s[90:91], s[92:93]
	s_xor_b64 s[90:91], exec, s[90:91]
	s_cbranch_execz .LBB2_1431
; %bb.1430:                             ;   in Loop: Header=BB2_1395 Depth=2
	ds_write_b32 v0, v37
	s_trap 2
.LBB2_1431:                             ;   in Loop: Header=BB2_1395 Depth=2
	s_or_b64 exec, exec, s[88:89]
	;;#ASMSTART
	s_wakeup
	;;#ASMEND
.LBB2_1432:                             ;   in Loop: Header=BB2_1395 Depth=2
	s_or_b64 exec, exec, s[44:45]
.LBB2_1433:                             ;   in Loop: Header=BB2_1395 Depth=2
	s_andn2_saveexec_b64 s[42:43], s[42:43]
	s_cbranch_execz .LBB2_1435
; %bb.1434:                             ;   in Loop: Header=BB2_1395 Depth=2
	s_waitcnt vmcnt(0) lgkmcnt(0)
	buffer_wbinvl1_vol
	s_barrier
.LBB2_1435:                             ;   in Loop: Header=BB2_1395 Depth=2
	s_or_b64 exec, exec, s[42:43]
.LBB2_1436:                             ;   in Loop: Header=BB2_1395 Depth=2
	s_or_b64 exec, exec, s[26:27]
	v_sub_u32_e32 v0, v3, v8
	v_min_i32_e32 v40, v40, v0
	s_and_saveexec_b64 s[26:27], s[24:25]
	s_xor_b64 s[26:27], exec, s[26:27]
	s_cbranch_execz .LBB2_1440
; %bb.1437:                             ;   in Loop: Header=BB2_1395 Depth=2
	s_trap 2
	ds_read_b32 v0, v0
	v_cmp_lt_i32_e32 vcc, 0, v40
	v_and_b32_e32 v9, 16, v62
	s_waitcnt lgkmcnt(0)
	v_readfirstlane_b32 s42, v0
	s_cmp_eq_u32 s42, 0
	s_cselect_b64 s[42:43], -1, 0
	s_and_b64 s[42:43], vcc, s[42:43]
	v_cmp_ne_u32_e32 vcc, 0, v9
	s_and_b64 s[44:45], vcc, s[42:43]
	s_and_saveexec_b64 s[42:43], s[44:45]
	s_cbranch_execz .LBB2_1439
; %bb.1438:                             ;   in Loop: Header=BB2_1395 Depth=2
	s_waitcnt vmcnt(0)
	buffer_wbinvl1_vol
.LBB2_1439:                             ;   in Loop: Header=BB2_1395 Depth=2
	s_or_b64 exec, exec, s[42:43]
.LBB2_1440:                             ;   in Loop: Header=BB2_1395 Depth=2
	s_andn2_saveexec_b64 s[26:27], s[26:27]
	s_cbranch_execz .LBB2_1459
; %bb.1441:                             ;   in Loop: Header=BB2_1395 Depth=2
	s_and_saveexec_b64 s[42:43], s[60:61]
	s_xor_b64 s[42:43], exec, s[42:43]
	s_cbranch_execz .LBB2_1456
; %bb.1442:                             ;   in Loop: Header=BB2_1395 Depth=2
	s_and_saveexec_b64 s[44:45], s[16:17]
	s_cbranch_execz .LBB2_1455
; %bb.1443:                             ;   in Loop: Header=BB2_1395 Depth=2
	s_mov_b64 s[90:91], exec
	v_mbcnt_lo_u32_b32 v0, s90, 0
	v_mbcnt_hi_u32_b32 v0, s91, v0
	v_cmp_eq_u32_e32 vcc, 0, v0
	;;#ASMSTART
	s_waitcnt lgkmcnt(0) vmcnt(0)
	;;#ASMEND
	s_and_saveexec_b64 s[88:89], vcc
	s_cbranch_execz .LBB2_1445
; %bb.1444:                             ;   in Loop: Header=BB2_1395 Depth=2
	s_bcnt1_i32_b64 s58, s[90:91]
	v_mov_b32_e32 v9, s58
	v_mov_b32_e32 v10, v2
	s_waitcnt lgkmcnt(0)
	ds_add_u64 v0, v[9:10]
	s_trap 2
.LBB2_1445:                             ;   in Loop: Header=BB2_1395 Depth=2
	s_or_b64 exec, exec, s[88:89]
	s_trap 2
	ds_read_b64 v[9:10], v0
	s_waitcnt lgkmcnt(0)
	v_add_co_u32_e32 v28, vcc, v28, v21
	v_addc_co_u32_e32 v29, vcc, 0, v29, vcc
	v_cmp_lt_u64_e32 vcc, v[9:10], v[28:29]
	s_and_saveexec_b64 s[88:89], vcc
	s_cbranch_execz .LBB2_1454
; %bb.1446:                             ;   in Loop: Header=BB2_1395 Depth=2
	s_mov_b32 s58, 0
	s_mov_b64 s[90:91], 0
                                        ; implicit-def: $sgpr92_sgpr93
                                        ; implicit-def: $sgpr94_sgpr95
	s_branch .LBB2_1448
.LBB2_1447:                             ;   in Loop: Header=BB2_1448 Depth=3
	s_or_b64 exec, exec, s[34:35]
	s_and_b64 vcc, exec, vcc
	s_or_b64 s[90:91], vcc, s[90:91]
	s_andn2_b64 s[92:93], s[92:93], exec
	s_and_b64 vcc, s[94:95], exec
	s_or_b64 s[92:93], s[92:93], vcc
	s_andn2_b64 exec, exec, s[90:91]
	s_cbranch_execz .LBB2_1452
.LBB2_1448:                             ;   Parent Loop BB2_47 Depth=1
                                        ;     Parent Loop BB2_1395 Depth=2
                                        ; =>    This Inner Loop Header: Depth=3
	s_add_i32 s58, s58, 1
	s_cmpk_lg_i32 s58, 0x2710
	s_cselect_b64 s[30:31], -1, 0
	s_and_b64 vcc, exec, s[30:31]
	s_cbranch_vccz .LBB2_1450
; %bb.1449:                             ;   in Loop: Header=BB2_1448 Depth=3
	s_mov_b64 vcc, -1
	s_or_b64 s[94:95], s[94:95], exec
	s_and_saveexec_b64 s[34:35], s[30:31]
	s_cbranch_execz .LBB2_1447
	s_branch .LBB2_1451
.LBB2_1450:                             ;   in Loop: Header=BB2_1448 Depth=3
	s_trap 2
	ds_read_b64 v[9:10], v0
	s_andn2_b64 s[30:31], s[30:31], exec
	s_mov_b32 s58, 0
	s_waitcnt vmcnt(0) lgkmcnt(0)
	flat_load_dword v0, v[9:10] glc
	s_waitcnt vmcnt(0) lgkmcnt(0)
	buffer_wbinvl1_vol
	v_cmp_eq_u32_e32 vcc, 0, v0
	s_and_b64 vcc, vcc, exec
	s_or_b64 s[30:31], s[30:31], vcc
	s_mov_b64 vcc, -1
	s_or_b64 s[94:95], s[94:95], exec
	s_and_saveexec_b64 s[34:35], s[30:31]
	s_cbranch_execz .LBB2_1447
.LBB2_1451:                             ;   in Loop: Header=BB2_1448 Depth=3
	s_sleep 1
	s_trap 2
	ds_read_b64 v[9:10], v0
	s_waitcnt lgkmcnt(0)
	s_andn2_b64 s[94:95], s[94:95], exec
	v_cmp_ge_u64_e32 vcc, v[9:10], v[28:29]
	s_orn2_b64 vcc, vcc, exec
	s_branch .LBB2_1447
.LBB2_1452:                             ;   in Loop: Header=BB2_1395 Depth=2
	s_or_b64 exec, exec, s[90:91]
	s_and_saveexec_b64 s[90:91], s[92:93]
	s_xor_b64 s[90:91], exec, s[90:91]
	s_cbranch_execz .LBB2_1454
; %bb.1453:                             ;   in Loop: Header=BB2_1395 Depth=2
	ds_write_b32 v0, v37
	s_trap 2
.LBB2_1454:                             ;   in Loop: Header=BB2_1395 Depth=2
	s_or_b64 exec, exec, s[88:89]
	;;#ASMSTART
	s_wakeup
	;;#ASMEND
.LBB2_1455:                             ;   in Loop: Header=BB2_1395 Depth=2
	s_or_b64 exec, exec, s[44:45]
.LBB2_1456:                             ;   in Loop: Header=BB2_1395 Depth=2
	s_andn2_saveexec_b64 s[42:43], s[42:43]
	s_cbranch_execz .LBB2_1458
; %bb.1457:                             ;   in Loop: Header=BB2_1395 Depth=2
	;;#ASMSTART
	s_waitcnt lgkmcnt(0) vmcnt(0)
	;;#ASMEND
	s_waitcnt vmcnt(0) lgkmcnt(0)
	s_barrier
.LBB2_1458:                             ;   in Loop: Header=BB2_1395 Depth=2
	s_or_b64 exec, exec, s[42:43]
.LBB2_1459:                             ;   in Loop: Header=BB2_1395 Depth=2
	s_or_b64 exec, exec, s[26:27]
	v_and_b32_e32 v0, 32, v62
	v_cmp_ne_u32_e32 vcc, 0, v0
	s_and_saveexec_b64 s[26:27], vcc
	s_cbranch_execz .LBB2_1394
; %bb.1460:                             ;   in Loop: Header=BB2_1395 Depth=2
	v_add_co_u32_e32 v50, vcc, 2, v50
	v_addc_co_u32_e32 v51, vcc, 0, v51, vcc
	flat_store_dwordx2 v[22:23], v[50:51]
	s_branch .LBB2_1394
.LBB2_1461:
	s_or_b64 exec, exec, s[62:63]
	buffer_load_dword v16, off, s[0:3], s33 offset:168 ; 4-byte Folded Reload
	buffer_load_dword v31, off, s[0:3], s33 offset:172 ; 4-byte Folded Reload
	;; [unrolled: 1-line block ×5, first 2 shown]
.LBB2_1462:
	s_or_b64 exec, exec, s[56:57]
	v_and_b32_e32 v0, 0x800, v62
	v_cmp_eq_u32_e32 vcc, 0, v0
	s_and_saveexec_b64 s[6:7], vcc
	s_cbranch_execz .LBB2_1495
; %bb.1463:
	v_and_b32_e32 v0, 48, v62
	v_cmp_ne_u32_e32 vcc, 0, v0
	s_and_saveexec_b64 s[4:5], vcc
	s_cbranch_execz .LBB2_1465
; %bb.1464:
	s_waitcnt vmcnt(0)
	flat_store_dwordx2 v[20:21], v[50:51] offset:104
.LBB2_1465:
	s_or_b64 exec, exec, s[4:5]
	s_movk_i32 s4, 0x88
	v_and_b32_e32 v0, 0x88, v62
	v_cmp_eq_u32_e32 vcc, s4, v0
	s_and_saveexec_b64 s[10:11], vcc
	s_cbranch_execz .LBB2_1475
; %bb.1466:
	v_add_u32_e32 v0, 6, v50
	v_and_b32_e32 v0, 7, v0
	v_mad_u64_u32 v[2:3], s[4:5], v0, 24, v[6:7]
	v_and_b32_e32 v4, 64, v62
	v_cmp_eq_u32_e64 s[4:5], 0, v4
	flat_load_dwordx2 v[0:1], v[2:3] offset:8 glc
	s_waitcnt vmcnt(0)
	s_mov_b32 s22, 0
	s_waitcnt lgkmcnt(0)
	v_cmp_ne_u64_e32 vcc, -1, v[0:1]
	s_and_b64 s[4:5], vcc, s[4:5]
	s_and_b64 exec, exec, s[4:5]
	s_cbranch_execz .LBB2_1475
; %bb.1467:
	s_mov_b64 s[4:5], 0
                                        ; implicit-def: $sgpr12_sgpr13
                                        ; implicit-def: $sgpr14_sgpr15
	s_branch .LBB2_1470
.LBB2_1468:                             ;   in Loop: Header=BB2_1470 Depth=1
	flat_load_dwordx2 v[4:5], v[2:3] offset:8 glc
	s_waitcnt vmcnt(0)
	s_andn2_b64 s[14:15], s[14:15], exec
	s_waitcnt lgkmcnt(0)
	v_cmp_eq_u64_e32 vcc, -1, v[4:5]
	s_orn2_b64 s[18:19], vcc, exec
.LBB2_1469:                             ;   in Loop: Header=BB2_1470 Depth=1
	s_or_b64 exec, exec, s[20:21]
	s_and_b64 s[16:17], exec, s[18:19]
	s_or_b64 s[4:5], s[16:17], s[4:5]
	s_andn2_b64 s[12:13], s[12:13], exec
	s_and_b64 s[16:17], s[14:15], exec
	s_or_b64 s[12:13], s[12:13], s[16:17]
	s_andn2_b64 exec, exec, s[4:5]
	s_cbranch_execz .LBB2_1473
.LBB2_1470:                             ; =>This Inner Loop Header: Depth=1
	s_cmpk_lt_i32 s22, 0x270f
	s_cselect_b64 s[16:17], -1, 0
	s_and_b64 vcc, exec, s[16:17]
	s_cbranch_vccnz .LBB2_1472
; %bb.1471:                             ;   in Loop: Header=BB2_1470 Depth=1
	s_trap 2
	ds_read_b64 v[0:1], v0
	s_andn2_b64 s[16:17], s[16:17], exec
	s_mov_b32 s22, 0
	s_waitcnt lgkmcnt(0)
	flat_load_dword v0, v[0:1] glc
	s_waitcnt vmcnt(0) lgkmcnt(0)
	buffer_wbinvl1_vol
	v_cmp_eq_u32_e32 vcc, 0, v0
	s_and_b64 s[18:19], vcc, exec
	s_or_b64 s[16:17], s[16:17], s[18:19]
	s_mov_b64 s[18:19], -1
	s_or_b64 s[14:15], s[14:15], exec
	s_and_saveexec_b64 s[20:21], s[16:17]
	s_cbranch_execz .LBB2_1469
	s_branch .LBB2_1468
.LBB2_1472:                             ;   in Loop: Header=BB2_1470 Depth=1
	s_add_i32 s22, s22, 1
                                        ; implicit-def: $vgpr0
	s_mov_b64 s[18:19], -1
	s_or_b64 s[14:15], s[14:15], exec
	s_and_saveexec_b64 s[20:21], s[16:17]
	s_cbranch_execz .LBB2_1469
	s_branch .LBB2_1468
.LBB2_1473:
	s_or_b64 exec, exec, s[4:5]
	s_and_saveexec_b64 s[4:5], s[12:13]
	s_xor_b64 s[4:5], exec, s[4:5]
	s_cbranch_execz .LBB2_1475
; %bb.1474:
	ds_write_b32 v0, v0
	s_trap 2
.LBB2_1475:
	s_or_b64 exec, exec, s[10:11]
	v_and_b32_e32 v0, 0x2000, v62
	v_cmp_ne_u32_e32 vcc, 0, v0
	s_and_saveexec_b64 s[4:5], vcc
	s_cbranch_execz .LBB2_1477
; %bb.1476:
	s_trap 2
	ds_read_b64 v[0:1], v0
	buffer_load_dword v2, off, s[0:3], s33 offset:188 ; 4-byte Folded Reload
	buffer_load_dword v3, off, s[0:3], s33 offset:192 ; 4-byte Folded Reload
	s_waitcnt vmcnt(0) lgkmcnt(0)
	flat_store_dwordx2 v[2:3], v[0:1] offset:16
.LBB2_1477:
	s_or_b64 exec, exec, s[4:5]
	s_waitcnt vmcnt(0)
	v_cmp_ne_u32_e32 vcc, 64, v16
	s_and_b64 exec, exec, vcc
	s_cbranch_execz .LBB2_1495
; %bb.1478:
	v_cmp_ne_u32_sdwa s[4:5], v16, v15 src0_sel:DWORD src1_sel:WORD_0
	s_and_saveexec_b64 s[10:11], s[4:5]
	s_xor_b64 s[4:5], exec, s[10:11]
	s_cbranch_execz .LBB2_1493
; %bb.1479:
	v_and_b32_e32 v0, 63, v31
	v_cmp_eq_u32_e32 vcc, 0, v0
	s_and_saveexec_b64 s[10:11], vcc
	s_cbranch_execz .LBB2_1492
; %bb.1480:
	s_mov_b64 s[14:15], exec
	v_mbcnt_lo_u32_b32 v0, s14, 0
	v_mbcnt_hi_u32_b32 v0, s15, v0
	v_cmp_eq_u32_e32 vcc, 0, v0
	s_waitcnt lgkmcnt(0)
	buffer_wbinvl1_vol
	s_and_saveexec_b64 s[12:13], vcc
	s_cbranch_execz .LBB2_1482
; %bb.1481:
	s_bcnt1_i32_b64 s14, s[14:15]
	v_mov_b32_e32 v0, s14
	v_mov_b32_e32 v1, 0
	ds_add_u64 v0, v[0:1]
	s_trap 2
.LBB2_1482:
	s_or_b64 exec, exec, s[12:13]
	v_lshrrev_b32_e32 v0, 6, v16
	s_trap 2
	ds_read_b64 v[2:3], v0
	s_waitcnt lgkmcnt(0)
	v_add_co_u32_e32 v0, vcc, v28, v0
	v_addc_co_u32_e32 v1, vcc, 0, v29, vcc
	v_cmp_lt_u64_e32 vcc, v[2:3], v[0:1]
	s_and_saveexec_b64 s[12:13], vcc
	s_cbranch_execz .LBB2_1491
; %bb.1483:
	s_mov_b32 s26, 0
	s_mov_b64 s[14:15], 0
                                        ; implicit-def: $sgpr16_sgpr17
                                        ; implicit-def: $sgpr18_sgpr19
	s_branch .LBB2_1485
.LBB2_1484:                             ;   in Loop: Header=BB2_1485 Depth=1
	s_or_b64 exec, exec, s[22:23]
	s_and_b64 s[20:21], exec, s[24:25]
	s_or_b64 s[14:15], s[20:21], s[14:15]
	s_andn2_b64 s[16:17], s[16:17], exec
	s_and_b64 s[20:21], s[18:19], exec
	s_or_b64 s[16:17], s[16:17], s[20:21]
	s_andn2_b64 exec, exec, s[14:15]
	s_cbranch_execz .LBB2_1489
.LBB2_1485:                             ; =>This Inner Loop Header: Depth=1
	s_add_i32 s26, s26, 1
	s_cmpk_lg_i32 s26, 0x2710
	s_cselect_b64 s[20:21], -1, 0
	s_and_b64 vcc, exec, s[20:21]
	s_cbranch_vccz .LBB2_1487
; %bb.1486:                             ;   in Loop: Header=BB2_1485 Depth=1
	s_mov_b64 s[24:25], -1
	s_or_b64 s[18:19], s[18:19], exec
	s_and_saveexec_b64 s[22:23], s[20:21]
	s_cbranch_execz .LBB2_1484
	s_branch .LBB2_1488
.LBB2_1487:                             ;   in Loop: Header=BB2_1485 Depth=1
	s_trap 2
	ds_read_b64 v[2:3], v0
	s_andn2_b64 s[20:21], s[20:21], exec
	s_mov_b32 s26, 0
	s_waitcnt lgkmcnt(0)
	flat_load_dword v2, v[2:3] glc
	s_waitcnt vmcnt(0) lgkmcnt(0)
	buffer_wbinvl1_vol
	v_cmp_eq_u32_e32 vcc, 0, v2
	s_and_b64 s[22:23], vcc, exec
	s_or_b64 s[20:21], s[20:21], s[22:23]
	s_mov_b64 s[24:25], -1
	s_or_b64 s[18:19], s[18:19], exec
	s_and_saveexec_b64 s[22:23], s[20:21]
	s_cbranch_execz .LBB2_1484
.LBB2_1488:                             ;   in Loop: Header=BB2_1485 Depth=1
	s_sleep 1
	s_trap 2
	ds_read_b64 v[2:3], v0
	s_waitcnt lgkmcnt(0)
	s_andn2_b64 s[18:19], s[18:19], exec
	v_cmp_ge_u64_e32 vcc, v[2:3], v[0:1]
	s_orn2_b64 s[24:25], vcc, exec
	s_branch .LBB2_1484
.LBB2_1489:
	s_or_b64 exec, exec, s[14:15]
	s_and_saveexec_b64 s[14:15], s[16:17]
	s_xor_b64 s[14:15], exec, s[14:15]
	s_cbranch_execz .LBB2_1491
; %bb.1490:
	v_mov_b32_e32 v0, 1
	ds_write_b32 v0, v0
	s_trap 2
.LBB2_1491:
	s_or_b64 exec, exec, s[12:13]
	;;#ASMSTART
	s_wakeup
	;;#ASMEND
.LBB2_1492:
	s_or_b64 exec, exec, s[10:11]
.LBB2_1493:
	s_andn2_saveexec_b64 s[4:5], s[4:5]
	s_cbranch_execz .LBB2_1495
; %bb.1494:
	s_waitcnt lgkmcnt(0)
	buffer_wbinvl1_vol
	s_barrier
.LBB2_1495:
	s_or_b64 exec, exec, s[6:7]
.LBB2_1496:
	s_andn2_saveexec_b64 s[26:27], s[46:47]
	s_cbranch_execz .LBB2_1498
; %bb.1497:
	s_getpc_b64 s[4:5]
	s_add_u32 s4, s4, __PRETTY_FUNCTION__._ZN10PrimitivesI12hip_bfloat1610FuncMinMaxIS0_E12FanSymmetricILi1EELi0E11ProtoSimpleILi2ELi2ELi0ELi1ELi0ELi0EELi0ELb0ELi0ELi0ELi0EEC2EiiPKiS9_PKvPvmhhhP15ncclDevWorkCollP14ncclDevWorkP2pii@rel32@lo+4
	s_addc_u32 s5, s5, __PRETTY_FUNCTION__._ZN10PrimitivesI12hip_bfloat1610FuncMinMaxIS0_E12FanSymmetricILi1EELi0E11ProtoSimpleILi2ELi2ELi0ELi1ELi0ELi0EELi0ELb0ELi0ELi0ELi0EEC2EiiPKiS9_PKvPvmhhhP15ncclDevWorkCollP14ncclDevWorkP2pii@rel32@hi+12
	s_getpc_b64 s[6:7]
	s_add_u32 s6, s6, __assert_fail@rel32@lo+4
	s_addc_u32 s7, s7, __assert_fail@rel32@hi+12
	v_mov_b32_e32 v0, s4
	v_mov_b32_e32 v1, s5
	s_swappc_b64 s[30:31], s[6:7]
	; divergent unreachable
.LBB2_1498:
	s_or_b64 exec, exec, s[26:27]
	buffer_load_dword v62, off, s[0:3], s33 ; 4-byte Folded Reload
	buffer_load_dword v61, off, s[0:3], s33 offset:4 ; 4-byte Folded Reload
	buffer_load_dword v60, off, s[0:3], s33 offset:8 ; 4-byte Folded Reload
	;; [unrolled: 1-line block ×14, first 2 shown]
	v_readlane_b32 s30, v63, 28
	v_readlane_b32 s31, v63, 29
	;; [unrolled: 1-line block ×30, first 2 shown]
	s_mov_b32 s32, s33
	v_readlane_b32 s4, v63, 30
	s_or_saveexec_b64 s[6:7], -1
	buffer_load_dword v63, off, s[0:3], s33 offset:196 ; 4-byte Folded Reload
	s_mov_b64 exec, s[6:7]
	s_mov_b32 s33, s4
	s_waitcnt vmcnt(0) lgkmcnt(0)
	s_setpc_b64 s[30:31]
.Lfunc_end2:
	.size	_ZN12_GLOBAL__N_17runRingI12hip_bfloat1610FuncMinMaxIS1_E11ProtoSimpleILi2ELi2ELi0ELi1ELi0ELi0EELi0ELi0ELi1ELi0EEEviiP15ncclDevWorkColl, .Lfunc_end2-_ZN12_GLOBAL__N_17runRingI12hip_bfloat1610FuncMinMaxIS1_E11ProtoSimpleILi2ELi2ELi0ELi1ELi0ELi0EELi0ELi0ELi1ELi0EEEviiP15ncclDevWorkColl
                                        ; -- End function
	.set .L_ZN12_GLOBAL__N_17runRingI12hip_bfloat1610FuncMinMaxIS1_E11ProtoSimpleILi2ELi2ELi0ELi1ELi0ELi0EELi0ELi0ELi1ELi0EEEviiP15ncclDevWorkColl.num_vgpr, max(64, .L__assert_fail.num_vgpr)
	.set .L_ZN12_GLOBAL__N_17runRingI12hip_bfloat1610FuncMinMaxIS1_E11ProtoSimpleILi2ELi2ELi0ELi1ELi0ELi0EELi0ELi0ELi1ELi0EEEviiP15ncclDevWorkColl.num_agpr, max(0, .L__assert_fail.num_agpr)
	.set .L_ZN12_GLOBAL__N_17runRingI12hip_bfloat1610FuncMinMaxIS1_E11ProtoSimpleILi2ELi2ELi0ELi1ELi0ELi0EELi0ELi0ELi1ELi0EEEviiP15ncclDevWorkColl.numbered_sgpr, max(96, .L__assert_fail.numbered_sgpr)
	.set .L_ZN12_GLOBAL__N_17runRingI12hip_bfloat1610FuncMinMaxIS1_E11ProtoSimpleILi2ELi2ELi0ELi1ELi0ELi0EELi0ELi0ELi1ELi0EEEviiP15ncclDevWorkColl.num_named_barrier, max(0, .L__assert_fail.num_named_barrier)
	.set .L_ZN12_GLOBAL__N_17runRingI12hip_bfloat1610FuncMinMaxIS1_E11ProtoSimpleILi2ELi2ELi0ELi1ELi0ELi0EELi0ELi0ELi1ELi0EEEviiP15ncclDevWorkColl.private_seg_size, 208+max(.L__assert_fail.private_seg_size)
	.set .L_ZN12_GLOBAL__N_17runRingI12hip_bfloat1610FuncMinMaxIS1_E11ProtoSimpleILi2ELi2ELi0ELi1ELi0ELi0EELi0ELi0ELi1ELi0EEEviiP15ncclDevWorkColl.uses_vcc, or(1, .L__assert_fail.uses_vcc)
	.set .L_ZN12_GLOBAL__N_17runRingI12hip_bfloat1610FuncMinMaxIS1_E11ProtoSimpleILi2ELi2ELi0ELi1ELi0ELi0EELi0ELi0ELi1ELi0EEEviiP15ncclDevWorkColl.uses_flat_scratch, or(0, .L__assert_fail.uses_flat_scratch)
	.set .L_ZN12_GLOBAL__N_17runRingI12hip_bfloat1610FuncMinMaxIS1_E11ProtoSimpleILi2ELi2ELi0ELi1ELi0ELi0EELi0ELi0ELi1ELi0EEEviiP15ncclDevWorkColl.has_dyn_sized_stack, or(0, .L__assert_fail.has_dyn_sized_stack)
	.set .L_ZN12_GLOBAL__N_17runRingI12hip_bfloat1610FuncMinMaxIS1_E11ProtoSimpleILi2ELi2ELi0ELi1ELi0ELi0EELi0ELi0ELi1ELi0EEEviiP15ncclDevWorkColl.has_recursion, or(1, .L__assert_fail.has_recursion)
	.set .L_ZN12_GLOBAL__N_17runRingI12hip_bfloat1610FuncMinMaxIS1_E11ProtoSimpleILi2ELi2ELi0ELi1ELi0ELi0EELi0ELi0ELi1ELi0EEEviiP15ncclDevWorkColl.has_indirect_call, or(0, .L__assert_fail.has_indirect_call)
	.section	.AMDGPU.csdata,"",@progbits
; Function info:
; codeLenInByte = 44744
; TotalNumSgprs: 100
; NumVgprs: 64
; ScratchSize: 272
; MemoryBound: 1
	.text
	.p2align	2                               ; -- Begin function _Z51ncclDevFunc_AllReduce_RING_SIMPLE_MinMax_bf16_0_0_1v
	.type	_Z51ncclDevFunc_AllReduce_RING_SIMPLE_MinMax_bf16_0_0_1v,@function
_Z51ncclDevFunc_AllReduce_RING_SIMPLE_MinMax_bf16_0_0_1v: ; @_Z51ncclDevFunc_AllReduce_RING_SIMPLE_MinMax_bf16_0_0_1v
; %bb.0:
	s_waitcnt vmcnt(0) expcnt(0) lgkmcnt(0)
	s_mov_b32 s4, s33
	s_mov_b32 s33, s32
	s_or_saveexec_b64 s[6:7], -1
	buffer_store_dword v43, off, s[0:3], s33 offset:16 ; 4-byte Folded Spill
	s_mov_b64 exec, s[6:7]
	v_writelane_b32 v43, s4, 36
	s_addk_i32 s32, 0x800
	buffer_store_dword v40, off, s[0:3], s33 offset:12 ; 4-byte Folded Spill
	buffer_store_dword v41, off, s[0:3], s33 offset:8 ; 4-byte Folded Spill
	;; [unrolled: 1-line block ×3, first 2 shown]
	buffer_store_dword v63, off, s[0:3], s33 ; 4-byte Folded Spill
	v_writelane_b32 v43, s34, 0
	v_writelane_b32 v43, s35, 1
	;; [unrolled: 1-line block ×36, first 2 shown]
	s_trap 2
	ds_read_b32 v0, v0
	v_mov_b32_e32 v40, v31
	v_and_b32_e32 v41, 0x3ff, v40
	s_mov_b32 s96, s12
	s_mov_b64 s[86:87], s[8:9]
	s_waitcnt lgkmcnt(0)
	v_cmp_lt_i32_e32 vcc, v41, v0
	s_and_saveexec_b64 s[4:5], vcc
	s_cbranch_execz .LBB3_5
; %bb.1:
	s_load_dword s6, s[86:87], 0x0
	v_mov_b32_e32 v1, 0
	s_mov_b32 s10, 0
	v_mov_b32_e32 v4, v41
                                        ; implicit-def: $vgpr3
	s_waitcnt lgkmcnt(0)
	s_cmp_lt_u32 s96, s6
	s_cselect_b32 s6, 12, 18
	s_add_u32 s6, s86, s6
	s_addc_u32 s7, s87, 0
	global_load_ushort v1, v1, s[6:7]
	s_trap 2
	ds_read_b32 v2, v0
	s_mov_b64 s[6:7], 0
	s_waitcnt vmcnt(0) lgkmcnt(0)
	v_mul_lo_u32 v2, v2, v1
	s_branch .LBB3_3
.LBB3_2:                                ;   in Loop: Header=BB3_3 Depth=1
	s_or_b64 exec, exec, s[8:9]
	v_add_u32_e32 v4, v4, v1
	v_cmp_ge_i32_e32 vcc, v4, v0
	s_or_b64 s[6:7], vcc, s[6:7]
	v_add_u32_e32 v3, v3, v2
	s_andn2_b64 exec, exec, s[6:7]
	s_cbranch_execz .LBB3_5
.LBB3_3:                                ; =>This Inner Loop Header: Depth=1
	ds_read_b32 v5, v3
	s_waitcnt lgkmcnt(0)
	v_and_b32_e32 v5, 0x1000000, v5
	v_cmp_ne_u32_e32 vcc, 0, v5
	s_and_saveexec_b64 s[8:9], vcc
	s_cbranch_execz .LBB3_2
; %bb.4:                                ;   in Loop: Header=BB3_3 Depth=1
	ds_read_b64 v[5:6], v3 offset:104
	s_waitcnt lgkmcnt(0)
	flat_load_ushort v5, v[5:6]
	v_mov_b32_e32 v6, s10
	s_waitcnt vmcnt(0) lgkmcnt(0)
	v_and_b32_e32 v5, 0xffff, v5
	ds_write_b64 v3, v[5:6] offset:104
	s_branch .LBB3_2
.LBB3_5:
	s_or_b64 exec, exec, s[4:5]
	s_waitcnt vmcnt(0) lgkmcnt(0)
	s_barrier
	s_trap 2
	ds_read_b32 v0, v0
	s_waitcnt lgkmcnt(0)
	v_cmp_gt_i32_e32 vcc, 1, v0
	s_cbranch_vccnz .LBB3_13
; %bb.6:
	s_mov_b32 s97, 0
	v_mov_b32_e32 v42, 6
	s_branch .LBB3_8
.LBB3_7:                                ;   in Loop: Header=BB3_8 Depth=1
	s_or_b64 exec, exec, s[98:99]
	s_trap 2
	ds_read_b32 v0, v0
	s_add_i32 s97, s97, 1
	s_waitcnt lgkmcnt(0)
	v_cmp_lt_i32_e32 vcc, s97, v0
	s_cbranch_vccz .LBB3_13
.LBB3_8:                                ; =>This Inner Loop Header: Depth=1
	s_trap 2
	ds_read_b32 v0, v0
	s_cmp_eq_u32 s97, 0
	s_cbranch_scc1 .LBB3_11
; %bb.9:                                ;   in Loop: Header=BB3_8 Depth=1
	s_trap 2
	s_waitcnt lgkmcnt(0)
	ds_read_b32 v1, v0
	s_waitcnt lgkmcnt(0)
	v_xor_b32_e32 v1, v1, v0
	v_and_b32_e32 v1, 0xff0000, v1
	v_cmp_eq_u32_e32 vcc, 0, v1
	s_cbranch_vccnz .LBB3_11
; %bb.10:                               ;   in Loop: Header=BB3_8 Depth=1
	s_barrier
	ds_read_b32 v0, v0
.LBB3_11:                               ;   in Loop: Header=BB3_8 Depth=1
	s_waitcnt lgkmcnt(0)
	v_lshlrev_b32_sdwa v1, v42, v0 dst_sel:DWORD dst_unused:UNUSED_PAD src0_sel:DWORD src1_sel:BYTE_2
	v_cmp_lt_u32_e32 vcc, v41, v1
	s_and_saveexec_b64 s[98:99], vcc
	s_cbranch_execz .LBB3_7
; %bb.12:                               ;   in Loop: Header=BB3_8 Depth=1
	s_mov_b64 s[4:5], src_shared_base
	s_getpc_b64 s[6:7]
	s_add_u32 s6, s6, _ZN12_GLOBAL__N_17runRingI12hip_bfloat1610FuncMinMaxIS1_E11ProtoSimpleILi2ELi2ELi0ELi1ELi0ELi0EELi0ELi0ELi1ELi0EEEviiP15ncclDevWorkColl@rel32@lo+4
	s_addc_u32 s7, s7, _ZN12_GLOBAL__N_17runRingI12hip_bfloat1610FuncMinMaxIS1_E11ProtoSimpleILi2ELi2ELi0ELi1ELi0ELi0EELi0ELi0ELi1ELi0EEEviiP15ncclDevWorkColl@rel32@hi+12
	s_mov_b64 s[8:9], s[86:87]
	s_mov_b32 s12, s96
	v_mov_b32_e32 v31, v40
	v_mov_b32_e32 v0, v41
	;; [unrolled: 1-line block ×3, first 2 shown]
	s_swappc_b64 s[30:31], s[6:7]
	s_branch .LBB3_7
.LBB3_13:
	buffer_load_dword v63, off, s[0:3], s33 ; 4-byte Folded Reload
	buffer_load_dword v42, off, s[0:3], s33 offset:4 ; 4-byte Folded Reload
	buffer_load_dword v41, off, s[0:3], s33 offset:8 ; 4-byte Folded Reload
	;; [unrolled: 1-line block ×3, first 2 shown]
	v_readlane_b32 s30, v43, 34
	v_readlane_b32 s31, v43, 35
	;; [unrolled: 1-line block ×36, first 2 shown]
	s_mov_b32 s32, s33
	v_readlane_b32 s4, v43, 36
	s_or_saveexec_b64 s[6:7], -1
	buffer_load_dword v43, off, s[0:3], s33 offset:16 ; 4-byte Folded Reload
	s_mov_b64 exec, s[6:7]
	s_mov_b32 s33, s4
	s_waitcnt vmcnt(0)
	s_setpc_b64 s[30:31]
.Lfunc_end3:
	.size	_Z51ncclDevFunc_AllReduce_RING_SIMPLE_MinMax_bf16_0_0_1v, .Lfunc_end3-_Z51ncclDevFunc_AllReduce_RING_SIMPLE_MinMax_bf16_0_0_1v
                                        ; -- End function
	.set .L_Z51ncclDevFunc_AllReduce_RING_SIMPLE_MinMax_bf16_0_0_1v.num_vgpr, max(64, .L_ZN12_GLOBAL__N_17runRingI12hip_bfloat1610FuncMinMaxIS1_E11ProtoSimpleILi2ELi2ELi0ELi1ELi0ELi0EELi0ELi0ELi1ELi0EEEviiP15ncclDevWorkColl.num_vgpr)
	.set .L_Z51ncclDevFunc_AllReduce_RING_SIMPLE_MinMax_bf16_0_0_1v.num_agpr, max(0, .L_ZN12_GLOBAL__N_17runRingI12hip_bfloat1610FuncMinMaxIS1_E11ProtoSimpleILi2ELi2ELi0ELi1ELi0ELi0EELi0ELi0ELi1ELi0EEEviiP15ncclDevWorkColl.num_agpr)
	.set .L_Z51ncclDevFunc_AllReduce_RING_SIMPLE_MinMax_bf16_0_0_1v.numbered_sgpr, max(100, .L_ZN12_GLOBAL__N_17runRingI12hip_bfloat1610FuncMinMaxIS1_E11ProtoSimpleILi2ELi2ELi0ELi1ELi0ELi0EELi0ELi0ELi1ELi0EEEviiP15ncclDevWorkColl.numbered_sgpr)
	.set .L_Z51ncclDevFunc_AllReduce_RING_SIMPLE_MinMax_bf16_0_0_1v.num_named_barrier, max(0, .L_ZN12_GLOBAL__N_17runRingI12hip_bfloat1610FuncMinMaxIS1_E11ProtoSimpleILi2ELi2ELi0ELi1ELi0ELi0EELi0ELi0ELi1ELi0EEEviiP15ncclDevWorkColl.num_named_barrier)
	.set .L_Z51ncclDevFunc_AllReduce_RING_SIMPLE_MinMax_bf16_0_0_1v.private_seg_size, 32+max(.L_ZN12_GLOBAL__N_17runRingI12hip_bfloat1610FuncMinMaxIS1_E11ProtoSimpleILi2ELi2ELi0ELi1ELi0ELi0EELi0ELi0ELi1ELi0EEEviiP15ncclDevWorkColl.private_seg_size)
	.set .L_Z51ncclDevFunc_AllReduce_RING_SIMPLE_MinMax_bf16_0_0_1v.uses_vcc, or(1, .L_ZN12_GLOBAL__N_17runRingI12hip_bfloat1610FuncMinMaxIS1_E11ProtoSimpleILi2ELi2ELi0ELi1ELi0ELi0EELi0ELi0ELi1ELi0EEEviiP15ncclDevWorkColl.uses_vcc)
	.set .L_Z51ncclDevFunc_AllReduce_RING_SIMPLE_MinMax_bf16_0_0_1v.uses_flat_scratch, or(0, .L_ZN12_GLOBAL__N_17runRingI12hip_bfloat1610FuncMinMaxIS1_E11ProtoSimpleILi2ELi2ELi0ELi1ELi0ELi0EELi0ELi0ELi1ELi0EEEviiP15ncclDevWorkColl.uses_flat_scratch)
	.set .L_Z51ncclDevFunc_AllReduce_RING_SIMPLE_MinMax_bf16_0_0_1v.has_dyn_sized_stack, or(0, .L_ZN12_GLOBAL__N_17runRingI12hip_bfloat1610FuncMinMaxIS1_E11ProtoSimpleILi2ELi2ELi0ELi1ELi0ELi0EELi0ELi0ELi1ELi0EEEviiP15ncclDevWorkColl.has_dyn_sized_stack)
	.set .L_Z51ncclDevFunc_AllReduce_RING_SIMPLE_MinMax_bf16_0_0_1v.has_recursion, or(1, .L_ZN12_GLOBAL__N_17runRingI12hip_bfloat1610FuncMinMaxIS1_E11ProtoSimpleILi2ELi2ELi0ELi1ELi0ELi0EELi0ELi0ELi1ELi0EEEviiP15ncclDevWorkColl.has_recursion)
	.set .L_Z51ncclDevFunc_AllReduce_RING_SIMPLE_MinMax_bf16_0_0_1v.has_indirect_call, or(0, .L_ZN12_GLOBAL__N_17runRingI12hip_bfloat1610FuncMinMaxIS1_E11ProtoSimpleILi2ELi2ELi0ELi1ELi0ELi0EELi0ELi0ELi1ELi0EEEviiP15ncclDevWorkColl.has_indirect_call)
	.section	.AMDGPU.csdata,"",@progbits
; Function info:
; codeLenInByte = 1184
; TotalNumSgprs: 104
; NumVgprs: 64
; ScratchSize: 304
; MemoryBound: 0
	.text
	.p2align	2                               ; -- Begin function _ZN12_GLOBAL__N_17runRingI12hip_bfloat1610FuncMinMaxIS1_E11ProtoSimpleILi2ELi2ELi0ELi1ELi0ELi0EELi0ELi0ELi1ELi1EEEviiP15ncclDevWorkColl
	.type	_ZN12_GLOBAL__N_17runRingI12hip_bfloat1610FuncMinMaxIS1_E11ProtoSimpleILi2ELi2ELi0ELi1ELi0ELi0EELi0ELi0ELi1ELi1EEEviiP15ncclDevWorkColl,@function
_ZN12_GLOBAL__N_17runRingI12hip_bfloat1610FuncMinMaxIS1_E11ProtoSimpleILi2ELi2ELi0ELi1ELi0ELi0EELi0ELi0ELi1ELi1EEEviiP15ncclDevWorkColl: ; @_ZN12_GLOBAL__N_17runRingI12hip_bfloat1610FuncMinMaxIS1_E11ProtoSimpleILi2ELi2ELi0ELi1ELi0ELi0EELi0ELi0ELi1ELi1EEEviiP15ncclDevWorkColl
; %bb.0:
	s_waitcnt vmcnt(0) expcnt(0) lgkmcnt(0)
	s_mov_b32 s4, s33
	s_mov_b32 s33, s32
	s_or_saveexec_b64 s[6:7], -1
	buffer_store_dword v63, off, s[0:3], s33 offset:320 ; 4-byte Folded Spill
	buffer_store_dword v62, off, s[0:3], s33 offset:324 ; 4-byte Folded Spill
	s_mov_b64 exec, s[6:7]
	v_writelane_b32 v63, s4, 34
	s_addk_i32 s32, 0x5400
	buffer_store_dword v40, off, s[0:3], s33 offset:52 ; 4-byte Folded Spill
	buffer_store_dword v41, off, s[0:3], s33 offset:48 ; 4-byte Folded Spill
	buffer_store_dword v42, off, s[0:3], s33 offset:44 ; 4-byte Folded Spill
	buffer_store_dword v43, off, s[0:3], s33 offset:40 ; 4-byte Folded Spill
	buffer_store_dword v44, off, s[0:3], s33 offset:36 ; 4-byte Folded Spill
	buffer_store_dword v45, off, s[0:3], s33 offset:32 ; 4-byte Folded Spill
	buffer_store_dword v46, off, s[0:3], s33 offset:28 ; 4-byte Folded Spill
	buffer_store_dword v47, off, s[0:3], s33 offset:24 ; 4-byte Folded Spill
	buffer_store_dword v56, off, s[0:3], s33 offset:20 ; 4-byte Folded Spill
	buffer_store_dword v57, off, s[0:3], s33 offset:16 ; 4-byte Folded Spill
	buffer_store_dword v58, off, s[0:3], s33 offset:12 ; 4-byte Folded Spill
	buffer_store_dword v59, off, s[0:3], s33 offset:8 ; 4-byte Folded Spill
	buffer_store_dword v60, off, s[0:3], s33 offset:4 ; 4-byte Folded Spill
	buffer_store_dword v61, off, s[0:3], s33 ; 4-byte Folded Spill
	v_writelane_b32 v63, s34, 0
	v_writelane_b32 v63, s35, 1
	;; [unrolled: 1-line block ×34, first 2 shown]
	v_mov_b32_e32 v19, v1
	buffer_store_dword v0, off, s[0:3], s33 offset:204 ; 4-byte Folded Spill
	s_trap 2
	flat_load_dword v1, v[2:3]
	ds_read_b32 v4, v0
	s_mov_b64 s[28:29], s[8:9]
                                        ; implicit-def: $vgpr14_vgpr15
                                        ; implicit-def: $vgpr5_vgpr6
                                        ; kill: killed $vgpr5_vgpr6
                                        ; implicit-def: $vgpr21_vgpr22
	s_waitcnt lgkmcnt(0)
	v_readfirstlane_b32 s50, v4
	s_waitcnt vmcnt(0)
	v_cmp_ne_u32_sdwa s[4:5], v4, v1 src0_sel:DWORD src1_sel:BYTE_0
	s_and_saveexec_b64 s[6:7], s[4:5]
	s_xor_b64 s[4:5], exec, s[6:7]
	s_cbranch_execz .LBB4_6
; %bb.1:
	v_not_b32_sdwa v0, v1 dst_sel:DWORD dst_unused:UNUSED_PAD src0_sel:BYTE_0
	v_cmp_ne_u32_sdwa s[6:7], v4, v1 src0_sel:DWORD src1_sel:BYTE_1
                                        ; implicit-def: $vgpr14_vgpr15
                                        ; implicit-def: $vgpr5_vgpr6
                                        ; kill: killed $vgpr5_vgpr6
                                        ; implicit-def: $vgpr21_vgpr22
	s_and_saveexec_b64 s[8:9], s[6:7]
	s_xor_b64 s[6:7], exec, s[8:9]
	s_cbranch_execz .LBB4_3
; %bb.2:
	flat_load_dwordx4 v[5:8], v[2:3] offset:72
	flat_load_dwordx2 v[9:10], v[2:3] offset:96
	v_add_u32_e32 v0, v4, v0
	v_ashrrev_i32_e32 v1, 31, v0
	s_waitcnt vmcnt(0) lgkmcnt(0)
	v_mul_lo_u32 v1, v7, v1
	v_mad_u64_u32 v[4:5], s[8:9], v7, v0, v[5:6]
	v_mul_lo_u32 v0, v8, v0
	v_mov_b32_e32 v22, v8
	v_lshrrev_b64 v[14:15], 13, v[9:10]
	v_mov_b32_e32 v21, v7
	v_add3_u32 v5, v0, v5, v1
	buffer_store_dword v4, off, s[0:3], s33 offset:260 ; 4-byte Folded Spill
	s_nop 0
	buffer_store_dword v5, off, s[0:3], s33 offset:264 ; 4-byte Folded Spill
                                        ; implicit-def: $vgpr1
                                        ; implicit-def: $vgpr0
.LBB4_3:
	s_andn2_saveexec_b64 s[6:7], s[6:7]
	s_cbranch_execz .LBB4_5
; %bb.4:
	flat_load_dwordx4 v[4:7], v[2:3] offset:72
	flat_load_dwordx4 v[21:24], v[2:3] offset:88
	v_add_u32_sdwa v0, v1, v0 dst_sel:DWORD dst_unused:UNUSED_PAD src0_sel:BYTE_1 src1_sel:DWORD
	v_ashrrev_i32_e32 v1, 31, v0
	s_waitcnt vmcnt(0) lgkmcnt(0)
	v_mul_lo_u32 v1, v6, v1
	v_mad_u64_u32 v[4:5], s[8:9], v6, v0, v[4:5]
	v_mul_lo_u32 v0, v7, v0
	v_lshrrev_b32_e32 v14, 2, v24
	v_add3_u32 v5, v0, v5, v1
	buffer_store_dword v4, off, s[0:3], s33 offset:260 ; 4-byte Folded Spill
	s_nop 0
	buffer_store_dword v5, off, s[0:3], s33 offset:264 ; 4-byte Folded Spill
.LBB4_5:
	s_or_b64 exec, exec, s[6:7]
.LBB4_6:
	s_andn2_saveexec_b64 s[4:5], s[4:5]
	s_cbranch_execz .LBB4_8
; %bb.7:
	flat_load_dwordx2 v[0:1], v[2:3] offset:96
	flat_load_dwordx2 v[21:22], v[2:3] offset:72
	s_waitcnt vmcnt(0) lgkmcnt(0)
	v_lshlrev_b64 v[14:15], 8, v[0:1]
	v_mov_b32_e32 v0, 0
	v_mov_b32_e32 v1, 0
	buffer_store_dword v0, off, s[0:3], s33 offset:260 ; 4-byte Folded Spill
	s_nop 0
	buffer_store_dword v1, off, s[0:3], s33 offset:264 ; 4-byte Folded Spill
.LBB4_8:
	s_or_b64 exec, exec, s[4:5]
	s_trap 2
	ds_read_b64 v[0:1], v0
	s_waitcnt lgkmcnt(0)
	v_cmp_ne_u32_e32 vcc, -1, v0
	v_cndmask_b32_e64 v4, 0, 1, vcc
	v_cmp_ne_u32_e32 vcc, -1, v1
	v_addc_co_u32_e64 v0, s[4:5], 0, v4, vcc
	v_lshlrev_b32_e32 v1, 1, v0
	v_cmp_le_u32_e64 s[4:5], v1, v19
	s_and_saveexec_b64 s[6:7], s[4:5]
	s_xor_b64 s[6:7], exec, s[6:7]
                                        ; implicit-def: $vgpr62 : SGPR spill to VGPR lane
	v_writelane_b32 v62, s6, 0
	v_writelane_b32 v62, s7, 1
	s_cbranch_execz .LBB4_2270
; %bb.9:
	flat_load_dwordx4 v[10:13], v[2:3] offset:16
	flat_load_dwordx2 v[15:16], v[2:3] offset:104
	flat_load_ushort v7, v[2:3] offset:8
	flat_load_dword v6, v[2:3] offset:4
	s_trap 2
	s_load_dword s4, s[28:29], 0x0
	v_mov_b32_e32 v1, 0
	v_mov_b32_e32 v5, 4
	s_waitcnt lgkmcnt(0)
	s_cmp_lt_u32 s12, s4
	s_cselect_b32 s4, 12, 18
	s_add_u32 s4, s28, s4
	s_addc_u32 s5, s29, 0
	global_load_ushort v20, v1, s[4:5]
	ds_read_b32 v1, v0
	s_waitcnt lgkmcnt(0)
	v_readfirstlane_b32 s8, v1
	buffer_load_dword v1, off, s[0:3], s33 offset:204 ; 4-byte Folded Reload
	s_waitcnt vmcnt(0)
	v_cmp_ge_u32_e64 s[4:5], v1, v4
	s_and_saveexec_b64 s[6:7], s[4:5]
	s_cbranch_execz .LBB4_19
; %bb.10:
	buffer_load_dword v1, off, s[0:3], s33 offset:204 ; 4-byte Folded Reload
                                        ; implicit-def: $vgpr5
	s_waitcnt vmcnt(0)
	v_cmp_ge_u32_e64 s[4:5], v1, v0
	s_and_saveexec_b64 s[10:11], s[4:5]
	s_xor_b64 s[4:5], exec, s[10:11]
	s_cbranch_execz .LBB4_16
; %bb.11:
	buffer_load_dword v5, off, s[0:3], s33 offset:204 ; 4-byte Folded Reload
	v_cndmask_b32_e64 v1, 0, 1, vcc
	v_sub_u32_e32 v1, v19, v1
	s_waitcnt vmcnt(0)
	v_cmp_ge_u32_e32 vcc, v5, v1
	s_and_saveexec_b64 s[10:11], vcc
	s_xor_b64 s[10:11], exec, s[10:11]
; %bb.12:
                                        ; implicit-def: $vgpr0
; %bb.13:
	s_or_saveexec_b64 s[10:11], s[10:11]
	v_mov_b32_e32 v5, 16
	s_xor_b64 exec, exec, s[10:11]
	s_cbranch_execz .LBB4_15
; %bb.14:
	buffer_load_dword v1, off, s[0:3], s33 offset:204 ; 4-byte Folded Reload
	v_sub_u32_e32 v0, v19, v0
	s_waitcnt vmcnt(0)
	v_cmp_lt_i32_e32 vcc, v1, v0
	v_cndmask_b32_e64 v5, 32, 0, vcc
.LBB4_15:
	s_or_b64 exec, exec, s[10:11]
.LBB4_16:
	s_andn2_saveexec_b64 s[4:5], s[4:5]
; %bb.17:
	v_mov_b32_e32 v5, 8
; %bb.18:
	s_or_b64 exec, exec, s[4:5]
.LBB4_19:
	s_or_b64 exec, exec, s[6:7]
	v_and_b32_e32 v0, 36, v5
	v_cmp_ne_u32_e32 vcc, 0, v0
	v_mov_b32_e32 v8, -1
	s_and_saveexec_b64 s[4:5], vcc
	s_cbranch_execz .LBB4_21
; %bb.20:
	s_trap 2
	ds_read_b32 v8, v0
.LBB4_21:
	s_or_b64 exec, exec, s[4:5]
	v_and_b32_e32 v0, 24, v5
	v_cmp_ne_u32_e64 s[4:5], 0, v0
	s_and_saveexec_b64 s[6:7], s[4:5]
	s_cbranch_execz .LBB4_23
; %bb.22:
	s_trap 2
	s_waitcnt lgkmcnt(0)
	ds_read_b32 v8, v0
.LBB4_23:
	s_or_b64 exec, exec, s[6:7]
	v_lshrrev_b64 v[0:1], 31, v[6:7]
	v_mov_b32_e32 v6, 0
	v_mov_b32_e32 v7, 0
	buffer_store_dword v6, off, s[0:3], s33 offset:292 ; 4-byte Folded Spill
	s_nop 0
	buffer_store_dword v7, off, s[0:3], s33 offset:296 ; 4-byte Folded Spill
	v_mov_b32_e32 v6, 0
	v_mov_b32_e32 v7, 0
	buffer_store_dword v6, off, s[0:3], s33 offset:148 ; 4-byte Folded Spill
	s_nop 0
	buffer_store_dword v7, off, s[0:3], s33 offset:152 ; 4-byte Folded Spill
	s_waitcnt lgkmcnt(0)
	buffer_store_dword v8, off, s[0:3], s33 offset:156 ; 4-byte Folded Spill
	buffer_store_dword v9, off, s[0:3], s33 offset:160 ; 4-byte Folded Spill
	v_and_b32_e32 v0, 3, v0
                                        ; implicit-def: $vgpr6_vgpr7
                                        ; kill: killed $vgpr6_vgpr7
                                        ; implicit-def: $vgpr1
                                        ; kill: killed $vgpr1
                                        ; implicit-def: $vgpr46_vgpr47
                                        ; implicit-def: $vgpr6_vgpr7
                                        ; kill: killed $vgpr6_vgpr7
                                        ; implicit-def: $vgpr38_vgpr39
                                        ; implicit-def: $vgpr32_vgpr33
	s_and_saveexec_b64 s[4:5], vcc
	s_cbranch_execz .LBB4_33
; %bb.24:
	s_trap 2
	ds_read_b64 v[6:7], v0
	v_ashrrev_i32_e32 v9, 31, v8
	v_lshlrev_b64 v[17:18], 3, v[8:9]
	v_and_b32_e32 v1, 0xffff, v0
	s_movk_i32 s6, 0xa8
	s_waitcnt lgkmcnt(0)
	v_add_co_u32_e32 v6, vcc, v6, v17
	v_addc_co_u32_e32 v7, vcc, v7, v18, vcc
	flat_load_dwordx2 v[6:7], v[6:7]
	s_waitcnt vmcnt(0) lgkmcnt(0)
	v_mad_u64_u32 v[17:18], s[6:7], v1, s6, v[6:7]
                                        ; implicit-def: $vgpr6_vgpr7
                                        ; kill: killed $vgpr6_vgpr7
	flat_load_dword v1, v[17:18] offset:640
	s_waitcnt vmcnt(0) lgkmcnt(0)
	v_cmp_eq_u32_e32 vcc, 1, v1
	s_and_saveexec_b64 s[6:7], vcc
	s_cbranch_execz .LBB4_26
; %bb.25:
	flat_load_dwordx2 v[23:24], v[17:18] offset:648
	v_or_b32_e32 v5, 0x2000, v5
	s_waitcnt vmcnt(0) lgkmcnt(0)
	flat_load_dwordx2 v[6:7], v[23:24]
	s_trap 2
	s_waitcnt vmcnt(0) lgkmcnt(0)
	ds_write_b64 v0, v[6:7]
	flat_load_dwordx2 v[6:7], v[23:24] offset:8
	s_waitcnt vmcnt(0) lgkmcnt(0)
	ds_write_b64 v0, v[6:7]
	buffer_store_dword v23, off, s[0:3], s33 offset:312 ; 4-byte Folded Spill
	s_nop 0
	buffer_store_dword v24, off, s[0:3], s33 offset:316 ; 4-byte Folded Spill
	flat_load_dwordx2 v[6:7], v[23:24] offset:16
	s_waitcnt vmcnt(0) lgkmcnt(0)
	ds_write_b64 v0, v[6:7]
.LBB4_26:
	s_or_b64 exec, exec, s[6:7]
	flat_load_dwordx2 v[6:7], v[17:18] offset:608
	v_and_b32_e32 v1, 32, v5
                                        ; implicit-def: $vgpr32_vgpr33
	s_waitcnt vmcnt(0) lgkmcnt(0)
	v_add_co_u32_e32 v6, vcc, 3, v6
	v_addc_co_u32_e32 v47, vcc, 0, v7, vcc
	v_and_b32_e32 v46, -4, v6
	v_cmp_ne_u32_e32 vcc, 0, v1
	s_and_saveexec_b64 s[6:7], vcc
	s_cbranch_execz .LBB4_28
; %bb.27:
	flat_load_dwordx2 v[32:33], v[17:18] offset:560
	s_waitcnt vmcnt(0) lgkmcnt(0)
	flat_store_dwordx2 v[32:33], v[46:47]
.LBB4_28:
	s_or_b64 exec, exec, s[6:7]
	v_add_co_u32_e32 v6, vcc, 0x1f8, v17
	v_addc_co_u32_e32 v7, vcc, 0, v18, vcc
	buffer_store_dword v6, off, s[0:3], s33 offset:292 ; 4-byte Folded Spill
	s_nop 0
	buffer_store_dword v7, off, s[0:3], s33 offset:296 ; 4-byte Folded Spill
	v_mov_b32_e32 v6, 0
	v_and_b32_e32 v1, 4, v5
	v_mov_b32_e32 v7, 0
	buffer_store_dword v6, off, s[0:3], s33 offset:148 ; 4-byte Folded Spill
	s_nop 0
	buffer_store_dword v7, off, s[0:3], s33 offset:152 ; 4-byte Folded Spill
	buffer_store_dword v8, off, s[0:3], s33 offset:156 ; 4-byte Folded Spill
	;; [unrolled: 1-line block ×3, first 2 shown]
	v_cmp_ne_u32_e32 vcc, 0, v1
                                        ; implicit-def: $vgpr1
                                        ; kill: killed $vgpr1
                                        ; implicit-def: $vgpr6_vgpr7
                                        ; kill: killed $vgpr6_vgpr7
                                        ; implicit-def: $vgpr38_vgpr39
	s_and_saveexec_b64 s[6:7], vcc
	s_cbranch_execz .LBB4_32
; %bb.29:
	v_and_b32_e32 v1, 0x800, v5
	v_cmp_eq_u32_e32 vcc, 0, v1
	s_and_saveexec_b64 s[10:11], vcc
	s_cbranch_execz .LBB4_31
; %bb.30:
	s_trap 2
	buffer_load_dword v6, off, s[0:3], s33 offset:292 ; 4-byte Folded Reload
	buffer_load_dword v7, off, s[0:3], s33 offset:296 ; 4-byte Folded Reload
	s_waitcnt vmcnt(0)
	ds_write_b64 v0, v[6:7]
.LBB4_31:
	s_or_b64 exec, exec, s[10:11]
	flat_load_dwordx2 v[32:33], v[17:18] offset:552
	s_waitcnt vmcnt(0) lgkmcnt(0)
	flat_load_dwordx2 v[38:39], v[32:33] glc
	flat_load_dword v1, v[17:18] offset:576
	flat_load_dwordx2 v[23:24], v[17:18] offset:600
	flat_load_dwordx2 v[6:7], v[17:18] offset:520
	s_waitcnt vmcnt(0) lgkmcnt(0)
	buffer_store_dword v6, off, s[0:3], s33 offset:140 ; 4-byte Folded Spill
	s_nop 0
	buffer_store_dword v7, off, s[0:3], s33 offset:144 ; 4-byte Folded Spill
	v_cmp_eq_u64_e32 vcc, 0, v[23:24]
	v_or_b32_e32 v6, 0x100, v5
	v_mov_b32_e32 v17, v23
	v_ashrrev_i32_e32 v1, 1, v1
	v_mov_b32_e32 v18, v24
	v_cndmask_b32_e32 v5, v6, v5, vcc
	buffer_store_dword v1, off, s[0:3], s33 offset:172 ; 4-byte Folded Spill
	buffer_store_dword v17, off, s[0:3], s33 offset:148 ; 4-byte Folded Spill
	s_nop 0
	buffer_store_dword v18, off, s[0:3], s33 offset:152 ; 4-byte Folded Spill
	buffer_store_dword v19, off, s[0:3], s33 offset:156 ; 4-byte Folded Spill
	;; [unrolled: 1-line block ×3, first 2 shown]
.LBB4_32:
	s_or_b64 exec, exec, s[6:7]
.LBB4_33:
	s_or_b64 exec, exec, s[4:5]
	v_and_b32_e32 v1, 24, v5
	v_cmp_ne_u32_e32 vcc, 0, v1
                                        ; implicit-def: $vgpr6_vgpr7
                                        ; kill: killed $vgpr6_vgpr7
	s_and_saveexec_b64 s[4:5], vcc
	s_cbranch_execz .LBB4_41
; %bb.34:
	s_trap 2
	ds_read_b64 v[6:7], v0
	v_ashrrev_i32_e32 v9, 31, v8
	v_lshlrev_b64 v[8:9], 3, v[8:9]
	v_and_b32_e32 v0, 0xffff, v0
	s_movk_i32 s6, 0xa8
	s_waitcnt lgkmcnt(0)
	v_add_co_u32_e32 v6, vcc, v6, v8
	v_addc_co_u32_e32 v7, vcc, v7, v9, vcc
	flat_load_dwordx2 v[6:7], v[6:7]
	s_waitcnt vmcnt(0) lgkmcnt(0)
	v_mad_u64_u32 v[0:1], s[6:7], v0, s6, v[6:7]
	buffer_store_dword v0, off, s[0:3], s33 offset:292 ; 4-byte Folded Spill
	s_nop 0
	buffer_store_dword v1, off, s[0:3], s33 offset:296 ; 4-byte Folded Spill
	flat_load_dwordx4 v[6:9], v[0:1] offset:96
	v_or_b32_e32 v0, 0x100, v5
	s_waitcnt vmcnt(0) lgkmcnt(0)
	buffer_store_dword v6, off, s[0:3], s33 offset:148 ; 4-byte Folded Spill
	s_nop 0
	buffer_store_dword v7, off, s[0:3], s33 offset:152 ; 4-byte Folded Spill
	buffer_store_dword v8, off, s[0:3], s33 offset:156 ; 4-byte Folded Spill
	;; [unrolled: 1-line block ×3, first 2 shown]
	v_cmp_eq_u64_e32 vcc, 0, v[6:7]
	v_cndmask_b32_e32 v5, v0, v5, vcc
	v_and_b32_e32 v0, 16, v5
	v_cmp_ne_u32_e32 vcc, 0, v0
                                        ; implicit-def: $vgpr0_vgpr1
                                        ; kill: killed $vgpr0_vgpr1
	s_and_saveexec_b64 s[6:7], vcc
	s_cbranch_execz .LBB4_36
; %bb.35:
	buffer_load_dword v0, off, s[0:3], s33 offset:292 ; 4-byte Folded Reload
	buffer_load_dword v1, off, s[0:3], s33 offset:296 ; 4-byte Folded Reload
	s_waitcnt vmcnt(0)
	flat_load_dwordx2 v[32:33], v[0:1] offset:48
	flat_load_dwordx2 v[6:7], v[0:1] offset:120
	s_waitcnt vmcnt(0) lgkmcnt(0)
	buffer_store_dword v6, off, s[0:3], s33 offset:164 ; 4-byte Folded Spill
	s_nop 0
	buffer_store_dword v7, off, s[0:3], s33 offset:168 ; 4-byte Folded Spill
	flat_load_dwordx2 v[0:1], v[0:1] offset:16
	s_waitcnt vmcnt(0) lgkmcnt(0)
	buffer_store_dword v0, off, s[0:3], s33 offset:140 ; 4-byte Folded Spill
	s_nop 0
	buffer_store_dword v1, off, s[0:3], s33 offset:144 ; 4-byte Folded Spill
.LBB4_36:
	s_or_b64 exec, exec, s[6:7]
	buffer_load_dword v6, off, s[0:3], s33 offset:148 ; 4-byte Folded Reload
	buffer_load_dword v7, off, s[0:3], s33 offset:152 ; 4-byte Folded Reload
	;; [unrolled: 1-line block ×4, first 2 shown]
	s_waitcnt vmcnt(1)
	v_add_co_u32_e32 v0, vcc, 3, v8
	s_waitcnt vmcnt(0)
	v_addc_co_u32_e32 v47, vcc, 0, v9, vcc
	v_and_b32_e32 v46, -4, v0
	v_and_b32_e32 v0, 8, v5
	v_cmp_ne_u32_e32 vcc, 0, v0
	s_and_saveexec_b64 s[6:7], vcc
	s_cbranch_execz .LBB4_40
; %bb.37:
	v_and_b32_e32 v0, 0x800, v5
	v_cmp_eq_u32_e32 vcc, 0, v0
	s_and_saveexec_b64 s[10:11], vcc
	s_cbranch_execz .LBB4_39
; %bb.38:
	s_trap 2
	buffer_load_dword v0, off, s[0:3], s33 offset:292 ; 4-byte Folded Reload
	buffer_load_dword v1, off, s[0:3], s33 offset:296 ; 4-byte Folded Reload
	s_waitcnt vmcnt(0)
	ds_write_b64 v0, v[0:1]
.LBB4_39:
	s_or_b64 exec, exec, s[10:11]
	buffer_load_dword v6, off, s[0:3], s33 offset:292 ; 4-byte Folded Reload
	buffer_load_dword v7, off, s[0:3], s33 offset:296 ; 4-byte Folded Reload
	s_waitcnt vmcnt(0)
	flat_load_dwordx2 v[32:33], v[6:7] offset:56
	s_waitcnt vmcnt(0) lgkmcnt(0)
	flat_load_dwordx2 v[38:39], v[32:33] glc
	flat_load_dword v0, v[6:7] offset:72
	s_nop 0
	flat_load_dwordx2 v[6:7], v[6:7] offset:16
	s_waitcnt vmcnt(0) lgkmcnt(0)
	buffer_store_dword v6, off, s[0:3], s33 offset:140 ; 4-byte Folded Spill
	s_nop 0
	buffer_store_dword v7, off, s[0:3], s33 offset:144 ; 4-byte Folded Spill
	v_ashrrev_i32_e32 v0, 1, v0
	buffer_store_dword v0, off, s[0:3], s33 offset:172 ; 4-byte Folded Spill
.LBB4_40:
	s_or_b64 exec, exec, s[6:7]
.LBB4_41:
	s_or_b64 exec, exec, s[4:5]
	buffer_load_dword v0, off, s[0:3], s33 offset:204 ; 4-byte Folded Reload
	s_waitcnt vmcnt(0)
	v_cmp_eq_u32_e64 s[4:5], 0, v0
	s_and_saveexec_b64 s[6:7], s[4:5]
	s_cbranch_execz .LBB4_43
; %bb.42:
	flat_load_dwordx2 v[0:1], v[2:3] offset:32
	v_mov_b32_e32 v6, v12
	v_mov_b32_e32 v7, v13
	;; [unrolled: 1-line block ×4, first 2 shown]
	s_waitcnt vmcnt(0) lgkmcnt(0)
	ds_write2_b64 v0, v[6:7], v[8:9] offset1:1
	s_trap 2
	ds_write_b64 v0, v[0:1]
	ds_write_b64 v0, v[15:16]
.LBB4_43:
	s_or_b64 exec, exec, s[6:7]
	v_mov_b32_e32 v48, 0
	v_mov_b32_e32 v49, 0
	v_cmp_lt_i64_e32 vcc, 0, v[21:22]
	s_mov_b64 s[6:7], exec
	v_writelane_b32 v62, s6, 2
	v_writelane_b32 v62, s7, 3
	s_and_b64 s[6:7], s[6:7], vcc
	s_mov_b64 exec, s[6:7]
	s_cbranch_execz .LBB4_2236
; %bb.44:
	flat_load_dword v0, v[2:3] offset:4
	buffer_load_dword v8, off, s[0:3], s33 offset:204 ; 4-byte Folded Reload
	v_mov_b32_e32 v2, 0
	buffer_load_dword v3, off, s[0:3], s33 offset:172 ; 4-byte Folded Reload
	v_lshrrev_b32_e32 v57, 6, v19
	v_and_b32_e32 v13, 0x1fffff00, v14
	buffer_store_dword v31, off, s[0:3], s33 offset:304 ; 4-byte Folded Spill
	s_movk_i32 s24, 0x800
	v_mov_b32_e32 v14, v2
	s_ashr_i32 s9, s8, 31
	v_mov_b32_e32 v6, 0xfffffe00
	s_movk_i32 s26, 0x200
	s_lshr_b32 s9, s9, 29
	v_lshl_add_u32 v54, v57, 9, v6
	v_and_b32_e32 v1, 63, v31
	s_add_i32 s8, s8, s9
	v_ashrrev_i32_e32 v55, 31, v54
	v_writelane_b32 v62, s28, 4
	s_ashr_i32 s51, s50, 31
	s_ashr_i32 s9, s8, 4
	v_writelane_b32 v62, s29, 5
	s_movk_i32 s52, 0x400
	s_movk_i32 s27, 0x80
	v_cmp_eq_u32_e64 s[6:7], 64, v19
	v_cmp_ne_u32_e64 s[10:11], 64, v19
	v_cmp_ne_u32_sdwa s[58:59], v19, v20 src0_sel:DWORD src1_sel:WORD_0
	v_mov_b32_e32 v48, 0
	s_mov_b64 s[60:61], 0
	v_mov_b32_e32 v49, 0
	s_movk_i32 s56, 0x108
	s_mov_b32 s57, 0x7f800000
	s_movk_i32 s46, 0x7fff
	s_mov_b32 s47, 0xffff0000
	s_waitcnt vmcnt(0) lgkmcnt(0)
	v_and_b32_e32 v0, 1, v0
	v_and_b32_e32 v11, 63, v8
	v_lshrrev_b32_e32 v12, 6, v8
	v_ashrrev_i32_e32 v3, 31, v3
	buffer_store_dword v3, off, s[0:3], s33 offset:176 ; 4-byte Folded Spill
	v_mov_b32_e32 v3, 0xfffff800
	v_lshlrev_b32_e32 v7, 4, v11
	s_trap 2
	buffer_store_dword v20, off, s[0:3], s33 offset:308 ; 4-byte Folded Spill
	buffer_store_dword v19, off, s[0:3], s33 offset:300 ; 4-byte Folded Spill
	v_cmp_lt_u32_e64 s[20:21], v11, v4
	v_lshl_add_u32 v3, v57, 11, v3
	v_cmp_le_u32_e64 s[22:23], v11, v4
	v_lshl_or_b32 v4, v12, 11, v7
	buffer_load_dword v9, off, s[0:3], s33 offset:164 ; 4-byte Folded Reload
	buffer_load_dword v10, off, s[0:3], s33 offset:168 ; 4-byte Folded Reload
	s_nop 0
	buffer_store_dword v13, off, s[0:3], s33 offset:224 ; 4-byte Folded Spill
	s_nop 0
	buffer_store_dword v14, off, s[0:3], s33 offset:228 ; 4-byte Folded Spill
	buffer_store_dword v4, off, s[0:3], s33 offset:212 ; 4-byte Folded Spill
	v_ashrrev_i32_e32 v4, 31, v3
	v_add_co_u32_e64 v7, s[24:25], s24, v3
	buffer_store_dword v11, off, s[0:3], s33 offset:188 ; 4-byte Folded Spill
	buffer_store_dword v12, off, s[0:3], s33 offset:208 ; 4-byte Folded Spill
	;; [unrolled: 1-line block ×4, first 2 shown]
	s_nop 0
	buffer_store_dword v4, off, s[0:3], s33 offset:184 ; 4-byte Folded Spill
	v_cmp_ge_u32_e32 vcc, v8, v19
	v_mov_b32_e32 v18, 0
	v_cmp_eq_u32_e64 s[18:19], 0, v11
	v_mov_b32_e32 v19, 0
	v_mad_i64_i32 v[16:17], s[16:17], v13, s50, 0
	v_cmp_eq_u32_e64 s[16:17], 0, v1
	v_lshlrev_b32_e32 v1, 10, v57
	v_add_u32_e32 v6, 0xfffffc00, v1
	s_waitcnt vmcnt(8)
	v_cmp_eq_u64_e64 s[12:13], 0, v[9:10]
	v_cmp_ne_u64_e64 s[14:15], 0, v[9:10]
	v_addc_co_u32_e64 v3, s[24:25], 0, v4, s[24:25]
	v_add_co_u32_e64 v44, s[24:25], s26, v54
	v_addc_co_u32_e64 v45, s[24:25], 0, v55, s[24:25]
	s_add_u32 s24, s50, -1
	v_lshlrev_b32_e32 v9, 7, v57
	v_ashrrev_i32_e32 v43, 31, v6
	v_writelane_b32 v62, s24, 6
	v_add_co_u32_e64 v36, s[24:25], s52, v6
	v_add_u32_e32 v40, 0xffffff80, v9
	v_addc_co_u32_e64 v37, s[24:25], 0, v43, s[24:25]
	buffer_store_dword v3, off, s[0:3], s33 offset:136 ; 4-byte Folded Spill
	v_ashrrev_i32_e32 v41, 31, v40
	v_add_co_u32_e64 v3, s[24:25], s27, v40
	v_addc_co_u32_e64 v7, s[24:25], 0, v41, s[24:25]
	s_addc_u32 s24, s51, -1
	v_writelane_b32 v62, s24, 7
	s_add_i32 s55, s50, s50
	s_not_b32 s24, s50
	s_cmp_gt_i32 s50, 0
	s_cselect_b32 s24, s24, -1
	s_ashr_i32 s8, s8, 31
	s_lshr_b32 s8, s8, 28
	s_add_i32 s64, s24, s55
	s_add_i32 s9, s9, s8
	s_ashr_i32 s65, s64, 31
	s_ashr_i32 s66, s9, 4
	s_cmp_gt_i32 s50, 2
	s_cselect_b64 s[62:63], -1, 0
	s_lshr_b32 s8, s33, 6
	s_add_i32 s67, s8, 0x70
	s_lshr_b32 s8, s33, 6
	s_add_i32 s68, s8, 0x50
	;; [unrolled: 2-line block ×10, first 2 shown]
	s_lshr_b32 s8, s33, 6
	v_cmp_eq_u32_e64 s[24:25], 1, v0
	s_add_i32 s85, s8, 0x70
	s_lshr_b32 s8, s33, 6
	s_xor_b64 s[72:73], s[24:25], -1
	s_add_i32 s86, s8, 0x50
	s_add_i32 s8, s50, 1
	s_cmp_ge_i32 s8, s50
	s_cselect_b32 s9, s50, 0
	s_sub_i32 s87, s8, s9
	v_lshlrev_b32_e32 v0, 4, v8
	s_ashr_i32 s96, s87, 31
	s_add_i32 s97, s50, -2
	s_xor_b64 s[74:75], vcc, -1
	buffer_store_dword v3, off, s[0:3], s33 offset:128 ; 4-byte Folded Spill
	buffer_store_dword v0, off, s[0:3], s33 offset:200 ; 4-byte Folded Spill
	;; [unrolled: 1-line block ×3, first 2 shown]
	s_nop 0
	buffer_store_dword v22, off, s[0:3], s33 offset:272 ; 4-byte Folded Spill
	buffer_store_dword v23, off, s[0:3], s33 offset:276 ; 4-byte Folded Spill
	;; [unrolled: 1-line block ×4, first 2 shown]
	s_nop 0
	buffer_store_dword v17, off, s[0:3], s33 offset:288 ; 4-byte Folded Spill
	s_branch .LBB4_47
.LBB4_45:                               ;   in Loop: Header=BB4_47 Depth=1
	s_or_b64 exec, exec, s[40:41]
.LBB4_46:                               ;   in Loop: Header=BB4_47 Depth=1
	s_or_b64 exec, exec, s[28:29]
	buffer_load_dword v16, off, s[0:3], s33 offset:284 ; 4-byte Folded Reload
	buffer_load_dword v17, off, s[0:3], s33 offset:288 ; 4-byte Folded Reload
	buffer_load_dword v18, off, s[0:3], s33 offset:240 ; 4-byte Folded Reload
	buffer_load_dword v19, off, s[0:3], s33 offset:244 ; 4-byte Folded Reload
	buffer_load_dword v21, off, s[0:3], s33 offset:268 ; 4-byte Folded Reload
	buffer_load_dword v22, off, s[0:3], s33 offset:272 ; 4-byte Folded Reload
	buffer_load_dword v23, off, s[0:3], s33 offset:276 ; 4-byte Folded Reload
	buffer_load_dword v24, off, s[0:3], s33 offset:280 ; 4-byte Folded Reload
	s_waitcnt vmcnt(0)
	v_add_co_u32_e32 v18, vcc, v18, v16
	v_addc_co_u32_e32 v19, vcc, v19, v17, vcc
	v_cmp_ge_i64_e32 vcc, v[18:19], v[21:22]
	s_or_b64 s[60:61], vcc, s[60:61]
	s_andn2_b64 exec, exec, s[60:61]
	s_cbranch_execz .LBB4_2235
.LBB4_47:                               ; =>This Loop Header: Depth=1
                                        ;     Child Loop BB4_57 Depth 2
                                        ;       Child Loop BB4_65 Depth 3
                                        ;       Child Loop BB4_89 Depth 3
	;; [unrolled: 1-line block ×9, first 2 shown]
                                        ;     Child Loop BB4_228 Depth 2
                                        ;       Child Loop BB4_234 Depth 3
                                        ;       Child Loop BB4_258 Depth 3
	;; [unrolled: 1-line block ×3, first 2 shown]
                                        ;     Child Loop BB4_300 Depth 2
                                        ;       Child Loop BB4_303 Depth 3
                                        ;         Child Loop BB4_311 Depth 4
                                        ;         Child Loop BB4_339 Depth 4
	;; [unrolled: 1-line block ×4, first 2 shown]
                                        ;           Child Loop BB4_388 Depth 5
                                        ;           Child Loop BB4_425 Depth 5
                                        ;         Child Loop BB4_500 Depth 4
                                        ;           Child Loop BB4_501 Depth 5
                                        ;           Child Loop BB4_538 Depth 5
                                        ;         Child Loop BB4_615 Depth 4
                                        ;         Child Loop BB4_674 Depth 4
                                        ;           Child Loop BB4_675 Depth 5
                                        ;           Child Loop BB4_684 Depth 5
                                        ;         Child Loop BB4_703 Depth 4
                                        ;         Child Loop BB4_722 Depth 4
                                        ;       Child Loop BB4_741 Depth 3
                                        ;         Child Loop BB4_747 Depth 4
                                        ;         Child Loop BB4_775 Depth 4
	;; [unrolled: 1-line block ×3, first 2 shown]
                                        ;     Child Loop BB4_816 Depth 2
                                        ;       Child Loop BB4_824 Depth 3
                                        ;       Child Loop BB4_852 Depth 3
	;; [unrolled: 1-line block ×4, first 2 shown]
                                        ;         Child Loop BB4_895 Depth 4
                                        ;         Child Loop BB4_930 Depth 4
	;; [unrolled: 1-line block ×4, first 2 shown]
                                        ;       Child Loop BB4_1009 Depth 3
                                        ;       Child Loop BB4_1014 Depth 3
                                        ;         Child Loop BB4_1015 Depth 4
                                        ;         Child Loop BB4_1050 Depth 4
	;; [unrolled: 1-line block ×4, first 2 shown]
                                        ;       Child Loop BB4_1126 Depth 3
                                        ;       Child Loop BB4_1134 Depth 3
	;; [unrolled: 1-line block ×3, first 2 shown]
                                        ;         Child Loop BB4_1196 Depth 4
                                        ;         Child Loop BB4_1203 Depth 4
	;; [unrolled: 1-line block ×4, first 2 shown]
                                        ;       Child Loop BB4_1222 Depth 3
                                        ;       Child Loop BB4_1234 Depth 3
                                        ;         Child Loop BB4_1235 Depth 4
                                        ;         Child Loop BB4_1272 Depth 4
                                        ;       Child Loop BB4_1349 Depth 3
                                        ;         Child Loop BB4_1350 Depth 4
                                        ;         Child Loop BB4_1387 Depth 4
                                        ;       Child Loop BB4_1464 Depth 3
                                        ;       Child Loop BB4_1523 Depth 3
                                        ;         Child Loop BB4_1524 Depth 4
                                        ;         Child Loop BB4_1533 Depth 4
                                        ;       Child Loop BB4_1552 Depth 3
                                        ;       Child Loop BB4_1575 Depth 3
                                        ;     Child Loop BB4_1593 Depth 2
                                        ;       Child Loop BB4_1599 Depth 3
                                        ;       Child Loop BB4_1627 Depth 3
                                        ;       Child Loop BB4_1650 Depth 3
                                        ;     Child Loop BB4_1669 Depth 2
                                        ;       Child Loop BB4_1672 Depth 3
                                        ;         Child Loop BB4_1680 Depth 4
                                        ;         Child Loop BB4_1708 Depth 4
	;; [unrolled: 1-line block ×4, first 2 shown]
                                        ;           Child Loop BB4_1752 Depth 5
                                        ;           Child Loop BB4_1757 Depth 5
                                        ;         Child Loop BB4_1770 Depth 4
                                        ;         Child Loop BB4_1775 Depth 4
                                        ;           Child Loop BB4_1777 Depth 5
                                        ;           Child Loop BB4_1782 Depth 5
                                        ;         Child Loop BB4_1788 Depth 4
                                        ;         Child Loop BB4_1796 Depth 4
	;; [unrolled: 1-line block ×3, first 2 shown]
                                        ;           Child Loop BB4_1808 Depth 5
                                        ;           Child Loop BB4_1813 Depth 5
                                        ;         Child Loop BB4_1817 Depth 4
                                        ;         Child Loop BB4_1829 Depth 4
	;; [unrolled: 1-line block ×7, first 2 shown]
                                        ;       Child Loop BB4_1921 Depth 3
                                        ;         Child Loop BB4_1927 Depth 4
                                        ;         Child Loop BB4_1955 Depth 4
                                        ;         Child Loop BB4_1978 Depth 4
                                        ;     Child Loop BB4_2000 Depth 2
                                        ;       Child Loop BB4_2008 Depth 3
                                        ;       Child Loop BB4_2032 Depth 3
	;; [unrolled: 1-line block ×9, first 2 shown]
                                        ;     Child Loop BB4_2169 Depth 2
                                        ;       Child Loop BB4_2175 Depth 3
                                        ;       Child Loop BB4_2199 Depth 3
	;; [unrolled: 1-line block ×3, first 2 shown]
	v_sub_co_u32_e32 v3, vcc, v21, v18
	v_subb_co_u32_e32 v4, vcc, v22, v19, vcc
	buffer_store_dword v3, off, s[0:3], s33 offset:216 ; 4-byte Folded Spill
	s_nop 0
	buffer_store_dword v4, off, s[0:3], s33 offset:220 ; 4-byte Folded Spill
	v_cmp_lt_i64_e32 vcc, v[3:4], v[16:17]
	s_and_saveexec_b64 s[28:29], vcc
	s_cbranch_execz .LBB4_53
; %bb.48:                               ;   in Loop: Header=BB4_47 Depth=1
	buffer_load_dword v8, off, s[0:3], s33 offset:216 ; 4-byte Folded Reload
	buffer_load_dword v9, off, s[0:3], s33 offset:220 ; 4-byte Folded Reload
	v_readlane_b32 s8, v62, 7
	v_mov_b32_e32 v3, s8
	v_readlane_b32 s8, v62, 6
	s_waitcnt vmcnt(0)
	v_add_co_u32_e32 v0, vcc, s8, v8
	s_waitcnt vmcnt(0)
	v_addc_co_u32_e32 v8, vcc, v3, v9, vcc
	v_or_b32_e32 v3, s51, v8
	v_cmp_ne_u64_e32 vcc, 0, v[2:3]
                                        ; implicit-def: $vgpr3_vgpr4
	s_and_saveexec_b64 s[8:9], vcc
	s_xor_b64 s[40:41], exec, s[8:9]
	s_cbranch_execz .LBB4_50
; %bb.49:                               ;   in Loop: Header=BB4_47 Depth=1
	s_ashr_i32 s42, s51, 31
	s_add_u32 s8, s50, s42
	s_mov_b32 s43, s42
	s_addc_u32 s9, s51, s42
	s_xor_b64 s[44:45], s[8:9], s[42:43]
	v_cvt_f32_u32_e32 v3, s44
	v_cvt_f32_u32_e32 v4, s45
	s_sub_u32 s26, 0, s44
	s_subb_u32 s27, 0, s45
	v_ashrrev_i32_e32 v10, 31, v8
	v_mac_f32_e32 v3, 0x4f800000, v4
	v_rcp_f32_e32 v3, v3
	v_add_co_u32_e32 v0, vcc, v0, v10
	v_xor_b32_e32 v0, v0, v10
	v_mul_f32_e32 v3, 0x5f7ffffc, v3
	v_mul_f32_e32 v4, 0x2f800000, v3
	v_trunc_f32_e32 v4, v4
	v_mac_f32_e32 v3, 0xcf800000, v4
	v_cvt_u32_f32_e32 v4, v4
	v_cvt_u32_f32_e32 v3, v3
	v_addc_co_u32_e32 v8, vcc, v8, v10, vcc
	v_readfirstlane_b32 s43, v4
	v_readfirstlane_b32 s8, v3
	s_mul_i32 s9, s26, s43
	s_mul_hi_u32 s77, s26, s8
	s_mul_i32 s76, s27, s8
	s_add_i32 s9, s77, s9
	s_add_i32 s9, s9, s76
	s_mul_i32 s78, s26, s8
	s_mul_i32 s77, s8, s9
	s_mul_hi_u32 s79, s8, s78
	s_mul_hi_u32 s76, s8, s9
	s_add_u32 s77, s79, s77
	s_addc_u32 s76, 0, s76
	s_mul_hi_u32 s88, s43, s78
	s_mul_i32 s78, s43, s78
	s_add_u32 s77, s77, s78
	s_mul_hi_u32 s79, s43, s9
	s_addc_u32 s76, s76, s88
	s_addc_u32 s77, s79, 0
	s_mul_i32 s9, s43, s9
	s_add_u32 s9, s76, s9
	s_addc_u32 s76, 0, s77
	s_add_u32 s77, s8, s9
	s_cselect_b64 s[8:9], -1, 0
	s_cmp_lg_u64 s[8:9], 0
	s_addc_u32 s43, s43, s76
	s_mul_i32 s8, s26, s43
	s_mul_hi_u32 s9, s26, s77
	s_add_i32 s8, s9, s8
	s_mul_i32 s27, s27, s77
	s_add_i32 s8, s8, s27
	s_mul_i32 s26, s26, s77
	s_mul_hi_u32 s27, s43, s26
	s_mul_i32 s76, s43, s26
	s_mul_i32 s79, s77, s8
	s_mul_hi_u32 s26, s77, s26
	s_mul_hi_u32 s78, s77, s8
	s_add_u32 s26, s26, s79
	s_addc_u32 s78, 0, s78
	s_add_u32 s26, s26, s76
	s_mul_hi_u32 s9, s43, s8
	s_addc_u32 s26, s78, s27
	s_addc_u32 s9, s9, 0
	s_mul_i32 s8, s43, s8
	s_add_u32 s8, s26, s8
	s_addc_u32 s26, 0, s9
	s_add_u32 s27, s77, s8
	s_cselect_b64 s[8:9], -1, 0
	s_cmp_lg_u64 s[8:9], 0
	s_addc_u32 s26, s43, s26
	v_mad_u64_u32 v[3:4], s[8:9], v0, s26, 0
	v_mul_hi_u32 v9, v0, s27
	v_xor_b32_e32 v11, v8, v10
	v_add_co_u32_e32 v12, vcc, v9, v3
	v_addc_co_u32_e32 v13, vcc, 0, v4, vcc
	v_mad_u64_u32 v[3:4], s[8:9], v11, s27, 0
	v_mad_u64_u32 v[8:9], s[8:9], v11, s26, 0
	v_add_co_u32_e32 v3, vcc, v12, v3
	v_addc_co_u32_e32 v3, vcc, v13, v4, vcc
	v_addc_co_u32_e32 v4, vcc, 0, v9, vcc
	v_add_co_u32_e32 v8, vcc, v3, v8
	v_addc_co_u32_e32 v9, vcc, 0, v4, vcc
	v_mul_lo_u32 v12, s45, v8
	v_mul_lo_u32 v13, s44, v9
	v_mad_u64_u32 v[3:4], s[8:9], s44, v8, 0
	v_add3_u32 v4, v4, v13, v12
	v_sub_u32_e32 v12, v11, v4
	v_mov_b32_e32 v13, s45
	v_sub_co_u32_e32 v0, vcc, v0, v3
	v_subb_co_u32_e64 v3, s[26:27], v12, v13, vcc
	v_subrev_co_u32_e64 v12, s[26:27], s44, v0
	v_subbrev_co_u32_e64 v3, s[26:27], 0, v3, s[26:27]
	v_cmp_le_u32_e64 s[26:27], s45, v3
	v_cndmask_b32_e64 v13, 0, -1, s[26:27]
	v_cmp_le_u32_e64 s[26:27], s44, v12
	v_cndmask_b32_e64 v12, 0, -1, s[26:27]
	v_cmp_eq_u32_e64 s[26:27], s45, v3
	v_cndmask_b32_e64 v3, v13, v12, s[26:27]
	v_add_co_u32_e64 v12, s[26:27], 2, v8
	v_subb_co_u32_e32 v4, vcc, v11, v4, vcc
	v_addc_co_u32_e64 v13, s[26:27], 0, v9, s[26:27]
	v_cmp_le_u32_e32 vcc, s45, v4
	v_add_co_u32_e64 v14, s[26:27], 1, v8
	v_cndmask_b32_e64 v11, 0, -1, vcc
	v_cmp_le_u32_e32 vcc, s44, v0
	v_addc_co_u32_e64 v15, s[26:27], 0, v9, s[26:27]
	v_cndmask_b32_e64 v0, 0, -1, vcc
	v_cmp_eq_u32_e32 vcc, s45, v4
	v_cmp_ne_u32_e64 s[26:27], 0, v3
	v_cndmask_b32_e32 v0, v11, v0, vcc
	v_cndmask_b32_e64 v3, v15, v13, s[26:27]
	v_cmp_ne_u32_e32 vcc, 0, v0
	v_cndmask_b32_e32 v0, v9, v3, vcc
	v_cndmask_b32_e64 v3, v14, v12, s[26:27]
	v_cndmask_b32_e32 v3, v8, v3, vcc
	v_xor_b32_e32 v4, s42, v10
	v_xor_b32_e32 v3, v3, v4
	;; [unrolled: 1-line block ×3, first 2 shown]
	v_sub_co_u32_e32 v3, vcc, v3, v4
	v_subb_co_u32_e32 v4, vcc, v0, v4, vcc
                                        ; implicit-def: $vgpr0
.LBB4_50:                               ;   in Loop: Header=BB4_47 Depth=1
	s_andn2_saveexec_b64 s[40:41], s[40:41]
	s_cbranch_execz .LBB4_52
; %bb.51:                               ;   in Loop: Header=BB4_47 Depth=1
	v_cvt_f32_u32_e32 v3, s50
	s_sub_i32 s8, 0, s50
	v_rcp_iflag_f32_e32 v3, v3
	v_mul_f32_e32 v3, 0x4f7ffffe, v3
	v_cvt_u32_f32_e32 v3, v3
	v_mul_lo_u32 v4, s8, v3
	v_mul_hi_u32 v4, v3, v4
	v_add_u32_e32 v3, v3, v4
	v_mul_hi_u32 v3, v0, v3
	v_mul_lo_u32 v4, v3, s50
	v_sub_u32_e32 v0, v0, v4
	v_cmp_le_u32_e32 vcc, s50, v0
	v_subrev_u32_e32 v4, s50, v0
	v_cndmask_b32_e32 v0, v0, v4, vcc
	v_cmp_le_u32_e64 s[26:27], s50, v0
	v_add_u32_e32 v0, 1, v3
	v_cndmask_b32_e32 v0, v3, v0, vcc
	v_add_u32_e32 v3, 1, v0
	v_cndmask_b32_e64 v3, v0, v3, s[26:27]
	v_mov_b32_e32 v4, v2
.LBB4_52:                               ;   in Loop: Header=BB4_47 Depth=1
	s_or_b64 exec, exec, s[40:41]
	v_add_co_u32_e32 v0, vcc, 7, v3
	v_addc_co_u32_e32 v4, vcc, 0, v4, vcc
	v_and_b32_e32 v3, -8, v0
	buffer_store_dword v3, off, s[0:3], s33 offset:224 ; 4-byte Folded Spill
	s_nop 0
	buffer_store_dword v4, off, s[0:3], s33 offset:228 ; 4-byte Folded Spill
.LBB4_53:                               ;   in Loop: Header=BB4_47 Depth=1
	s_or_b64 exec, exec, s[28:29]
	buffer_load_dword v10, off, s[0:3], s33 offset:224 ; 4-byte Folded Reload
	buffer_load_dword v11, off, s[0:3], s33 offset:228 ; 4-byte Folded Reload
	v_mov_b32_e32 v28, 0
	s_waitcnt vmcnt(0)
	v_mul_lo_u32 v8, v10, s65
	s_waitcnt vmcnt(0)
	v_mul_lo_u32 v0, v11, s64
	v_mad_u64_u32 v[3:4], s[8:9], v10, s64, 0
	v_add3_u32 v4, v4, v8, v0
	buffer_load_dword v8, off, s[0:3], s33 offset:260 ; 4-byte Folded Reload
	buffer_load_dword v9, off, s[0:3], s33 offset:264 ; 4-byte Folded Reload
	v_mov_b32_e32 v0, 0
	s_waitcnt vmcnt(0)
	v_add_co_u32_e32 v8, vcc, v18, v8
	buffer_store_dword v18, off, s[0:3], s33 offset:240 ; 4-byte Folded Spill
	s_nop 0
	buffer_store_dword v19, off, s[0:3], s33 offset:244 ; 4-byte Folded Spill
	s_waitcnt vmcnt(2)
	v_addc_co_u32_e32 v9, vcc, v19, v9, vcc
	buffer_store_dword v8, off, s[0:3], s33 offset:192 ; 4-byte Folded Spill
	s_nop 0
	buffer_store_dword v9, off, s[0:3], s33 offset:196 ; 4-byte Folded Spill
	buffer_load_dword v8, off, s[0:3], s33 offset:216 ; 4-byte Folded Reload
	s_nop 0
	buffer_load_dword v9, off, s[0:3], s33 offset:220 ; 4-byte Folded Reload
	s_waitcnt vmcnt(0)
	v_sub_co_u32_e32 v8, vcc, v8, v3
	s_waitcnt vmcnt(0)
	v_subb_co_u32_e32 v9, vcc, v9, v4, vcc
	v_cmp_lt_i64_e32 vcc, v[10:11], v[8:9]
	v_cndmask_b32_e32 v8, v8, v10, vcc
	v_max_i32_e32 v31, 0, v8
	v_add_u32_e32 v9, 31, v31
	v_lshrrev_b32_e32 v9, 1, v9
	v_and_b32_e32 v9, 0x3ffffff0, v9
	v_cmp_lt_i32_e32 vcc, 0, v8
	v_max_i32_e32 v26, s66, v9
	s_and_b64 s[8:9], s[74:75], vcc
	s_and_saveexec_b64 s[28:29], s[8:9]
	s_cbranch_execz .LBB4_224
; %bb.54:                               ;   in Loop: Header=BB4_47 Depth=1
	v_lshlrev_b64 v[24:25], 1, v[3:4]
	s_mov_b32 s8, 1
	s_mov_b64 s[42:43], -1
	v_mov_b32_e32 v28, 0
	s_mov_b64 s[40:41], 0
	s_branch .LBB4_57
.LBB4_55:                               ;   in Loop: Header=BB4_57 Depth=2
	s_or_b64 exec, exec, s[44:45]
	v_add_co_u32_e32 v46, vcc, 2, v46
	v_addc_co_u32_e32 v47, vcc, 0, v47, vcc
	flat_store_dwordx2 v[32:33], v[46:47]
.LBB4_56:                               ;   in Loop: Header=BB4_57 Depth=2
	s_or_b64 exec, exec, s[26:27]
	v_add_u32_e32 v28, v26, v28
	v_cmp_ge_i32_e32 vcc, v28, v31
	s_xor_b64 s[26:27], s[42:43], -1
	s_or_b64 s[26:27], s[26:27], vcc
	s_and_b64 s[26:27], exec, s[26:27]
	s_or_b64 s[40:41], s[26:27], s[40:41]
	s_mov_b64 s[42:43], 0
	v_mov_b32_e32 v0, s8
	s_mov_b32 s8, 2
	s_andn2_b64 exec, exec, s[40:41]
	s_cbranch_execz .LBB4_223
.LBB4_57:                               ;   Parent Loop BB4_47 Depth=1
                                        ; =>  This Loop Header: Depth=2
                                        ;       Child Loop BB4_65 Depth 3
                                        ;       Child Loop BB4_89 Depth 3
	;; [unrolled: 1-line block ×9, first 2 shown]
	s_and_saveexec_b64 s[26:27], s[4:5]
	s_cbranch_execz .LBB4_59
; %bb.58:                               ;   in Loop: Header=BB4_57 Depth=2
	s_trap 2
	ds_read_b64 v[3:4], v0
	buffer_load_dword v8, off, s[0:3], s33 offset:192 ; 4-byte Folded Reload
	buffer_load_dword v9, off, s[0:3], s33 offset:196 ; 4-byte Folded Reload
	v_ashrrev_i32_e32 v29, 31, v28
	s_waitcnt vmcnt(0)
	v_lshlrev_b64 v[8:9], 1, v[8:9]
	s_waitcnt lgkmcnt(0)
	v_add_co_u32_e32 v0, vcc, v3, v8
	v_addc_co_u32_e32 v3, vcc, v4, v9, vcc
	v_add_co_u32_e32 v0, vcc, v0, v24
	v_addc_co_u32_e32 v8, vcc, v3, v25, vcc
	v_lshlrev_b64 v[3:4], 1, v[28:29]
	v_add_co_u32_e32 v3, vcc, v0, v3
	v_addc_co_u32_e32 v4, vcc, v8, v4, vcc
	ds_write_b64 v0, v[3:4]
	v_mov_b32_e32 v3, v2
	ds_write_b64 v0, v[2:3]
.LBB4_59:                               ;   in Loop: Header=BB4_57 Depth=2
	s_or_b64 exec, exec, s[26:27]
	v_sub_u32_e32 v0, v31, v28
	v_min_i32_e32 v26, v26, v0
	v_and_b32_e32 v0, 8, v5
	v_cmp_ne_u32_e32 vcc, 0, v0
	s_and_saveexec_b64 s[44:45], vcc
	s_cbranch_execz .LBB4_81
; %bb.60:                               ;   in Loop: Header=BB4_57 Depth=2
	s_waitcnt lgkmcnt(0)
	v_add_co_u32_e32 v3, vcc, 8, v38
	v_addc_co_u32_e32 v4, vcc, 0, v39, vcc
	v_add_co_u32_e32 v8, vcc, 2, v46
	v_addc_co_u32_e32 v9, vcc, 0, v47, vcc
	v_cmp_lt_u64_e32 vcc, v[3:4], v[8:9]
	s_and_saveexec_b64 s[76:77], vcc
	s_cbranch_execz .LBB4_72
; %bb.61:                               ;   in Loop: Header=BB4_57 Depth=2
	v_and_b32_e32 v0, 64, v5
	s_mov_b32 s9, 0
	v_cmp_eq_u32_e32 vcc, 0, v0
	s_mov_b64 s[78:79], 0
                                        ; implicit-def: $sgpr88_sgpr89
                                        ; implicit-def: $sgpr90_sgpr91
                                        ; implicit-def: $sgpr92_sgpr93
	s_branch .LBB4_65
.LBB4_62:                               ;   in Loop: Header=BB4_65 Depth=3
	s_waitcnt vmcnt(0) lgkmcnt(0)
	v_add_co_u32_e64 v3, s[26:27], 8, v38
	v_addc_co_u32_e64 v4, s[26:27], 0, v39, s[26:27]
	v_cmp_ge_u64_e64 s[26:27], v[3:4], v[8:9]
	s_or_b64 s[34:35], s[34:35], exec
	s_orn2_b64 s[30:31], s[26:27], exec
.LBB4_63:                               ;   in Loop: Header=BB4_65 Depth=3
	s_or_b64 exec, exec, s[38:39]
	s_andn2_b64 s[26:27], s[92:93], exec
	s_and_b64 s[92:93], s[34:35], exec
	s_or_b64 s[92:93], s[26:27], s[92:93]
	s_andn2_b64 s[26:27], s[90:91], exec
	s_and_b64 s[90:91], s[30:31], exec
	s_or_b64 s[90:91], s[26:27], s[90:91]
.LBB4_64:                               ;   in Loop: Header=BB4_65 Depth=3
	s_or_b64 exec, exec, s[94:95]
	s_and_b64 s[26:27], exec, s[90:91]
	s_or_b64 s[78:79], s[26:27], s[78:79]
	s_andn2_b64 s[26:27], s[88:89], exec
	s_and_b64 s[88:89], s[92:93], exec
	s_or_b64 s[88:89], s[26:27], s[88:89]
	s_andn2_b64 exec, exec, s[78:79]
	s_cbranch_execz .LBB4_69
.LBB4_65:                               ;   Parent Loop BB4_47 Depth=1
                                        ;     Parent Loop BB4_57 Depth=2
                                        ; =>    This Inner Loop Header: Depth=3
	s_sleep 1
	s_waitcnt vmcnt(0) lgkmcnt(0)
	flat_load_dwordx2 v[38:39], v[32:33] glc
	s_or_b64 s[92:93], s[92:93], exec
	s_or_b64 s[90:91], s[90:91], exec
                                        ; implicit-def: $vgpr0
	s_and_saveexec_b64 s[94:95], vcc
	s_cbranch_execz .LBB4_64
; %bb.66:                               ;   in Loop: Header=BB4_65 Depth=3
	s_cmpk_lt_i32 s9, 0x270f
	s_cselect_b64 s[36:37], -1, 0
	s_cmpk_gt_i32 s9, 0x270e
	s_mov_b64 s[30:31], -1
	s_cbranch_scc0 .LBB4_68
; %bb.67:                               ;   in Loop: Header=BB4_65 Depth=3
	s_trap 2
	ds_read_b64 v[3:4], v0
	s_andn2_b64 s[36:37], s[36:37], exec
	s_mov_b32 s9, 0
	s_mov_b64 s[34:35], 0
	s_waitcnt vmcnt(0) lgkmcnt(0)
	flat_load_dword v0, v[3:4] glc
	s_waitcnt vmcnt(0) lgkmcnt(0)
	buffer_wbinvl1_vol
	v_cmp_eq_u32_e64 s[26:27], 0, v0
	s_and_b64 s[26:27], s[26:27], exec
	s_or_b64 s[36:37], s[36:37], s[26:27]
	s_and_saveexec_b64 s[38:39], s[36:37]
	s_cbranch_execz .LBB4_63
	s_branch .LBB4_62
.LBB4_68:                               ;   in Loop: Header=BB4_65 Depth=3
	s_add_i32 s9, s9, 1
	s_mov_b64 s[34:35], -1
                                        ; implicit-def: $vgpr0
	s_and_saveexec_b64 s[38:39], s[36:37]
	s_cbranch_execz .LBB4_63
	s_branch .LBB4_62
.LBB4_69:                               ;   in Loop: Header=BB4_57 Depth=2
	s_or_b64 exec, exec, s[78:79]
	s_xor_b64 s[26:27], s[88:89], -1
	s_and_saveexec_b64 s[78:79], s[26:27]
	s_xor_b64 s[26:27], exec, s[78:79]
	s_cbranch_execz .LBB4_71
; %bb.70:                               ;   in Loop: Header=BB4_57 Depth=2
	v_or_b32_e32 v5, 64, v5
	s_waitcnt lgkmcnt(0)
	ds_write_b32 v0, v0
	s_trap 2
.LBB4_71:                               ;   in Loop: Header=BB4_57 Depth=2
	s_or_b64 exec, exec, s[26:27]
.LBB4_72:                               ;   in Loop: Header=BB4_57 Depth=2
	s_or_b64 exec, exec, s[76:77]
	v_and_b32_e32 v0, 0x100, v5
	v_cmp_ne_u32_e32 vcc, 0, v0
	v_and_b32_e32 v0, 7, v46
	s_mov_b64 s[26:27], -1
	;;#ASMSTART
	s_wakeup
	;;#ASMEND
                                        ; implicit-def: $vgpr3_vgpr4
	s_and_saveexec_b64 s[76:77], vcc
	s_cbranch_execz .LBB4_76
; %bb.73:                               ;   in Loop: Header=BB4_57 Depth=2
	buffer_load_dword v10, off, s[0:3], s33 offset:148 ; 4-byte Folded Reload
	buffer_load_dword v11, off, s[0:3], s33 offset:152 ; 4-byte Folded Reload
	;; [unrolled: 1-line block ×4, first 2 shown]
	v_ashrrev_i32_e32 v27, 31, v26
	v_lshlrev_b64 v[3:4], 1, v[26:27]
	s_waitcnt vmcnt(0)
	v_mad_u64_u32 v[10:11], s[26:27], v0, 24, v[10:11]
	flat_store_dwordx2 v[10:11], v[3:4] offset:8
	flat_load_dword v3, v[10:11]
	s_waitcnt vmcnt(0) lgkmcnt(0)
	v_cmp_ne_u32_e32 vcc, 1, v3
	v_cmp_eq_u32_e64 s[26:27], 1, v3
                                        ; implicit-def: $vgpr3_vgpr4
	s_and_saveexec_b64 s[78:79], s[26:27]
	s_cbranch_execz .LBB4_75
; %bb.74:                               ;   in Loop: Header=BB4_57 Depth=2
	flat_load_dword v3, v[10:11] offset:4 glc
	s_waitcnt vmcnt(0) lgkmcnt(0)
	v_ashrrev_i32_e32 v4, 31, v3
	v_lshrrev_b64 v[3:4], 1, v[3:4]
.LBB4_75:                               ;   in Loop: Header=BB4_57 Depth=2
	s_or_b64 exec, exec, s[78:79]
	s_orn2_b64 s[26:27], vcc, exec
.LBB4_76:                               ;   in Loop: Header=BB4_57 Depth=2
	s_or_b64 exec, exec, s[76:77]
	s_and_saveexec_b64 s[76:77], s[26:27]
	s_cbranch_execz .LBB4_78
; %bb.77:                               ;   in Loop: Header=BB4_57 Depth=2
	buffer_load_dword v3, off, s[0:3], s33 offset:172 ; 4-byte Folded Reload
	s_waitcnt vmcnt(0)
	v_mad_i64_i32 v[3:4], s[26:27], v0, v3, 0
.LBB4_78:                               ;   in Loop: Header=BB4_57 Depth=2
	s_or_b64 exec, exec, s[76:77]
	buffer_load_dword v10, off, s[0:3], s33 offset:140 ; 4-byte Folded Reload
	buffer_load_dword v11, off, s[0:3], s33 offset:144 ; 4-byte Folded Reload
	v_lshlrev_b64 v[3:4], 1, v[3:4]
	s_waitcnt vmcnt(0)
	v_add_co_u32_e32 v3, vcc, v10, v3
	v_addc_co_u32_e32 v4, vcc, v11, v4, vcc
	ds_write_b64 v0, v[3:4] offset:784
	v_and_b32_e32 v0, 0x2000, v5
	v_cmp_ne_u32_e32 vcc, 0, v0
	s_and_saveexec_b64 s[26:27], vcc
	s_cbranch_execz .LBB4_80
; %bb.79:                               ;   in Loop: Header=BB4_57 Depth=2
	ds_read_b64 v[3:4], v0 offset:872
	s_waitcnt lgkmcnt(0)
	v_add_co_u32_e32 v3, vcc, 1, v3
	v_addc_co_u32_e32 v4, vcc, 0, v4, vcc
	ds_write_b64 v0, v[3:4] offset:872
.LBB4_80:                               ;   in Loop: Header=BB4_57 Depth=2
	s_or_b64 exec, exec, s[26:27]
	v_mov_b32_e32 v47, v9
	v_mov_b32_e32 v46, v8
.LBB4_81:                               ;   in Loop: Header=BB4_57 Depth=2
	s_or_b64 exec, exec, s[44:45]
	s_and_saveexec_b64 s[26:27], s[10:11]
	s_cbranch_execz .LBB4_100
; %bb.82:                               ;   in Loop: Header=BB4_57 Depth=2
	s_and_saveexec_b64 s[44:45], s[58:59]
	s_xor_b64 s[44:45], exec, s[44:45]
	s_cbranch_execz .LBB4_97
; %bb.83:                               ;   in Loop: Header=BB4_57 Depth=2
	s_and_saveexec_b64 s[76:77], s[16:17]
	s_cbranch_execz .LBB4_96
; %bb.84:                               ;   in Loop: Header=BB4_57 Depth=2
	s_mov_b64 s[88:89], exec
	v_mbcnt_lo_u32_b32 v0, s88, 0
	v_mbcnt_hi_u32_b32 v0, s89, v0
	v_cmp_eq_u32_e32 vcc, 0, v0
	s_waitcnt vmcnt(0) lgkmcnt(0)
	buffer_wbinvl1_vol
	s_and_saveexec_b64 s[78:79], vcc
	s_cbranch_execz .LBB4_86
; %bb.85:                               ;   in Loop: Header=BB4_57 Depth=2
	s_bcnt1_i32_b64 s9, s[88:89]
	v_mov_b32_e32 v3, s9
	v_mov_b32_e32 v4, v2
	ds_add_u64 v0, v[3:4]
	s_trap 2
.LBB4_86:                               ;   in Loop: Header=BB4_57 Depth=2
	s_or_b64 exec, exec, s[78:79]
	s_trap 2
	ds_read_b64 v[3:4], v0
	s_waitcnt lgkmcnt(0)
	v_add_co_u32_e32 v48, vcc, v48, v57
	v_addc_co_u32_e32 v49, vcc, 0, v49, vcc
	v_cmp_lt_u64_e32 vcc, v[3:4], v[48:49]
	s_and_saveexec_b64 s[78:79], vcc
	s_cbranch_execz .LBB4_95
; %bb.87:                               ;   in Loop: Header=BB4_57 Depth=2
	s_mov_b32 s9, 0
	s_mov_b64 s[88:89], 0
                                        ; implicit-def: $sgpr90_sgpr91
                                        ; implicit-def: $sgpr92_sgpr93
	s_branch .LBB4_89
.LBB4_88:                               ;   in Loop: Header=BB4_89 Depth=3
	s_or_b64 exec, exec, s[30:31]
	s_and_b64 s[94:95], exec, vcc
	s_or_b64 s[88:89], s[94:95], s[88:89]
	s_andn2_b64 s[90:91], s[90:91], exec
	s_and_b64 s[94:95], s[92:93], exec
	s_or_b64 s[90:91], s[90:91], s[94:95]
	s_andn2_b64 exec, exec, s[88:89]
	s_cbranch_execz .LBB4_93
.LBB4_89:                               ;   Parent Loop BB4_47 Depth=1
                                        ;     Parent Loop BB4_57 Depth=2
                                        ; =>    This Inner Loop Header: Depth=3
	s_add_i32 s9, s9, 1
	s_cmpk_lg_i32 s9, 0x2710
	s_cselect_b64 s[94:95], -1, 0
	s_and_b64 vcc, exec, s[94:95]
	s_cbranch_vccz .LBB4_91
; %bb.90:                               ;   in Loop: Header=BB4_89 Depth=3
	s_mov_b64 vcc, -1
	s_or_b64 s[92:93], s[92:93], exec
	s_and_saveexec_b64 s[30:31], s[94:95]
	s_cbranch_execz .LBB4_88
	s_branch .LBB4_92
.LBB4_91:                               ;   in Loop: Header=BB4_89 Depth=3
	s_trap 2
	ds_read_b64 v[3:4], v0
	s_andn2_b64 s[94:95], s[94:95], exec
	s_mov_b32 s9, 0
	s_waitcnt lgkmcnt(0)
	flat_load_dword v0, v[3:4] glc
	s_waitcnt vmcnt(0) lgkmcnt(0)
	buffer_wbinvl1_vol
	v_cmp_eq_u32_e32 vcc, 0, v0
	s_and_b64 vcc, vcc, exec
	s_or_b64 s[94:95], s[94:95], vcc
	s_mov_b64 vcc, -1
	s_or_b64 s[92:93], s[92:93], exec
	s_and_saveexec_b64 s[30:31], s[94:95]
	s_cbranch_execz .LBB4_88
.LBB4_92:                               ;   in Loop: Header=BB4_89 Depth=3
	s_sleep 1
	s_trap 2
	ds_read_b64 v[3:4], v0
	s_waitcnt lgkmcnt(0)
	s_andn2_b64 s[92:93], s[92:93], exec
	v_cmp_ge_u64_e32 vcc, v[3:4], v[48:49]
	s_orn2_b64 vcc, vcc, exec
	s_branch .LBB4_88
.LBB4_93:                               ;   in Loop: Header=BB4_57 Depth=2
	s_or_b64 exec, exec, s[88:89]
	s_and_saveexec_b64 s[88:89], s[90:91]
	s_xor_b64 s[88:89], exec, s[88:89]
	s_cbranch_execz .LBB4_95
; %bb.94:                               ;   in Loop: Header=BB4_57 Depth=2
	v_mov_b32_e32 v0, 1
	ds_write_b32 v0, v0
	s_trap 2
.LBB4_95:                               ;   in Loop: Header=BB4_57 Depth=2
	s_or_b64 exec, exec, s[78:79]
	;;#ASMSTART
	s_wakeup
	;;#ASMEND
.LBB4_96:                               ;   in Loop: Header=BB4_57 Depth=2
	s_or_b64 exec, exec, s[76:77]
.LBB4_97:                               ;   in Loop: Header=BB4_57 Depth=2
	s_andn2_saveexec_b64 s[44:45], s[44:45]
	s_cbranch_execz .LBB4_99
; %bb.98:                               ;   in Loop: Header=BB4_57 Depth=2
	s_waitcnt vmcnt(0) lgkmcnt(0)
	buffer_wbinvl1_vol
	s_barrier
.LBB4_99:                               ;   in Loop: Header=BB4_57 Depth=2
	s_or_b64 exec, exec, s[44:45]
.LBB4_100:                              ;   in Loop: Header=BB4_57 Depth=2
	s_or_b64 exec, exec, s[26:27]
	s_trap 2
	ds_read_b32 v0, v0
	v_and_b32_e32 v3, 0x4000, v5
	v_cmp_ne_u32_e32 vcc, 0, v3
	s_xor_b64 s[26:27], s[6:7], -1
	s_and_b64 s[44:45], s[26:27], vcc
	s_and_saveexec_b64 s[26:27], s[44:45]
	s_cbranch_execz .LBB4_119
; %bb.101:                              ;   in Loop: Header=BB4_57 Depth=2
	s_and_saveexec_b64 s[44:45], s[58:59]
	s_xor_b64 s[44:45], exec, s[44:45]
	s_cbranch_execz .LBB4_116
; %bb.102:                              ;   in Loop: Header=BB4_57 Depth=2
	s_and_saveexec_b64 s[76:77], s[16:17]
	s_cbranch_execz .LBB4_115
; %bb.103:                              ;   in Loop: Header=BB4_57 Depth=2
	s_mov_b64 s[88:89], exec
	v_mbcnt_lo_u32_b32 v3, s88, 0
	v_mbcnt_hi_u32_b32 v3, s89, v3
	v_cmp_eq_u32_e32 vcc, 0, v3
	s_waitcnt vmcnt(0) lgkmcnt(0)
	buffer_wbinvl1_vol
	s_and_saveexec_b64 s[78:79], vcc
	s_cbranch_execz .LBB4_105
; %bb.104:                              ;   in Loop: Header=BB4_57 Depth=2
	s_bcnt1_i32_b64 s9, s[88:89]
	v_mov_b32_e32 v3, s9
	v_mov_b32_e32 v4, v2
	ds_add_u64 v0, v[3:4]
	s_trap 2
.LBB4_105:                              ;   in Loop: Header=BB4_57 Depth=2
	s_or_b64 exec, exec, s[78:79]
	s_trap 2
	ds_read_b64 v[3:4], v0
	s_waitcnt lgkmcnt(0)
	v_add_co_u32_e32 v48, vcc, v48, v57
	v_addc_co_u32_e32 v49, vcc, 0, v49, vcc
	v_cmp_lt_u64_e32 vcc, v[3:4], v[48:49]
	s_and_saveexec_b64 s[78:79], vcc
	s_cbranch_execz .LBB4_114
; %bb.106:                              ;   in Loop: Header=BB4_57 Depth=2
	s_mov_b32 s9, 0
	s_mov_b64 s[88:89], 0
                                        ; implicit-def: $sgpr90_sgpr91
                                        ; implicit-def: $sgpr92_sgpr93
	s_branch .LBB4_108
.LBB4_107:                              ;   in Loop: Header=BB4_108 Depth=3
	s_or_b64 exec, exec, s[30:31]
	s_and_b64 s[94:95], exec, vcc
	s_or_b64 s[88:89], s[94:95], s[88:89]
	s_andn2_b64 s[90:91], s[90:91], exec
	s_and_b64 s[94:95], s[92:93], exec
	s_or_b64 s[90:91], s[90:91], s[94:95]
	s_andn2_b64 exec, exec, s[88:89]
	s_cbranch_execz .LBB4_112
.LBB4_108:                              ;   Parent Loop BB4_47 Depth=1
                                        ;     Parent Loop BB4_57 Depth=2
                                        ; =>    This Inner Loop Header: Depth=3
	s_add_i32 s9, s9, 1
	s_cmpk_lg_i32 s9, 0x2710
	s_cselect_b64 s[94:95], -1, 0
	s_and_b64 vcc, exec, s[94:95]
	s_cbranch_vccz .LBB4_110
; %bb.109:                              ;   in Loop: Header=BB4_108 Depth=3
	s_mov_b64 vcc, -1
	s_or_b64 s[92:93], s[92:93], exec
	s_and_saveexec_b64 s[30:31], s[94:95]
	s_cbranch_execz .LBB4_107
	s_branch .LBB4_111
.LBB4_110:                              ;   in Loop: Header=BB4_108 Depth=3
	s_trap 2
	ds_read_b64 v[3:4], v0
	s_andn2_b64 s[94:95], s[94:95], exec
	s_mov_b32 s9, 0
	s_waitcnt lgkmcnt(0)
	flat_load_dword v3, v[3:4] glc
	s_waitcnt vmcnt(0) lgkmcnt(0)
	buffer_wbinvl1_vol
	v_cmp_eq_u32_e32 vcc, 0, v3
	s_and_b64 vcc, vcc, exec
	s_or_b64 s[94:95], s[94:95], vcc
	s_mov_b64 vcc, -1
	s_or_b64 s[92:93], s[92:93], exec
	s_and_saveexec_b64 s[30:31], s[94:95]
	s_cbranch_execz .LBB4_107
.LBB4_111:                              ;   in Loop: Header=BB4_108 Depth=3
	s_sleep 1
	s_trap 2
	ds_read_b64 v[3:4], v0
	s_waitcnt lgkmcnt(0)
	s_andn2_b64 s[92:93], s[92:93], exec
	v_cmp_ge_u64_e32 vcc, v[3:4], v[48:49]
	s_orn2_b64 vcc, vcc, exec
	s_branch .LBB4_107
.LBB4_112:                              ;   in Loop: Header=BB4_57 Depth=2
	s_or_b64 exec, exec, s[88:89]
	s_and_saveexec_b64 s[88:89], s[90:91]
	s_xor_b64 s[88:89], exec, s[88:89]
	s_cbranch_execz .LBB4_114
; %bb.113:                              ;   in Loop: Header=BB4_57 Depth=2
	v_mov_b32_e32 v3, 1
	ds_write_b32 v0, v3
	s_trap 2
.LBB4_114:                              ;   in Loop: Header=BB4_57 Depth=2
	s_or_b64 exec, exec, s[78:79]
	;;#ASMSTART
	s_wakeup
	;;#ASMEND
.LBB4_115:                              ;   in Loop: Header=BB4_57 Depth=2
	s_or_b64 exec, exec, s[76:77]
.LBB4_116:                              ;   in Loop: Header=BB4_57 Depth=2
	s_andn2_saveexec_b64 s[44:45], s[44:45]
	s_cbranch_execz .LBB4_118
; %bb.117:                              ;   in Loop: Header=BB4_57 Depth=2
	s_waitcnt vmcnt(0) lgkmcnt(0)
	buffer_wbinvl1_vol
	s_barrier
.LBB4_118:                              ;   in Loop: Header=BB4_57 Depth=2
	s_or_b64 exec, exec, s[44:45]
.LBB4_119:                              ;   in Loop: Header=BB4_57 Depth=2
	s_or_b64 exec, exec, s[26:27]
	s_trap 2
	s_waitcnt lgkmcnt(0)
	ds_read_b64 v[29:30], v0
	s_waitcnt lgkmcnt(0)
	v_cmp_eq_u64_e32 vcc, 0, v[29:30]
	s_cbranch_vccnz .LBB4_127
; %bb.120:                              ;   in Loop: Header=BB4_57 Depth=2
	s_trap 2
	ds_read_b64 v[60:61], v0
	s_waitcnt lgkmcnt(0)
	v_cmp_eq_u64_e32 vcc, 0, v[60:61]
	s_cbranch_vccnz .LBB4_127
; %bb.121:                              ;   in Loop: Header=BB4_57 Depth=2
	s_mov_b64 s[44:45], -1
	s_and_saveexec_b64 s[26:27], s[18:19]
	s_cbranch_execz .LBB4_123
; %bb.122:                              ;   in Loop: Header=BB4_57 Depth=2
	ds_read_b32 v3, v0 offset:720
	s_waitcnt lgkmcnt(0)
	v_and_b32_e32 v3, 15, v3
	v_cmp_eq_u32_e32 vcc, 0, v3
	s_orn2_b64 s[44:45], vcc, exec
.LBB4_123:                              ;   in Loop: Header=BB4_57 Depth=2
	s_or_b64 exec, exec, s[26:27]
	s_and_saveexec_b64 s[26:27], s[20:21]
	s_cbranch_execz .LBB4_125
; %bb.124:                              ;   in Loop: Header=BB4_57 Depth=2
	ds_read_b32 v3, v0 offset:784
	s_waitcnt lgkmcnt(0)
	v_and_b32_e32 v3, 15, v3
	v_cmp_eq_u32_e32 vcc, 0, v3
	s_and_b64 s[76:77], s[44:45], vcc
	s_andn2_b64 s[44:45], s[44:45], exec
	s_and_b64 s[76:77], s[76:77], exec
	s_or_b64 s[44:45], s[44:45], s[76:77]
.LBB4_125:                              ;   in Loop: Header=BB4_57 Depth=2
	s_or_b64 exec, exec, s[26:27]
	s_xor_b64 s[44:45], s[44:45], -1
	v_cmp_eq_u32_e64 s[26:27], 0, v0
	v_cndmask_b32_e64 v0, 0, 1, s[44:45]
	s_mov_b64 s[76:77], -1
	v_cmp_ne_u32_e32 vcc, 0, v0
	s_cbranch_vccz .LBB4_128
; %bb.126:                              ;   in Loop: Header=BB4_57 Depth=2
	s_mov_b64 s[76:77], 0
	s_mov_b64 s[44:45], -1
	s_branch .LBB4_129
.LBB4_127:                              ;   in Loop: Header=BB4_57 Depth=2
	s_mov_b64 s[26:27], 0
	s_and_saveexec_b64 s[44:45], s[10:11]
	s_cbranch_execnz .LBB4_179
	s_branch .LBB4_197
.LBB4_128:                              ;   in Loop: Header=BB4_57 Depth=2
	s_mov_b64 s[44:45], 0
.LBB4_129:                              ;   in Loop: Header=BB4_57 Depth=2
	v_cndmask_b32_e64 v27, 0, v26, s[26:27]
	v_lshlrev_b32_e32 v56, 1, v27
	s_andn2_b64 vcc, exec, s[76:77]
	v_mov_b32_e32 v12, 0
	s_cbranch_vccnz .LBB4_137
; %bb.130:                              ;   in Loop: Header=BB4_57 Depth=2
	buffer_load_dword v3, off, s[0:3], s33 offset:208 ; 4-byte Folded Reload
	v_ashrrev_i32_e32 v0, 31, v56
	v_lshrrev_b32_e32 v0, 21, v0
	v_add_u32_e32 v0, v56, v0
	v_ashrrev_i32_e32 v0, 11, v0
	s_mov_b64 s[76:77], 0
                                        ; implicit-def: $vgpr8_vgpr9
                                        ; implicit-def: $vgpr12_vgpr13
	s_waitcnt vmcnt(0)
	v_sub_u32_e32 v34, v0, v3
	buffer_load_dword v3, off, s[0:3], s33 offset:212 ; 4-byte Folded Reload
	s_waitcnt vmcnt(0)
	v_add_co_u32_e32 v50, vcc, v60, v3
	v_addc_co_u32_e32 v51, vcc, 0, v61, vcc
	v_cmp_lt_i32_e32 vcc, 0, v34
	s_and_saveexec_b64 s[26:27], vcc
	s_cbranch_execz .LBB4_139
; %bb.131:                              ;   in Loop: Header=BB4_57 Depth=2
	buffer_load_dword v3, off, s[0:3], s33 offset:212 ; 4-byte Folded Reload
	s_mov_b64 s[88:89], 0
                                        ; implicit-def: $sgpr78_sgpr79
                                        ; implicit-def: $vgpr8_vgpr9
                                        ; implicit-def: $vgpr12_vgpr13
	s_waitcnt vmcnt(0)
	v_add_co_u32_e32 v3, vcc, v29, v3
	v_addc_co_u32_e32 v4, vcc, 0, v30, vcc
	s_branch .LBB4_133
.LBB4_132:                              ;   in Loop: Header=BB4_133 Depth=3
	s_or_b64 exec, exec, s[90:91]
	global_store_dwordx4 v[50:51], v[16:19], off glc slc
	global_store_dwordx4 v[50:51], v[20:23], off offset:1024 glc slc
	s_waitcnt vmcnt(3)
	v_add_co_u32_e32 v16, vcc, v50, v52
	s_waitcnt vmcnt(2)
	v_addc_co_u32_e32 v17, vcc, v51, v53, vcc
	v_add_co_u32_e32 v50, vcc, 0x800, v16
	v_addc_co_u32_e32 v51, vcc, 0, v17, vcc
	v_add_co_u32_e32 v3, vcc, v3, v52
	v_addc_co_u32_e32 v4, vcc, v4, v53, vcc
	v_sub_u32_e32 v34, v34, v35
	v_cmp_gt_i32_e32 vcc, 1, v34
	s_or_b64 s[76:77], vcc, s[76:77]
	s_andn2_b64 s[78:79], s[78:79], exec
	s_and_b64 s[90:91], s[88:89], exec
	s_or_b64 s[78:79], s[78:79], s[90:91]
	s_andn2_b64 exec, exec, s[76:77]
	s_cbranch_execz .LBB4_138
.LBB4_133:                              ;   Parent Loop BB4_47 Depth=1
                                        ;     Parent Loop BB4_57 Depth=2
                                        ; =>    This Inner Loop Header: Depth=3
	global_load_dwordx4 v[16:19], v[3:4], off glc slc
	global_load_dwordx4 v[20:23], v[3:4], off offset:1024 glc slc
	s_and_saveexec_b64 s[90:91], s[88:89]
	s_cbranch_execz .LBB4_135
; %bb.134:                              ;   in Loop: Header=BB4_133 Depth=3
	buffer_load_dword v35, off, s[0:3], s33 offset:132 ; 4-byte Folded Reload
	s_waitcnt vmcnt(0)
	v_add_co_u32_e32 v52, vcc, v50, v35
	buffer_load_dword v35, off, s[0:3], s33 offset:136 ; 4-byte Folded Reload
	s_nop 0
	global_store_dwordx4 v[50:51], v[8:11], off glc slc
	global_store_dwordx4 v[50:51], v[12:15], off offset:1024 glc slc
	s_waitcnt vmcnt(2)
	v_addc_co_u32_e32 v53, vcc, v51, v35, vcc
	v_mov_b32_e32 v50, v52
	v_mov_b32_e32 v51, v53
.LBB4_135:                              ;   in Loop: Header=BB4_133 Depth=3
	s_or_b64 exec, exec, s[90:91]
	buffer_load_dword v35, off, s[0:3], s33 offset:132 ; 4-byte Folded Reload
	v_sub_u32_e32 v34, v34, v57
	v_mov_b32_e32 v52, 0
	v_mov_b32_e32 v53, 0
	v_cmp_lt_i32_e64 s[88:89], 0, v34
	s_waitcnt vmcnt(0)
	v_add_co_u32_e32 v3, vcc, v3, v35
	buffer_load_dword v35, off, s[0:3], s33 offset:136 ; 4-byte Folded Reload
	s_waitcnt vmcnt(0)
	v_addc_co_u32_e32 v4, vcc, v4, v35, vcc
	v_mov_b32_e32 v35, 0
	s_and_saveexec_b64 s[90:91], s[88:89]
	s_cbranch_execz .LBB4_132
; %bb.136:                              ;   in Loop: Header=BB4_133 Depth=3
	global_load_dwordx4 v[8:11], v[3:4], off glc slc
	global_load_dwordx4 v[12:15], v[3:4], off offset:1024 glc slc
	buffer_load_dword v52, off, s[0:3], s33 offset:180 ; 4-byte Folded Reload
	buffer_load_dword v53, off, s[0:3], s33 offset:184 ; 4-byte Folded Reload
	v_add_co_u32_e32 v3, vcc, 0x800, v3
	v_addc_co_u32_e32 v4, vcc, 0, v4, vcc
	v_mov_b32_e32 v35, v57
	s_branch .LBB4_132
.LBB4_137:                              ;   in Loop: Header=BB4_57 Depth=2
	buffer_load_dword v8, off, s[0:3], s33 offset:204 ; 4-byte Folded Reload
	buffer_load_dword v0, off, s[0:3], s33 offset:188 ; 4-byte Folded Reload
	s_and_saveexec_b64 s[26:27], s[44:45]
	s_cbranch_execnz .LBB4_158
	s_branch .LBB4_178
.LBB4_138:                              ;   in Loop: Header=BB4_57 Depth=2
	s_or_b64 exec, exec, s[76:77]
	s_and_b64 s[76:77], s[78:79], exec
.LBB4_139:                              ;   in Loop: Header=BB4_57 Depth=2
	s_or_b64 exec, exec, s[26:27]
	s_and_saveexec_b64 s[26:27], s[76:77]
	s_cbranch_execz .LBB4_141
; %bb.140:                              ;   in Loop: Header=BB4_57 Depth=2
	global_store_dwordx4 v[50:51], v[8:11], off glc slc
	global_store_dwordx4 v[50:51], v[12:15], off offset:1024 glc slc
.LBB4_141:                              ;   in Loop: Header=BB4_57 Depth=2
	s_or_b64 exec, exec, s[26:27]
	v_lshlrev_b32_e32 v3, 11, v0
	v_cmp_ne_u32_e32 vcc, v56, v3
                                        ; implicit-def: $vgpr12
                                        ; implicit-def: $vgpr8
                                        ; implicit-def: $vgpr0
	s_and_saveexec_b64 s[76:77], vcc
	s_cbranch_execz .LBB4_157
; %bb.142:                              ;   in Loop: Header=BB4_57 Depth=2
	buffer_load_dword v4, off, s[0:3], s33 offset:188 ; 4-byte Folded Reload
	v_lshlrev_b32_e32 v0, 6, v34
	v_sub_u32_e32 v8, v56, v3
	v_ashrrev_i32_e32 v11, 31, v8
	v_lshrrev_b32_e32 v11, 22, v11
	v_add_u32_e32 v11, v8, v11
	v_and_b32_e32 v20, 0xfffffc00, v11
	v_sub_u32_e32 v22, v8, v20
	v_ashrrev_i32_e32 v12, 10, v11
	v_cmp_lt_i32_e64 s[26:27], 15, v22
	s_mov_b64 s[88:89], 0
	s_waitcnt vmcnt(0)
	v_sub_u32_e32 v0, v4, v0
	v_ashrrev_i32_e32 v4, 31, v0
	v_lshrrev_b32_e32 v4, 26, v4
	v_add_u32_e32 v4, v0, v4
	v_ashrrev_i32_e32 v9, 6, v4
	v_and_b32_e32 v4, 0xffffffc0, v4
	v_sub_u32_e32 v4, v0, v4
	v_lshlrev_b32_e32 v0, 4, v4
	v_lshl_add_u32 v0, v9, 10, v0
	v_add_u32_e32 v10, v0, v3
	v_sub_u32_e32 v0, v8, v0
	v_addc_co_u32_e64 v8, vcc, 0, v12, s[26:27]
	v_ashrrev_i32_e32 v11, 31, v10
	v_add_co_u32_e32 v16, vcc, v10, v60
	v_addc_co_u32_e32 v17, vcc, v11, v61, vcc
	v_sub_u32_e32 v21, v8, v9
	v_cmp_lt_i32_e32 vcc, 15, v0
                                        ; implicit-def: $vgpr8_vgpr9
	s_and_saveexec_b64 s[78:79], vcc
	s_cbranch_execz .LBB4_152
; %bb.143:                              ;   in Loop: Header=BB4_57 Depth=2
	v_add_co_u32_e32 v18, vcc, v10, v29
	v_addc_co_u32_e32 v19, vcc, v11, v30, vcc
	s_mov_b64 s[92:93], 0
                                        ; implicit-def: $sgpr90_sgpr91
                                        ; implicit-def: $vgpr8_vgpr9
	s_branch .LBB4_145
.LBB4_144:                              ;   in Loop: Header=BB4_145 Depth=3
	s_or_b64 exec, exec, s[94:95]
	v_cmp_gt_i32_e32 vcc, 16, v0
	s_or_b64 s[88:89], vcc, s[88:89]
	s_andn2_b64 s[90:91], s[90:91], exec
	s_and_b64 s[94:95], s[92:93], exec
	s_or_b64 s[90:91], s[90:91], s[94:95]
	s_andn2_b64 exec, exec, s[88:89]
	s_cbranch_execz .LBB4_151
.LBB4_145:                              ;   Parent Loop BB4_47 Depth=1
                                        ;     Parent Loop BB4_57 Depth=2
                                        ; =>    This Inner Loop Header: Depth=3
	global_load_dwordx4 v[12:15], v[18:19], off glc slc
	s_and_saveexec_b64 s[94:95], s[92:93]
	s_cbranch_execz .LBB4_147
; %bb.146:                              ;   in Loop: Header=BB4_145 Depth=3
	v_add_co_u32_e32 v34, vcc, v16, v36
	v_addc_co_u32_e32 v35, vcc, v17, v37, vcc
	global_store_dwordx4 v[16:17], v[8:11], off glc slc
	v_mov_b32_e32 v16, v34
	v_mov_b32_e32 v17, v35
.LBB4_147:                              ;   in Loop: Header=BB4_145 Depth=3
	s_or_b64 exec, exec, s[94:95]
	v_add_co_u32_e32 v18, vcc, v18, v36
	v_sub_u32_e32 v0, v0, v1
	v_addc_co_u32_e32 v19, vcc, v19, v37, vcc
	v_cmp_lt_i32_e64 s[92:93], 15, v0
	s_and_saveexec_b64 s[94:95], s[92:93]
	s_cbranch_execz .LBB4_149
; %bb.148:                              ;   in Loop: Header=BB4_145 Depth=3
	global_load_dwordx4 v[8:11], v[18:19], off glc slc
	v_add_co_u32_e32 v18, vcc, 0x400, v18
	v_addc_co_u32_e32 v19, vcc, 0, v19, vcc
.LBB4_149:                              ;   in Loop: Header=BB4_145 Depth=3
	s_or_b64 exec, exec, s[94:95]
	s_waitcnt vmcnt(0)
	global_store_dwordx4 v[16:17], v[12:15], off glc slc
	v_add_co_u32_e32 v16, vcc, 0x400, v16
	v_sub_u32_e32 v21, v21, v57
	v_addc_co_u32_e32 v17, vcc, 0, v17, vcc
	s_and_saveexec_b64 s[94:95], s[92:93]
	s_cbranch_execz .LBB4_144
; %bb.150:                              ;   in Loop: Header=BB4_145 Depth=3
	v_add_co_u32_e32 v18, vcc, v18, v6
	v_addc_co_u32_e32 v19, vcc, v19, v43, vcc
	v_add_co_u32_e32 v16, vcc, v16, v6
	v_sub_u32_e32 v21, v21, v57
	v_sub_u32_e32 v0, v0, v1
	v_addc_co_u32_e32 v17, vcc, v17, v43, vcc
	s_branch .LBB4_144
.LBB4_151:                              ;   in Loop: Header=BB4_57 Depth=2
	s_or_b64 exec, exec, s[88:89]
	s_and_b64 s[88:89], s[90:91], exec
.LBB4_152:                              ;   in Loop: Header=BB4_57 Depth=2
	s_or_b64 exec, exec, s[78:79]
	s_and_saveexec_b64 s[78:79], s[88:89]
	s_cbranch_execz .LBB4_154
; %bb.153:                              ;   in Loop: Header=BB4_57 Depth=2
	global_store_dwordx4 v[16:17], v[8:11], off glc slc
.LBB4_154:                              ;   in Loop: Header=BB4_57 Depth=2
	s_or_b64 exec, exec, s[78:79]
	v_and_b32_e32 v9, 14, v56
	v_cndmask_b32_e64 v56, v22, v9, s[26:27]
	v_cmp_ne_u32_e32 vcc, 0, v56
	s_mov_b64 s[88:89], s[44:45]
                                        ; implicit-def: $vgpr12
                                        ; implicit-def: $vgpr8
                                        ; implicit-def: $vgpr0
	s_and_saveexec_b64 s[78:79], vcc
	s_cbranch_execz .LBB4_156
; %bb.155:                              ;   in Loop: Header=BB4_57 Depth=2
	v_sub_u32_e32 v0, v22, v9
	v_cndmask_b32_e64 v0, 0, v0, s[26:27]
	v_cmp_lt_i32_e32 vcc, 0, v21
	v_add3_u32 v12, v20, v3, v0
	v_cndmask_b32_e32 v0, 0, v57, vcc
	v_sub_u32_e32 v0, v0, v21
	v_lshl_add_u32 v8, v0, 6, v4
	v_ashrrev_i32_e32 v0, 31, v8
	v_lshrrev_b32_e32 v0, 26, v0
	v_add_u32_e32 v0, v8, v0
	v_and_b32_e32 v0, 0xffffffc0, v0
	v_sub_u32_e32 v0, v8, v0
	s_or_b64 s[88:89], s[44:45], exec
.LBB4_156:                              ;   in Loop: Header=BB4_57 Depth=2
	s_or_b64 exec, exec, s[78:79]
	s_andn2_b64 s[26:27], s[44:45], exec
	s_and_b64 s[44:45], s[88:89], exec
	s_or_b64 s[44:45], s[26:27], s[44:45]
.LBB4_157:                              ;   in Loop: Header=BB4_57 Depth=2
	s_or_b64 exec, exec, s[76:77]
	s_and_saveexec_b64 s[26:27], s[44:45]
	s_cbranch_execz .LBB4_178
.LBB4_158:                              ;   in Loop: Header=BB4_57 Depth=2
	s_waitcnt vmcnt(0)
	v_ashrrev_i32_e32 v3, 31, v8
	v_lshrrev_b32_e32 v3, 26, v3
	v_add_u32_e32 v3, v8, v3
	v_ashrrev_i32_e32 v4, 6, v3
	v_lshlrev_b32_e32 v3, 9, v4
	s_waitcnt vmcnt(0)
	v_lshlrev_b32_e32 v8, 1, v0
	v_add3_u32 v3, v12, v8, v3
	v_ashrrev_i32_e32 v8, 31, v56
	v_lshrrev_b32_e32 v8, 23, v8
	v_add_u32_e32 v8, v56, v8
	v_ashrrev_i32_e32 v13, 9, v8
	v_sub_u32_e32 v10, v13, v4
	v_ashrrev_i32_e32 v4, 31, v3
	v_add_co_u32_e32 v8, vcc, v60, v3
	v_addc_co_u32_e32 v9, vcc, v61, v4, vcc
	v_cmp_lt_i32_e32 vcc, 0, v10
	s_mov_b64 s[76:77], 0
                                        ; implicit-def: $vgpr14
                                        ; implicit-def: $vgpr15
                                        ; implicit-def: $vgpr16
                                        ; implicit-def: $vgpr17
	s_and_saveexec_b64 s[44:45], vcc
	s_cbranch_execz .LBB4_166
; %bb.159:                              ;   in Loop: Header=BB4_57 Depth=2
	v_add_co_u32_e32 v3, vcc, v3, v29
	v_addc_co_u32_e32 v4, vcc, v4, v30, vcc
	s_mov_b64 s[88:89], 0
                                        ; implicit-def: $sgpr78_sgpr79
                                        ; implicit-def: $vgpr14
                                        ; implicit-def: $vgpr15
                                        ; implicit-def: $vgpr16
                                        ; implicit-def: $vgpr17
	s_branch .LBB4_161
.LBB4_160:                              ;   in Loop: Header=BB4_161 Depth=3
	s_or_b64 exec, exec, s[90:91]
	s_waitcnt vmcnt(0) lgkmcnt(0)
	flat_store_short v[8:9], v18 glc slc
	flat_store_short v[8:9], v19 offset:128 glc slc
	flat_store_short v[8:9], v20 offset:256 glc slc
	;; [unrolled: 1-line block ×3, first 2 shown]
	v_add_co_u32_e32 v8, vcc, v8, v10
	v_addc_co_u32_e32 v9, vcc, v9, v11, vcc
	v_add_co_u32_e32 v8, vcc, 0x200, v8
	v_addc_co_u32_e32 v9, vcc, 0, v9, vcc
	;; [unrolled: 2-line block ×3, first 2 shown]
	v_sub_u32_e32 v10, v22, v23
	v_cmp_gt_i32_e32 vcc, 1, v10
	s_or_b64 s[76:77], vcc, s[76:77]
	s_andn2_b64 s[78:79], s[78:79], exec
	s_and_b64 s[90:91], s[88:89], exec
	s_or_b64 s[78:79], s[78:79], s[90:91]
	s_andn2_b64 exec, exec, s[76:77]
	s_cbranch_execz .LBB4_165
.LBB4_161:                              ;   Parent Loop BB4_47 Depth=1
                                        ;     Parent Loop BB4_57 Depth=2
                                        ; =>    This Inner Loop Header: Depth=3
	flat_load_ushort v18, v[3:4] glc slc
	flat_load_ushort v19, v[3:4] offset:128 glc slc
	flat_load_ushort v20, v[3:4] offset:256 glc slc
	;; [unrolled: 1-line block ×3, first 2 shown]
	s_and_saveexec_b64 s[90:91], s[88:89]
	s_cbranch_execz .LBB4_163
; %bb.162:                              ;   in Loop: Header=BB4_161 Depth=3
	flat_store_short v[8:9], v14 glc slc
	flat_store_short v[8:9], v15 offset:128 glc slc
	flat_store_short v[8:9], v16 offset:256 glc slc
	;; [unrolled: 1-line block ×3, first 2 shown]
	v_add_co_u32_e32 v8, vcc, v8, v44
	v_addc_co_u32_e32 v9, vcc, v9, v45, vcc
.LBB4_163:                              ;   in Loop: Header=BB4_161 Depth=3
	s_or_b64 exec, exec, s[90:91]
	v_add_co_u32_e32 v3, vcc, v3, v44
	v_sub_u32_e32 v22, v10, v57
	v_mov_b32_e32 v10, 0
	v_addc_co_u32_e32 v4, vcc, v4, v45, vcc
	v_mov_b32_e32 v23, 0
	v_mov_b32_e32 v11, 0
	v_cmp_lt_i32_e64 s[88:89], 0, v22
	s_and_saveexec_b64 s[90:91], s[88:89]
	s_cbranch_execz .LBB4_160
; %bb.164:                              ;   in Loop: Header=BB4_161 Depth=3
	flat_load_ushort v14, v[3:4] glc slc
	flat_load_ushort v15, v[3:4] offset:128 glc slc
	flat_load_ushort v16, v[3:4] offset:256 glc slc
	;; [unrolled: 1-line block ×3, first 2 shown]
	v_add_co_u32_e32 v3, vcc, 0x200, v3
	v_mov_b32_e32 v10, v54
	v_addc_co_u32_e32 v4, vcc, 0, v4, vcc
	v_mov_b32_e32 v23, v57
	v_mov_b32_e32 v11, v55
	s_branch .LBB4_160
.LBB4_165:                              ;   in Loop: Header=BB4_57 Depth=2
	s_or_b64 exec, exec, s[76:77]
	s_and_b64 s[76:77], s[78:79], exec
.LBB4_166:                              ;   in Loop: Header=BB4_57 Depth=2
	s_or_b64 exec, exec, s[44:45]
	s_and_saveexec_b64 s[44:45], s[76:77]
	s_cbranch_execz .LBB4_168
; %bb.167:                              ;   in Loop: Header=BB4_57 Depth=2
	flat_store_short v[8:9], v14 glc slc
	flat_store_short v[8:9], v15 offset:128 glc slc
	flat_store_short v[8:9], v16 offset:256 glc slc
	;; [unrolled: 1-line block ×3, first 2 shown]
.LBB4_168:                              ;   in Loop: Header=BB4_57 Depth=2
	s_or_b64 exec, exec, s[44:45]
	v_lshlrev_b32_e32 v3, 9, v13
	v_cmp_ne_u32_e32 vcc, v56, v3
	s_and_b64 exec, exec, vcc
	s_cbranch_execz .LBB4_178
; %bb.169:                              ;   in Loop: Header=BB4_57 Depth=2
	v_lshlrev_b32_e32 v4, 6, v10
	v_sub_u32_e32 v0, v0, v4
	v_ashrrev_i32_e32 v4, 31, v0
	v_lshrrev_b32_e32 v4, 26, v4
	v_add_u32_e32 v4, v0, v4
	v_and_b32_e32 v8, 0x7fffffc0, v4
	v_sub_u32_e32 v0, v0, v8
	v_lshlrev_b32_e32 v4, 1, v4
	v_and_b32_e32 v4, 0xffffff80, v4
	v_lshlrev_b32_e32 v0, 1, v0
	v_add3_u32 v0, v4, v0, v3
	v_sub_u32_e32 v10, v56, v0
	v_cmp_lt_i32_e32 vcc, 1, v10
	s_and_b64 exec, exec, vcc
	s_cbranch_execz .LBB4_178
; %bb.170:                              ;   in Loop: Header=BB4_57 Depth=2
	v_add_u32_e32 v0, v0, v12
	v_ashrrev_i32_e32 v4, 31, v0
	v_add_co_u32_e32 v8, vcc, v60, v0
	v_addc_co_u32_e32 v9, vcc, v61, v4, vcc
	v_add_co_u32_e32 v3, vcc, v0, v29
	v_addc_co_u32_e32 v4, vcc, v4, v30, vcc
	s_mov_b64 s[78:79], 0
	s_mov_b64 s[44:45], 0
                                        ; implicit-def: $sgpr76_sgpr77
                                        ; implicit-def: $vgpr0
	s_branch .LBB4_172
.LBB4_171:                              ;   in Loop: Header=BB4_172 Depth=3
	s_or_b64 exec, exec, s[88:89]
	s_waitcnt lgkmcnt(0)
	flat_store_short v[8:9], v12 glc slc
	v_add_co_u32_e32 v8, vcc, v8, v10
	v_addc_co_u32_e32 v9, vcc, v9, v11, vcc
	v_add_co_u32_e32 v3, vcc, v3, v10
	v_addc_co_u32_e32 v4, vcc, v4, v11, vcc
	;; [unrolled: 2-line block ×3, first 2 shown]
	v_sub_u32_e32 v10, v13, v14
	v_cmp_gt_i32_e32 vcc, 2, v10
	s_or_b64 s[44:45], vcc, s[44:45]
	s_andn2_b64 s[76:77], s[76:77], exec
	s_and_b64 s[88:89], s[78:79], exec
	s_or_b64 s[76:77], s[76:77], s[88:89]
	s_andn2_b64 exec, exec, s[44:45]
	s_cbranch_execz .LBB4_176
.LBB4_172:                              ;   Parent Loop BB4_47 Depth=1
                                        ;     Parent Loop BB4_57 Depth=2
                                        ; =>    This Inner Loop Header: Depth=3
	flat_load_ushort v12, v[3:4] glc slc
	s_and_saveexec_b64 s[88:89], s[78:79]
	s_cbranch_execz .LBB4_174
; %bb.173:                              ;   in Loop: Header=BB4_172 Depth=3
	buffer_load_dword v11, off, s[0:3], s33 offset:128 ; 4-byte Folded Reload
	s_waitcnt vmcnt(0)
	v_add_co_u32_e32 v13, vcc, v8, v11
	v_addc_co_u32_e32 v14, vcc, v9, v7, vcc
	flat_store_short v[8:9], v0 glc slc
	v_mov_b32_e32 v8, v13
	v_mov_b32_e32 v9, v14
.LBB4_174:                              ;   in Loop: Header=BB4_172 Depth=3
	s_or_b64 exec, exec, s[88:89]
	buffer_load_dword v11, off, s[0:3], s33 offset:128 ; 4-byte Folded Reload
	v_mov_b32_e32 v14, 0
	s_waitcnt vmcnt(0)
	v_add_co_u32_e32 v3, vcc, v3, v11
	v_lshlrev_b32_e32 v11, 7, v57
	v_sub_u32_e32 v13, v10, v11
	v_mov_b32_e32 v10, 0
	v_addc_co_u32_e32 v4, vcc, v4, v7, vcc
	v_cmp_lt_i32_e64 s[78:79], 1, v13
	v_mov_b32_e32 v11, 0
	s_and_saveexec_b64 s[88:89], s[78:79]
	s_cbranch_execz .LBB4_171
; %bb.175:                              ;   in Loop: Header=BB4_172 Depth=3
	flat_load_ushort v0, v[3:4] glc slc
	v_add_co_u32_e32 v3, vcc, 0x80, v3
	v_mov_b32_e32 v10, v40
	v_addc_co_u32_e32 v4, vcc, 0, v4, vcc
	v_lshlrev_b32_e32 v14, 7, v57
	v_mov_b32_e32 v11, v41
	s_branch .LBB4_171
.LBB4_176:                              ;   in Loop: Header=BB4_57 Depth=2
	s_or_b64 exec, exec, s[44:45]
	s_and_b64 exec, exec, s[76:77]
	s_cbranch_execz .LBB4_178
; %bb.177:                              ;   in Loop: Header=BB4_57 Depth=2
	s_waitcnt vmcnt(0)
	flat_store_short v[8:9], v0 glc slc
.LBB4_178:                              ;   in Loop: Header=BB4_57 Depth=2
	s_or_b64 exec, exec, s[26:27]
	v_cmp_lt_i32_e64 s[26:27], 0, v27
	s_and_saveexec_b64 s[44:45], s[10:11]
	s_cbranch_execz .LBB4_197
.LBB4_179:                              ;   in Loop: Header=BB4_57 Depth=2
	s_and_saveexec_b64 s[76:77], s[58:59]
	s_xor_b64 s[76:77], exec, s[76:77]
	s_cbranch_execz .LBB4_194
; %bb.180:                              ;   in Loop: Header=BB4_57 Depth=2
	s_and_saveexec_b64 s[78:79], s[16:17]
	s_cbranch_execz .LBB4_193
; %bb.181:                              ;   in Loop: Header=BB4_57 Depth=2
	s_mov_b64 s[90:91], exec
	s_waitcnt vmcnt(0)
	v_mbcnt_lo_u32_b32 v0, s90, 0
	v_mbcnt_hi_u32_b32 v0, s91, v0
	v_cmp_eq_u32_e32 vcc, 0, v0
	s_waitcnt lgkmcnt(0)
	buffer_wbinvl1_vol
	s_and_saveexec_b64 s[88:89], vcc
	s_cbranch_execz .LBB4_183
; %bb.182:                              ;   in Loop: Header=BB4_57 Depth=2
	s_bcnt1_i32_b64 s9, s[90:91]
	v_mov_b32_e32 v3, s9
	v_mov_b32_e32 v4, v2
	ds_add_u64 v0, v[3:4]
	s_trap 2
.LBB4_183:                              ;   in Loop: Header=BB4_57 Depth=2
	s_or_b64 exec, exec, s[88:89]
	s_trap 2
	ds_read_b64 v[3:4], v0
	s_waitcnt lgkmcnt(0)
	v_add_co_u32_e32 v48, vcc, v48, v57
	v_addc_co_u32_e32 v49, vcc, 0, v49, vcc
	v_cmp_lt_u64_e32 vcc, v[3:4], v[48:49]
	s_and_saveexec_b64 s[88:89], vcc
	s_cbranch_execz .LBB4_192
; %bb.184:                              ;   in Loop: Header=BB4_57 Depth=2
	s_mov_b32 s9, 0
	s_mov_b64 s[90:91], 0
                                        ; implicit-def: $sgpr92_sgpr93
                                        ; implicit-def: $sgpr94_sgpr95
	s_branch .LBB4_186
.LBB4_185:                              ;   in Loop: Header=BB4_186 Depth=3
	s_or_b64 exec, exec, s[34:35]
	s_and_b64 vcc, exec, vcc
	s_or_b64 s[90:91], vcc, s[90:91]
	s_andn2_b64 s[92:93], s[92:93], exec
	s_and_b64 vcc, s[94:95], exec
	s_or_b64 s[92:93], s[92:93], vcc
	s_andn2_b64 exec, exec, s[90:91]
	s_cbranch_execz .LBB4_190
.LBB4_186:                              ;   Parent Loop BB4_47 Depth=1
                                        ;     Parent Loop BB4_57 Depth=2
                                        ; =>    This Inner Loop Header: Depth=3
	s_add_i32 s9, s9, 1
	s_cmpk_lg_i32 s9, 0x2710
	s_cselect_b64 s[30:31], -1, 0
	s_and_b64 vcc, exec, s[30:31]
	s_cbranch_vccz .LBB4_188
; %bb.187:                              ;   in Loop: Header=BB4_186 Depth=3
	s_mov_b64 vcc, -1
	s_or_b64 s[94:95], s[94:95], exec
	s_and_saveexec_b64 s[34:35], s[30:31]
	s_cbranch_execz .LBB4_185
	s_branch .LBB4_189
.LBB4_188:                              ;   in Loop: Header=BB4_186 Depth=3
	s_trap 2
	ds_read_b64 v[3:4], v0
	s_andn2_b64 s[30:31], s[30:31], exec
	s_mov_b32 s9, 0
	s_waitcnt lgkmcnt(0)
	flat_load_dword v0, v[3:4] glc
	s_waitcnt vmcnt(0) lgkmcnt(0)
	buffer_wbinvl1_vol
	v_cmp_eq_u32_e32 vcc, 0, v0
	s_and_b64 vcc, vcc, exec
	s_or_b64 s[30:31], s[30:31], vcc
	s_mov_b64 vcc, -1
	s_or_b64 s[94:95], s[94:95], exec
	s_and_saveexec_b64 s[34:35], s[30:31]
	s_cbranch_execz .LBB4_185
.LBB4_189:                              ;   in Loop: Header=BB4_186 Depth=3
	s_sleep 1
	s_trap 2
	ds_read_b64 v[3:4], v0
	s_waitcnt lgkmcnt(0)
	s_andn2_b64 s[94:95], s[94:95], exec
	v_cmp_ge_u64_e32 vcc, v[3:4], v[48:49]
	s_orn2_b64 vcc, vcc, exec
	s_branch .LBB4_185
.LBB4_190:                              ;   in Loop: Header=BB4_57 Depth=2
	s_or_b64 exec, exec, s[90:91]
	s_and_saveexec_b64 s[90:91], s[92:93]
	s_xor_b64 s[90:91], exec, s[90:91]
	s_cbranch_execz .LBB4_192
; %bb.191:                              ;   in Loop: Header=BB4_57 Depth=2
	v_mov_b32_e32 v0, 1
	ds_write_b32 v0, v0
	s_trap 2
.LBB4_192:                              ;   in Loop: Header=BB4_57 Depth=2
	s_or_b64 exec, exec, s[88:89]
	;;#ASMSTART
	s_wakeup
	;;#ASMEND
.LBB4_193:                              ;   in Loop: Header=BB4_57 Depth=2
	s_or_b64 exec, exec, s[78:79]
.LBB4_194:                              ;   in Loop: Header=BB4_57 Depth=2
	s_andn2_saveexec_b64 s[76:77], s[76:77]
	s_cbranch_execz .LBB4_196
; %bb.195:                              ;   in Loop: Header=BB4_57 Depth=2
	s_waitcnt vmcnt(0) lgkmcnt(0)
	buffer_wbinvl1_vol
	s_barrier
.LBB4_196:                              ;   in Loop: Header=BB4_57 Depth=2
	s_or_b64 exec, exec, s[76:77]
.LBB4_197:                              ;   in Loop: Header=BB4_57 Depth=2
	s_or_b64 exec, exec, s[44:45]
	s_waitcnt vmcnt(0)
	v_and_b32_e32 v0, 16, v5
	s_and_saveexec_b64 s[44:45], s[24:25]
	s_xor_b64 s[44:45], exec, s[44:45]
	s_cbranch_execz .LBB4_202
; %bb.198:                              ;   in Loop: Header=BB4_57 Depth=2
	v_and_b32_e32 v3, 16, v5
	v_cmp_ne_u32_e32 vcc, 0, v3
	v_and_b32_e32 v0, 16, v5
	s_and_b64 s[76:77], vcc, s[26:27]
	s_and_saveexec_b64 s[26:27], s[76:77]
	s_cbranch_execz .LBB4_200
; %bb.199:                              ;   in Loop: Header=BB4_57 Depth=2
	v_mov_b32_e32 v0, 1
	s_waitcnt lgkmcnt(0)
	buffer_wbinvl1_vol
.LBB4_200:                              ;   in Loop: Header=BB4_57 Depth=2
	s_or_b64 exec, exec, s[26:27]
	s_andn2_saveexec_b64 s[26:27], s[44:45]
	s_cbranch_execnz .LBB4_203
.LBB4_201:                              ;   in Loop: Header=BB4_57 Depth=2
	s_or_b64 exec, exec, s[26:27]
	v_cmp_ne_u32_e32 vcc, 0, v0
	s_and_saveexec_b64 s[26:27], vcc
	s_cbranch_execz .LBB4_56
	s_branch .LBB4_221
.LBB4_202:                              ;   in Loop: Header=BB4_57 Depth=2
	s_andn2_saveexec_b64 s[26:27], s[44:45]
	s_cbranch_execz .LBB4_201
.LBB4_203:                              ;   in Loop: Header=BB4_57 Depth=2
	s_and_saveexec_b64 s[44:45], s[58:59]
	s_xor_b64 s[44:45], exec, s[44:45]
	s_cbranch_execz .LBB4_218
; %bb.204:                              ;   in Loop: Header=BB4_57 Depth=2
	s_and_saveexec_b64 s[76:77], s[16:17]
	s_cbranch_execz .LBB4_217
; %bb.205:                              ;   in Loop: Header=BB4_57 Depth=2
	s_mov_b64 s[88:89], exec
	v_mbcnt_lo_u32_b32 v3, s88, 0
	v_mbcnt_hi_u32_b32 v3, s89, v3
	v_cmp_eq_u32_e32 vcc, 0, v3
	;;#ASMSTART
	s_waitcnt lgkmcnt(0) vmcnt(0)
	;;#ASMEND
	s_and_saveexec_b64 s[78:79], vcc
	s_cbranch_execz .LBB4_207
; %bb.206:                              ;   in Loop: Header=BB4_57 Depth=2
	s_bcnt1_i32_b64 s9, s[88:89]
	v_mov_b32_e32 v3, s9
	v_mov_b32_e32 v4, v2
	s_waitcnt lgkmcnt(0)
	ds_add_u64 v0, v[3:4]
	s_trap 2
.LBB4_207:                              ;   in Loop: Header=BB4_57 Depth=2
	s_or_b64 exec, exec, s[78:79]
	s_trap 2
	ds_read_b64 v[3:4], v0
	s_waitcnt lgkmcnt(0)
	v_add_co_u32_e32 v48, vcc, v48, v57
	v_addc_co_u32_e32 v49, vcc, 0, v49, vcc
	v_cmp_lt_u64_e32 vcc, v[3:4], v[48:49]
	s_and_saveexec_b64 s[78:79], vcc
	s_cbranch_execz .LBB4_216
; %bb.208:                              ;   in Loop: Header=BB4_57 Depth=2
	s_mov_b32 s9, 0
	s_mov_b64 s[88:89], 0
                                        ; implicit-def: $sgpr90_sgpr91
                                        ; implicit-def: $sgpr92_sgpr93
	s_branch .LBB4_210
.LBB4_209:                              ;   in Loop: Header=BB4_210 Depth=3
	s_or_b64 exec, exec, s[30:31]
	s_and_b64 s[94:95], exec, vcc
	s_or_b64 s[88:89], s[94:95], s[88:89]
	s_andn2_b64 s[90:91], s[90:91], exec
	s_and_b64 s[94:95], s[92:93], exec
	s_or_b64 s[90:91], s[90:91], s[94:95]
	s_andn2_b64 exec, exec, s[88:89]
	s_cbranch_execz .LBB4_214
.LBB4_210:                              ;   Parent Loop BB4_47 Depth=1
                                        ;     Parent Loop BB4_57 Depth=2
                                        ; =>    This Inner Loop Header: Depth=3
	s_add_i32 s9, s9, 1
	s_cmpk_lg_i32 s9, 0x2710
	s_cselect_b64 s[94:95], -1, 0
	s_and_b64 vcc, exec, s[94:95]
	s_cbranch_vccz .LBB4_212
; %bb.211:                              ;   in Loop: Header=BB4_210 Depth=3
	s_mov_b64 vcc, -1
	s_or_b64 s[92:93], s[92:93], exec
	s_and_saveexec_b64 s[30:31], s[94:95]
	s_cbranch_execz .LBB4_209
	s_branch .LBB4_213
.LBB4_212:                              ;   in Loop: Header=BB4_210 Depth=3
	s_trap 2
	ds_read_b64 v[3:4], v0
	s_andn2_b64 s[94:95], s[94:95], exec
	s_mov_b32 s9, 0
	s_waitcnt lgkmcnt(0)
	flat_load_dword v3, v[3:4] glc
	s_waitcnt vmcnt(0) lgkmcnt(0)
	buffer_wbinvl1_vol
	v_cmp_eq_u32_e32 vcc, 0, v3
	s_and_b64 vcc, vcc, exec
	s_or_b64 s[94:95], s[94:95], vcc
	s_mov_b64 vcc, -1
	s_or_b64 s[92:93], s[92:93], exec
	s_and_saveexec_b64 s[30:31], s[94:95]
	s_cbranch_execz .LBB4_209
.LBB4_213:                              ;   in Loop: Header=BB4_210 Depth=3
	s_sleep 1
	s_trap 2
	ds_read_b64 v[3:4], v0
	s_waitcnt lgkmcnt(0)
	s_andn2_b64 s[92:93], s[92:93], exec
	v_cmp_ge_u64_e32 vcc, v[3:4], v[48:49]
	s_orn2_b64 vcc, vcc, exec
	s_branch .LBB4_209
.LBB4_214:                              ;   in Loop: Header=BB4_57 Depth=2
	s_or_b64 exec, exec, s[88:89]
	s_and_saveexec_b64 s[88:89], s[90:91]
	s_xor_b64 s[88:89], exec, s[88:89]
	s_cbranch_execz .LBB4_216
; %bb.215:                              ;   in Loop: Header=BB4_57 Depth=2
	v_mov_b32_e32 v3, 1
	ds_write_b32 v0, v3
	s_trap 2
.LBB4_216:                              ;   in Loop: Header=BB4_57 Depth=2
	s_or_b64 exec, exec, s[78:79]
	;;#ASMSTART
	s_wakeup
	;;#ASMEND
.LBB4_217:                              ;   in Loop: Header=BB4_57 Depth=2
	s_or_b64 exec, exec, s[76:77]
.LBB4_218:                              ;   in Loop: Header=BB4_57 Depth=2
	s_andn2_saveexec_b64 s[44:45], s[44:45]
	s_cbranch_execz .LBB4_220
; %bb.219:                              ;   in Loop: Header=BB4_57 Depth=2
	;;#ASMSTART
	s_waitcnt lgkmcnt(0) vmcnt(0)
	;;#ASMEND
	s_waitcnt lgkmcnt(0)
	s_barrier
.LBB4_220:                              ;   in Loop: Header=BB4_57 Depth=2
	s_or_b64 exec, exec, s[44:45]
	s_or_b64 exec, exec, s[26:27]
	v_cmp_ne_u32_e32 vcc, 0, v0
	s_and_saveexec_b64 s[26:27], vcc
	s_cbranch_execz .LBB4_56
.LBB4_221:                              ;   in Loop: Header=BB4_57 Depth=2
	s_and_saveexec_b64 s[44:45], s[14:15]
	s_cbranch_execz .LBB4_55
; %bb.222:                              ;   in Loop: Header=BB4_57 Depth=2
	buffer_load_dword v3, off, s[0:3], s33 offset:164 ; 4-byte Folded Reload
	buffer_load_dword v4, off, s[0:3], s33 offset:168 ; 4-byte Folded Reload
	v_mov_b32_e32 v0, 1
	s_waitcnt vmcnt(0)
	flat_store_dword v[3:4], v0
	s_branch .LBB4_55
.LBB4_223:                              ;   in Loop: Header=BB4_47 Depth=1
	s_or_b64 exec, exec, s[40:41]
.LBB4_224:                              ;   in Loop: Header=BB4_47 Depth=1
	s_or_b64 exec, exec, s[28:29]
	v_cmp_gt_i32_e32 vcc, 2, v0
	s_and_saveexec_b64 s[28:29], vcc
	s_cbranch_execz .LBB4_296
; %bb.225:                              ;   in Loop: Header=BB4_47 Depth=1
	v_cmp_eq_u32_e64 s[42:43], 0, v0
	s_mov_b64 s[40:41], 0
	s_branch .LBB4_228
.LBB4_226:                              ;   in Loop: Header=BB4_228 Depth=2
	s_or_b64 exec, exec, s[42:43]
	v_add_co_u32_e32 v46, vcc, 2, v46
	v_addc_co_u32_e32 v47, vcc, 0, v47, vcc
	flat_store_dwordx2 v[32:33], v[46:47]
.LBB4_227:                              ;   in Loop: Header=BB4_228 Depth=2
	s_or_b64 exec, exec, s[26:27]
	v_add_u32_e32 v28, v26, v28
	s_mov_b64 s[42:43], 0
	s_andn2_b64 exec, exec, s[40:41]
	s_cbranch_execz .LBB4_295
.LBB4_228:                              ;   Parent Loop BB4_47 Depth=1
                                        ; =>  This Loop Header: Depth=2
                                        ;       Child Loop BB4_234 Depth 3
                                        ;       Child Loop BB4_258 Depth 3
	;; [unrolled: 1-line block ×3, first 2 shown]
	v_sub_u32_e32 v0, v31, v28
	v_min_i32_e32 v26, v26, v0
	v_and_b32_e32 v0, 8, v5
	v_cmp_ne_u32_e32 vcc, 0, v0
	s_and_saveexec_b64 s[44:45], vcc
	s_cbranch_execz .LBB4_250
; %bb.229:                              ;   in Loop: Header=BB4_228 Depth=2
	s_waitcnt lgkmcnt(0)
	v_add_co_u32_e32 v3, vcc, 8, v38
	v_addc_co_u32_e32 v4, vcc, 0, v39, vcc
	v_add_co_u32_e32 v8, vcc, 2, v46
	v_addc_co_u32_e32 v9, vcc, 0, v47, vcc
	v_cmp_lt_u64_e32 vcc, v[3:4], v[8:9]
	s_and_saveexec_b64 s[76:77], vcc
	s_cbranch_execz .LBB4_241
; %bb.230:                              ;   in Loop: Header=BB4_228 Depth=2
	v_and_b32_e32 v0, 64, v5
	s_mov_b32 s8, 0
	v_cmp_eq_u32_e32 vcc, 0, v0
	s_mov_b64 s[78:79], 0
                                        ; implicit-def: $sgpr88_sgpr89
                                        ; implicit-def: $sgpr90_sgpr91
                                        ; implicit-def: $sgpr92_sgpr93
	s_branch .LBB4_234
.LBB4_231:                              ;   in Loop: Header=BB4_234 Depth=3
	s_waitcnt vmcnt(0) lgkmcnt(0)
	v_add_co_u32_e64 v3, s[26:27], 8, v38
	v_addc_co_u32_e64 v4, s[26:27], 0, v39, s[26:27]
	v_cmp_ge_u64_e64 s[26:27], v[3:4], v[8:9]
	s_or_b64 s[34:35], s[34:35], exec
	s_orn2_b64 s[30:31], s[26:27], exec
.LBB4_232:                              ;   in Loop: Header=BB4_234 Depth=3
	s_or_b64 exec, exec, s[38:39]
	s_andn2_b64 s[26:27], s[92:93], exec
	s_and_b64 s[92:93], s[34:35], exec
	s_or_b64 s[92:93], s[26:27], s[92:93]
	s_andn2_b64 s[26:27], s[90:91], exec
	s_and_b64 s[90:91], s[30:31], exec
	s_or_b64 s[90:91], s[26:27], s[90:91]
.LBB4_233:                              ;   in Loop: Header=BB4_234 Depth=3
	s_or_b64 exec, exec, s[94:95]
	s_and_b64 s[26:27], exec, s[90:91]
	s_or_b64 s[78:79], s[26:27], s[78:79]
	s_andn2_b64 s[26:27], s[88:89], exec
	s_and_b64 s[88:89], s[92:93], exec
	s_or_b64 s[88:89], s[26:27], s[88:89]
	s_andn2_b64 exec, exec, s[78:79]
	s_cbranch_execz .LBB4_238
.LBB4_234:                              ;   Parent Loop BB4_47 Depth=1
                                        ;     Parent Loop BB4_228 Depth=2
                                        ; =>    This Inner Loop Header: Depth=3
	s_sleep 1
	s_waitcnt vmcnt(0) lgkmcnt(0)
	flat_load_dwordx2 v[38:39], v[32:33] glc
	s_or_b64 s[92:93], s[92:93], exec
	s_or_b64 s[90:91], s[90:91], exec
                                        ; implicit-def: $vgpr0
	s_and_saveexec_b64 s[94:95], vcc
	s_cbranch_execz .LBB4_233
; %bb.235:                              ;   in Loop: Header=BB4_234 Depth=3
	s_cmpk_lt_i32 s8, 0x270f
	s_cselect_b64 s[36:37], -1, 0
	s_cmpk_gt_i32 s8, 0x270e
	s_mov_b64 s[30:31], -1
	s_cbranch_scc0 .LBB4_237
; %bb.236:                              ;   in Loop: Header=BB4_234 Depth=3
	s_trap 2
	ds_read_b64 v[3:4], v0
	s_andn2_b64 s[36:37], s[36:37], exec
	s_mov_b32 s8, 0
	s_mov_b64 s[34:35], 0
	s_waitcnt vmcnt(0) lgkmcnt(0)
	flat_load_dword v0, v[3:4] glc
	s_waitcnt vmcnt(0) lgkmcnt(0)
	buffer_wbinvl1_vol
	v_cmp_eq_u32_e64 s[26:27], 0, v0
	s_and_b64 s[26:27], s[26:27], exec
	s_or_b64 s[36:37], s[36:37], s[26:27]
	s_and_saveexec_b64 s[38:39], s[36:37]
	s_cbranch_execz .LBB4_232
	s_branch .LBB4_231
.LBB4_237:                              ;   in Loop: Header=BB4_234 Depth=3
	s_add_i32 s8, s8, 1
	s_mov_b64 s[34:35], -1
                                        ; implicit-def: $vgpr0
	s_and_saveexec_b64 s[38:39], s[36:37]
	s_cbranch_execz .LBB4_232
	s_branch .LBB4_231
.LBB4_238:                              ;   in Loop: Header=BB4_228 Depth=2
	s_or_b64 exec, exec, s[78:79]
	s_xor_b64 s[8:9], s[88:89], -1
	s_and_saveexec_b64 s[26:27], s[8:9]
	s_xor_b64 s[26:27], exec, s[26:27]
	s_cbranch_execz .LBB4_240
; %bb.239:                              ;   in Loop: Header=BB4_228 Depth=2
	v_or_b32_e32 v5, 64, v5
	s_waitcnt lgkmcnt(0)
	ds_write_b32 v0, v0
	s_trap 2
.LBB4_240:                              ;   in Loop: Header=BB4_228 Depth=2
	s_or_b64 exec, exec, s[26:27]
.LBB4_241:                              ;   in Loop: Header=BB4_228 Depth=2
	s_or_b64 exec, exec, s[76:77]
	v_and_b32_e32 v0, 0x100, v5
	v_cmp_ne_u32_e32 vcc, 0, v0
	v_and_b32_e32 v0, 7, v46
	s_mov_b64 s[26:27], -1
	;;#ASMSTART
	s_wakeup
	;;#ASMEND
                                        ; implicit-def: $vgpr3_vgpr4
	s_and_saveexec_b64 s[76:77], vcc
	s_cbranch_execz .LBB4_245
; %bb.242:                              ;   in Loop: Header=BB4_228 Depth=2
	buffer_load_dword v10, off, s[0:3], s33 offset:148 ; 4-byte Folded Reload
	buffer_load_dword v11, off, s[0:3], s33 offset:152 ; 4-byte Folded Reload
	;; [unrolled: 1-line block ×4, first 2 shown]
	v_ashrrev_i32_e32 v27, 31, v26
	v_lshlrev_b64 v[3:4], 1, v[26:27]
	s_waitcnt vmcnt(0)
	v_mad_u64_u32 v[10:11], s[8:9], v0, 24, v[10:11]
	flat_store_dwordx2 v[10:11], v[3:4] offset:8
	flat_load_dword v3, v[10:11]
	s_waitcnt vmcnt(0) lgkmcnt(0)
	v_cmp_ne_u32_e32 vcc, 1, v3
	v_cmp_eq_u32_e64 s[26:27], 1, v3
                                        ; implicit-def: $vgpr3_vgpr4
	s_and_saveexec_b64 s[78:79], s[26:27]
	s_cbranch_execz .LBB4_244
; %bb.243:                              ;   in Loop: Header=BB4_228 Depth=2
	flat_load_dword v3, v[10:11] offset:4 glc
	s_waitcnt vmcnt(0) lgkmcnt(0)
	v_ashrrev_i32_e32 v4, 31, v3
	v_lshrrev_b64 v[3:4], 1, v[3:4]
.LBB4_244:                              ;   in Loop: Header=BB4_228 Depth=2
	s_or_b64 exec, exec, s[78:79]
	s_orn2_b64 s[26:27], vcc, exec
.LBB4_245:                              ;   in Loop: Header=BB4_228 Depth=2
	s_or_b64 exec, exec, s[76:77]
	s_and_saveexec_b64 s[76:77], s[26:27]
	s_cbranch_execz .LBB4_247
; %bb.246:                              ;   in Loop: Header=BB4_228 Depth=2
	buffer_load_dword v3, off, s[0:3], s33 offset:172 ; 4-byte Folded Reload
	s_waitcnt vmcnt(0)
	v_mad_i64_i32 v[3:4], s[8:9], v0, v3, 0
.LBB4_247:                              ;   in Loop: Header=BB4_228 Depth=2
	s_or_b64 exec, exec, s[76:77]
	buffer_load_dword v10, off, s[0:3], s33 offset:140 ; 4-byte Folded Reload
	buffer_load_dword v11, off, s[0:3], s33 offset:144 ; 4-byte Folded Reload
	v_lshlrev_b64 v[3:4], 1, v[3:4]
	s_waitcnt vmcnt(0)
	v_add_co_u32_e32 v3, vcc, v10, v3
	v_addc_co_u32_e32 v4, vcc, v11, v4, vcc
	ds_write_b64 v0, v[3:4] offset:784
	v_and_b32_e32 v0, 0x2000, v5
	v_cmp_ne_u32_e32 vcc, 0, v0
	s_and_saveexec_b64 s[26:27], vcc
	s_cbranch_execz .LBB4_249
; %bb.248:                              ;   in Loop: Header=BB4_228 Depth=2
	ds_read_b64 v[3:4], v0 offset:872
	s_waitcnt lgkmcnt(0)
	v_add_co_u32_e32 v3, vcc, 1, v3
	v_addc_co_u32_e32 v4, vcc, 0, v4, vcc
	ds_write_b64 v0, v[3:4] offset:872
.LBB4_249:                              ;   in Loop: Header=BB4_228 Depth=2
	s_or_b64 exec, exec, s[26:27]
	v_mov_b32_e32 v47, v9
	v_mov_b32_e32 v46, v8
.LBB4_250:                              ;   in Loop: Header=BB4_228 Depth=2
	s_or_b64 exec, exec, s[44:45]
	s_xor_b64 s[8:9], s[42:43], -1
	s_and_b64 s[8:9], exec, s[8:9]
	s_or_b64 s[40:41], s[8:9], s[40:41]
	s_and_saveexec_b64 s[26:27], s[10:11]
	s_cbranch_execz .LBB4_269
; %bb.251:                              ;   in Loop: Header=BB4_228 Depth=2
	s_and_saveexec_b64 s[8:9], s[58:59]
	s_xor_b64 s[42:43], exec, s[8:9]
	s_cbranch_execz .LBB4_266
; %bb.252:                              ;   in Loop: Header=BB4_228 Depth=2
	s_and_saveexec_b64 s[44:45], s[16:17]
	s_cbranch_execz .LBB4_265
; %bb.253:                              ;   in Loop: Header=BB4_228 Depth=2
	s_mov_b64 s[78:79], exec
	v_mbcnt_lo_u32_b32 v0, s78, 0
	v_mbcnt_hi_u32_b32 v0, s79, v0
	v_cmp_eq_u32_e32 vcc, 0, v0
	s_waitcnt vmcnt(0) lgkmcnt(0)
	buffer_wbinvl1_vol
	s_and_saveexec_b64 s[76:77], vcc
	s_cbranch_execz .LBB4_255
; %bb.254:                              ;   in Loop: Header=BB4_228 Depth=2
	s_bcnt1_i32_b64 s8, s[78:79]
	v_mov_b32_e32 v3, s8
	v_mov_b32_e32 v4, v2
	ds_add_u64 v0, v[3:4]
	s_trap 2
.LBB4_255:                              ;   in Loop: Header=BB4_228 Depth=2
	s_or_b64 exec, exec, s[76:77]
	s_trap 2
	ds_read_b64 v[3:4], v0
	s_waitcnt lgkmcnt(0)
	v_add_co_u32_e32 v48, vcc, v48, v57
	v_addc_co_u32_e32 v49, vcc, 0, v49, vcc
	v_cmp_lt_u64_e32 vcc, v[3:4], v[48:49]
	s_and_saveexec_b64 s[76:77], vcc
	s_cbranch_execz .LBB4_264
; %bb.256:                              ;   in Loop: Header=BB4_228 Depth=2
	s_mov_b32 s8, 0
	s_mov_b64 s[78:79], 0
                                        ; implicit-def: $sgpr88_sgpr89
                                        ; implicit-def: $sgpr90_sgpr91
	s_branch .LBB4_258
.LBB4_257:                              ;   in Loop: Header=BB4_258 Depth=3
	s_or_b64 exec, exec, s[94:95]
	s_and_b64 s[92:93], exec, vcc
	s_or_b64 s[78:79], s[92:93], s[78:79]
	s_andn2_b64 s[88:89], s[88:89], exec
	s_and_b64 s[92:93], s[90:91], exec
	s_or_b64 s[88:89], s[88:89], s[92:93]
	s_andn2_b64 exec, exec, s[78:79]
	s_cbranch_execz .LBB4_262
.LBB4_258:                              ;   Parent Loop BB4_47 Depth=1
                                        ;     Parent Loop BB4_228 Depth=2
                                        ; =>    This Inner Loop Header: Depth=3
	s_add_i32 s8, s8, 1
	s_cmpk_lg_i32 s8, 0x2710
	s_cselect_b64 s[92:93], -1, 0
	s_and_b64 vcc, exec, s[92:93]
	s_cbranch_vccz .LBB4_260
; %bb.259:                              ;   in Loop: Header=BB4_258 Depth=3
	s_mov_b64 vcc, -1
	s_or_b64 s[90:91], s[90:91], exec
	s_and_saveexec_b64 s[94:95], s[92:93]
	s_cbranch_execz .LBB4_257
	s_branch .LBB4_261
.LBB4_260:                              ;   in Loop: Header=BB4_258 Depth=3
	s_trap 2
	ds_read_b64 v[3:4], v0
	s_andn2_b64 s[92:93], s[92:93], exec
	s_mov_b32 s8, 0
	s_waitcnt lgkmcnt(0)
	flat_load_dword v0, v[3:4] glc
	s_waitcnt vmcnt(0) lgkmcnt(0)
	buffer_wbinvl1_vol
	v_cmp_eq_u32_e32 vcc, 0, v0
	s_and_b64 s[94:95], vcc, exec
	s_or_b64 s[92:93], s[92:93], s[94:95]
	s_mov_b64 vcc, -1
	s_or_b64 s[90:91], s[90:91], exec
	s_and_saveexec_b64 s[94:95], s[92:93]
	s_cbranch_execz .LBB4_257
.LBB4_261:                              ;   in Loop: Header=BB4_258 Depth=3
	s_sleep 1
	s_trap 2
	ds_read_b64 v[3:4], v0
	s_waitcnt lgkmcnt(0)
	s_andn2_b64 s[90:91], s[90:91], exec
	v_cmp_ge_u64_e32 vcc, v[3:4], v[48:49]
	s_orn2_b64 vcc, vcc, exec
	s_branch .LBB4_257
.LBB4_262:                              ;   in Loop: Header=BB4_228 Depth=2
	s_or_b64 exec, exec, s[78:79]
	s_and_saveexec_b64 s[8:9], s[88:89]
	s_xor_b64 s[8:9], exec, s[8:9]
	s_cbranch_execz .LBB4_264
; %bb.263:                              ;   in Loop: Header=BB4_228 Depth=2
	v_mov_b32_e32 v0, 1
	ds_write_b32 v0, v0
	s_trap 2
.LBB4_264:                              ;   in Loop: Header=BB4_228 Depth=2
	s_or_b64 exec, exec, s[76:77]
	;;#ASMSTART
	s_wakeup
	;;#ASMEND
.LBB4_265:                              ;   in Loop: Header=BB4_228 Depth=2
	s_or_b64 exec, exec, s[44:45]
.LBB4_266:                              ;   in Loop: Header=BB4_228 Depth=2
	s_andn2_saveexec_b64 s[42:43], s[42:43]
	s_cbranch_execz .LBB4_268
; %bb.267:                              ;   in Loop: Header=BB4_228 Depth=2
	s_waitcnt vmcnt(0) lgkmcnt(0)
	buffer_wbinvl1_vol
	s_barrier
.LBB4_268:                              ;   in Loop: Header=BB4_228 Depth=2
	s_or_b64 exec, exec, s[42:43]
.LBB4_269:                              ;   in Loop: Header=BB4_228 Depth=2
	s_or_b64 exec, exec, s[26:27]
	v_and_b32_e32 v0, 16, v5
	s_and_saveexec_b64 s[8:9], s[24:25]
	s_xor_b64 s[26:27], exec, s[8:9]
	s_cbranch_execz .LBB4_274
; %bb.270:                              ;   in Loop: Header=BB4_228 Depth=2
	s_trap 2
	ds_read_b32 v0, v0
	v_cmp_lt_i32_e32 vcc, 0, v26
	v_and_b32_e32 v3, 16, v5
	s_waitcnt lgkmcnt(0)
	v_readfirstlane_b32 s8, v0
	s_cmp_eq_u32 s8, 0
	s_cselect_b64 s[8:9], -1, 0
	s_and_b64 s[8:9], vcc, s[8:9]
	v_cmp_ne_u32_e32 vcc, 0, v3
	v_and_b32_e32 v0, 16, v5
	s_and_b64 s[8:9], vcc, s[8:9]
	s_and_saveexec_b64 s[42:43], s[8:9]
	s_cbranch_execz .LBB4_272
; %bb.271:                              ;   in Loop: Header=BB4_228 Depth=2
	v_mov_b32_e32 v0, 1
	s_waitcnt vmcnt(0)
	buffer_wbinvl1_vol
.LBB4_272:                              ;   in Loop: Header=BB4_228 Depth=2
	s_or_b64 exec, exec, s[42:43]
	s_andn2_saveexec_b64 s[26:27], s[26:27]
	s_cbranch_execnz .LBB4_275
.LBB4_273:                              ;   in Loop: Header=BB4_228 Depth=2
	s_or_b64 exec, exec, s[26:27]
	v_cmp_ne_u32_e32 vcc, 0, v0
	s_and_saveexec_b64 s[26:27], vcc
	s_cbranch_execz .LBB4_227
	s_branch .LBB4_293
.LBB4_274:                              ;   in Loop: Header=BB4_228 Depth=2
	s_andn2_saveexec_b64 s[26:27], s[26:27]
	s_cbranch_execz .LBB4_273
.LBB4_275:                              ;   in Loop: Header=BB4_228 Depth=2
	s_and_saveexec_b64 s[8:9], s[58:59]
	s_xor_b64 s[42:43], exec, s[8:9]
	s_cbranch_execz .LBB4_290
; %bb.276:                              ;   in Loop: Header=BB4_228 Depth=2
	s_and_saveexec_b64 s[44:45], s[16:17]
	s_cbranch_execz .LBB4_289
; %bb.277:                              ;   in Loop: Header=BB4_228 Depth=2
	s_mov_b64 s[78:79], exec
	v_mbcnt_lo_u32_b32 v3, s78, 0
	v_mbcnt_hi_u32_b32 v3, s79, v3
	v_cmp_eq_u32_e32 vcc, 0, v3
	;;#ASMSTART
	s_waitcnt lgkmcnt(0) vmcnt(0)
	;;#ASMEND
	s_and_saveexec_b64 s[76:77], vcc
	s_cbranch_execz .LBB4_279
; %bb.278:                              ;   in Loop: Header=BB4_228 Depth=2
	s_bcnt1_i32_b64 s8, s[78:79]
	v_mov_b32_e32 v3, s8
	v_mov_b32_e32 v4, v2
	s_waitcnt lgkmcnt(0)
	ds_add_u64 v0, v[3:4]
	s_trap 2
.LBB4_279:                              ;   in Loop: Header=BB4_228 Depth=2
	s_or_b64 exec, exec, s[76:77]
	s_trap 2
	ds_read_b64 v[3:4], v0
	s_waitcnt lgkmcnt(0)
	v_add_co_u32_e32 v48, vcc, v48, v57
	v_addc_co_u32_e32 v49, vcc, 0, v49, vcc
	v_cmp_lt_u64_e32 vcc, v[3:4], v[48:49]
	s_and_saveexec_b64 s[76:77], vcc
	s_cbranch_execz .LBB4_288
; %bb.280:                              ;   in Loop: Header=BB4_228 Depth=2
	s_mov_b32 s8, 0
	s_mov_b64 s[78:79], 0
                                        ; implicit-def: $sgpr88_sgpr89
                                        ; implicit-def: $sgpr90_sgpr91
	s_branch .LBB4_282
.LBB4_281:                              ;   in Loop: Header=BB4_282 Depth=3
	s_or_b64 exec, exec, s[94:95]
	s_and_b64 s[92:93], exec, vcc
	s_or_b64 s[78:79], s[92:93], s[78:79]
	s_andn2_b64 s[88:89], s[88:89], exec
	s_and_b64 s[92:93], s[90:91], exec
	s_or_b64 s[88:89], s[88:89], s[92:93]
	s_andn2_b64 exec, exec, s[78:79]
	s_cbranch_execz .LBB4_286
.LBB4_282:                              ;   Parent Loop BB4_47 Depth=1
                                        ;     Parent Loop BB4_228 Depth=2
                                        ; =>    This Inner Loop Header: Depth=3
	s_add_i32 s8, s8, 1
	s_cmpk_lg_i32 s8, 0x2710
	s_cselect_b64 s[92:93], -1, 0
	s_and_b64 vcc, exec, s[92:93]
	s_cbranch_vccz .LBB4_284
; %bb.283:                              ;   in Loop: Header=BB4_282 Depth=3
	s_mov_b64 vcc, -1
	s_or_b64 s[90:91], s[90:91], exec
	s_and_saveexec_b64 s[94:95], s[92:93]
	s_cbranch_execz .LBB4_281
	s_branch .LBB4_285
.LBB4_284:                              ;   in Loop: Header=BB4_282 Depth=3
	s_trap 2
	ds_read_b64 v[3:4], v0
	s_andn2_b64 s[92:93], s[92:93], exec
	s_mov_b32 s8, 0
	s_waitcnt vmcnt(0) lgkmcnt(0)
	flat_load_dword v3, v[3:4] glc
	s_waitcnt vmcnt(0) lgkmcnt(0)
	buffer_wbinvl1_vol
	v_cmp_eq_u32_e32 vcc, 0, v3
	s_and_b64 s[94:95], vcc, exec
	s_or_b64 s[92:93], s[92:93], s[94:95]
	s_mov_b64 vcc, -1
	s_or_b64 s[90:91], s[90:91], exec
	s_and_saveexec_b64 s[94:95], s[92:93]
	s_cbranch_execz .LBB4_281
.LBB4_285:                              ;   in Loop: Header=BB4_282 Depth=3
	s_sleep 1
	s_trap 2
	ds_read_b64 v[3:4], v0
	s_waitcnt lgkmcnt(0)
	s_andn2_b64 s[90:91], s[90:91], exec
	v_cmp_ge_u64_e32 vcc, v[3:4], v[48:49]
	s_orn2_b64 vcc, vcc, exec
	s_branch .LBB4_281
.LBB4_286:                              ;   in Loop: Header=BB4_228 Depth=2
	s_or_b64 exec, exec, s[78:79]
	s_and_saveexec_b64 s[8:9], s[88:89]
	s_xor_b64 s[8:9], exec, s[8:9]
	s_cbranch_execz .LBB4_288
; %bb.287:                              ;   in Loop: Header=BB4_228 Depth=2
	v_mov_b32_e32 v3, 1
	ds_write_b32 v0, v3
	s_trap 2
.LBB4_288:                              ;   in Loop: Header=BB4_228 Depth=2
	s_or_b64 exec, exec, s[76:77]
	;;#ASMSTART
	s_wakeup
	;;#ASMEND
.LBB4_289:                              ;   in Loop: Header=BB4_228 Depth=2
	s_or_b64 exec, exec, s[44:45]
.LBB4_290:                              ;   in Loop: Header=BB4_228 Depth=2
	s_andn2_saveexec_b64 s[42:43], s[42:43]
	s_cbranch_execz .LBB4_292
; %bb.291:                              ;   in Loop: Header=BB4_228 Depth=2
	;;#ASMSTART
	s_waitcnt lgkmcnt(0) vmcnt(0)
	;;#ASMEND
	s_waitcnt vmcnt(0) lgkmcnt(0)
	s_barrier
.LBB4_292:                              ;   in Loop: Header=BB4_228 Depth=2
	s_or_b64 exec, exec, s[42:43]
	s_or_b64 exec, exec, s[26:27]
	v_cmp_ne_u32_e32 vcc, 0, v0
	s_and_saveexec_b64 s[26:27], vcc
	s_cbranch_execz .LBB4_227
.LBB4_293:                              ;   in Loop: Header=BB4_228 Depth=2
	s_and_saveexec_b64 s[42:43], s[14:15]
	s_cbranch_execz .LBB4_226
; %bb.294:                              ;   in Loop: Header=BB4_228 Depth=2
	buffer_load_dword v3, off, s[0:3], s33 offset:164 ; 4-byte Folded Reload
	buffer_load_dword v4, off, s[0:3], s33 offset:168 ; 4-byte Folded Reload
	v_mov_b32_e32 v0, 1
	s_waitcnt vmcnt(0)
	flat_store_dword v[3:4], v0
	s_branch .LBB4_226
.LBB4_295:                              ;   in Loop: Header=BB4_47 Depth=1
	s_or_b64 exec, exec, s[40:41]
.LBB4_296:                              ;   in Loop: Header=BB4_47 Depth=1
	s_or_b64 exec, exec, s[28:29]
	v_cndmask_b32_e64 v0, 0, 1, s[62:63]
	v_cmp_ne_u32_e64 s[26:27], 1, v0
	s_andn2_b64 vcc, exec, s[62:63]
	s_cbranch_vccnz .LBB4_813
; %bb.297:                              ;   in Loop: Header=BB4_47 Depth=1
	s_mov_b32 s9, 2
	s_branch .LBB4_300
.LBB4_298:                              ;   in Loop: Header=BB4_300 Depth=2
	s_or_b64 exec, exec, s[42:43]
.LBB4_299:                              ;   in Loop: Header=BB4_300 Depth=2
	s_or_b64 exec, exec, s[40:41]
	s_add_i32 s9, s9, 1
	s_cmp_eq_u32 s9, s50
	s_cbranch_scc1 .LBB4_813
.LBB4_300:                              ;   Parent Loop BB4_47 Depth=1
                                        ; =>  This Loop Header: Depth=2
                                        ;       Child Loop BB4_303 Depth 3
                                        ;         Child Loop BB4_311 Depth 4
                                        ;         Child Loop BB4_339 Depth 4
	;; [unrolled: 1-line block ×4, first 2 shown]
                                        ;           Child Loop BB4_388 Depth 5
                                        ;           Child Loop BB4_425 Depth 5
                                        ;         Child Loop BB4_500 Depth 4
                                        ;           Child Loop BB4_501 Depth 5
                                        ;           Child Loop BB4_538 Depth 5
                                        ;         Child Loop BB4_615 Depth 4
                                        ;         Child Loop BB4_674 Depth 4
                                        ;           Child Loop BB4_675 Depth 5
                                        ;           Child Loop BB4_684 Depth 5
                                        ;         Child Loop BB4_703 Depth 4
                                        ;         Child Loop BB4_722 Depth 4
                                        ;       Child Loop BB4_741 Depth 3
                                        ;         Child Loop BB4_747 Depth 4
                                        ;         Child Loop BB4_775 Depth 4
	;; [unrolled: 1-line block ×3, first 2 shown]
	buffer_load_dword v10, off, s[0:3], s33 offset:224 ; 4-byte Folded Reload
	buffer_load_dword v11, off, s[0:3], s33 offset:228 ; 4-byte Folded Reload
	s_sub_i32 s8, s55, s9
	s_cmp_ge_i32 s8, s50
	s_cselect_b32 s28, s50, 0
	s_sub_i32 s8, s8, s28
	s_ashr_i32 s40, s8, 31
	s_waitcnt vmcnt(0)
	v_mad_u64_u32 v[3:4], s[28:29], v10, s8, 0
	v_mul_lo_u32 v0, v11, s8
	v_mul_lo_u32 v8, v10, s40
	v_add3_u32 v4, v4, v8, v0
	buffer_load_dword v8, off, s[0:3], s33 offset:216 ; 4-byte Folded Reload
	buffer_load_dword v9, off, s[0:3], s33 offset:220 ; 4-byte Folded Reload
	s_waitcnt vmcnt(0)
	v_sub_co_u32_e32 v8, vcc, v8, v3
	v_subb_co_u32_e32 v9, vcc, v9, v4, vcc
	v_cmp_lt_i64_e32 vcc, v[10:11], v[8:9]
	v_cndmask_b32_e32 v0, v8, v10, vcc
	v_max_i32_e32 v24, 0, v0
	v_add_u32_e32 v8, 31, v24
	v_lshrrev_b32_e32 v8, 1, v8
	v_and_b32_e32 v8, 0x3ffffff0, v8
	v_cmp_lt_i32_e32 vcc, 0, v0
	v_max_i32_e32 v8, s66, v8
	s_and_b64 s[28:29], s[74:75], vcc
	v_mov_b32_e32 v0, 0
	v_mov_b32_e32 v10, 0
	s_and_saveexec_b64 s[44:45], s[28:29]
	s_cbranch_execz .LBB4_738
; %bb.301:                              ;   in Loop: Header=BB4_300 Depth=2
	v_lshlrev_b64 v[12:13], 1, v[3:4]
	s_mov_b32 s53, 1
	s_mov_b64 s[78:79], -1
	v_mov_b32_e32 v10, 0
	s_mov_b64 s[76:77], 0
	s_branch .LBB4_303
.LBB4_302:                              ;   in Loop: Header=BB4_303 Depth=3
	s_or_b64 exec, exec, s[28:29]
	v_add_u32_e32 v10, v8, v10
	v_cmp_ge_i32_e32 vcc, v10, v24
	s_xor_b64 s[28:29], s[78:79], -1
	s_or_b64 s[28:29], s[28:29], vcc
	s_and_b64 s[28:29], exec, s[28:29]
	s_or_b64 s[76:77], s[28:29], s[76:77]
	s_mov_b64 s[78:79], 0
	v_mov_b32_e32 v0, s53
	s_mov_b32 s53, 2
	s_andn2_b64 exec, exec, s[76:77]
	s_cbranch_execz .LBB4_737
.LBB4_303:                              ;   Parent Loop BB4_47 Depth=1
                                        ;     Parent Loop BB4_300 Depth=2
                                        ; =>    This Loop Header: Depth=3
                                        ;         Child Loop BB4_311 Depth 4
                                        ;         Child Loop BB4_339 Depth 4
	;; [unrolled: 1-line block ×4, first 2 shown]
                                        ;           Child Loop BB4_388 Depth 5
                                        ;           Child Loop BB4_425 Depth 5
                                        ;         Child Loop BB4_500 Depth 4
                                        ;           Child Loop BB4_501 Depth 5
                                        ;           Child Loop BB4_538 Depth 5
                                        ;         Child Loop BB4_615 Depth 4
                                        ;         Child Loop BB4_674 Depth 4
                                        ;           Child Loop BB4_675 Depth 5
                                        ;           Child Loop BB4_684 Depth 5
                                        ;         Child Loop BB4_703 Depth 4
                                        ;         Child Loop BB4_722 Depth 4
	s_and_saveexec_b64 s[28:29], s[4:5]
	s_cbranch_execz .LBB4_305
; %bb.304:                              ;   in Loop: Header=BB4_303 Depth=3
	s_trap 2
	ds_read_b64 v[3:4], v0
	buffer_load_dword v14, off, s[0:3], s33 offset:192 ; 4-byte Folded Reload
	buffer_load_dword v15, off, s[0:3], s33 offset:196 ; 4-byte Folded Reload
	v_ashrrev_i32_e32 v11, 31, v10
	s_waitcnt vmcnt(0)
	v_lshlrev_b64 v[14:15], 1, v[14:15]
	s_waitcnt lgkmcnt(0)
	v_add_co_u32_e32 v0, vcc, v3, v14
	v_addc_co_u32_e32 v3, vcc, v4, v15, vcc
	v_add_co_u32_e32 v0, vcc, v0, v12
	v_addc_co_u32_e32 v9, vcc, v3, v13, vcc
	v_lshlrev_b64 v[3:4], 1, v[10:11]
	v_add_co_u32_e32 v3, vcc, v0, v3
	v_addc_co_u32_e32 v4, vcc, v9, v4, vcc
	ds_write_b64 v0, v[3:4]
	v_mov_b32_e32 v3, v2
	ds_write_b64 v0, v[2:3]
.LBB4_305:                              ;   in Loop: Header=BB4_303 Depth=3
	s_or_b64 exec, exec, s[28:29]
	v_sub_u32_e32 v0, v24, v10
	v_min_i32_e32 v8, v8, v0
	v_and_b32_e32 v0, 12, v5
	v_cmp_ne_u32_e32 vcc, 0, v0
	s_and_saveexec_b64 s[40:41], vcc
	s_cbranch_execz .LBB4_331
; %bb.306:                              ;   in Loop: Header=BB4_303 Depth=3
	v_and_b32_e32 v0, 8, v5
	s_waitcnt lgkmcnt(0)
	v_add_co_u32_e32 v3, vcc, v38, v0
	v_addc_co_u32_e32 v4, vcc, 0, v39, vcc
	v_add_co_u32_e32 v14, vcc, 2, v46
	v_addc_co_u32_e32 v15, vcc, 0, v47, vcc
	v_cmp_lt_u64_e32 vcc, v[3:4], v[14:15]
	s_and_saveexec_b64 s[42:43], vcc
	s_cbranch_execz .LBB4_318
; %bb.307:                              ;   in Loop: Header=BB4_303 Depth=3
	v_and_b32_e32 v3, 64, v5
	s_mov_b32 s8, 0
	v_cmp_eq_u32_e32 vcc, 0, v3
	s_mov_b64 s[88:89], 0
                                        ; implicit-def: $sgpr90_sgpr91
                                        ; implicit-def: $sgpr92_sgpr93
                                        ; implicit-def: $sgpr94_sgpr95
	s_branch .LBB4_311
.LBB4_308:                              ;   in Loop: Header=BB4_311 Depth=4
	s_waitcnt vmcnt(0) lgkmcnt(0)
	v_add_co_u32_e64 v16, s[28:29], v38, v0
	v_addc_co_u32_e64 v17, s[28:29], 0, v39, s[28:29]
	v_cmp_ge_u64_e64 s[28:29], v[16:17], v[14:15]
	s_or_b64 s[36:37], s[36:37], exec
	s_orn2_b64 s[34:35], s[28:29], exec
.LBB4_309:                              ;   in Loop: Header=BB4_311 Depth=4
	s_or_b64 exec, exec, s[48:49]
	s_andn2_b64 s[28:29], s[94:95], exec
	s_and_b64 s[94:95], s[36:37], exec
	s_or_b64 s[94:95], s[28:29], s[94:95]
	s_andn2_b64 s[28:29], s[92:93], exec
	s_and_b64 s[92:93], s[34:35], exec
	s_or_b64 s[92:93], s[28:29], s[92:93]
.LBB4_310:                              ;   in Loop: Header=BB4_311 Depth=4
	s_or_b64 exec, exec, s[30:31]
	s_and_b64 s[28:29], exec, s[92:93]
	s_or_b64 s[88:89], s[28:29], s[88:89]
	s_andn2_b64 s[28:29], s[90:91], exec
	s_and_b64 s[90:91], s[94:95], exec
	s_or_b64 s[90:91], s[28:29], s[90:91]
	s_andn2_b64 exec, exec, s[88:89]
	s_cbranch_execz .LBB4_315
.LBB4_311:                              ;   Parent Loop BB4_47 Depth=1
                                        ;     Parent Loop BB4_300 Depth=2
                                        ;       Parent Loop BB4_303 Depth=3
                                        ; =>      This Inner Loop Header: Depth=4
	s_sleep 1
	s_waitcnt vmcnt(0) lgkmcnt(0)
	flat_load_dwordx2 v[38:39], v[32:33] glc
	s_or_b64 s[94:95], s[94:95], exec
	s_or_b64 s[92:93], s[92:93], exec
                                        ; implicit-def: $vgpr3
	s_and_saveexec_b64 s[30:31], vcc
	s_cbranch_execz .LBB4_310
; %bb.312:                              ;   in Loop: Header=BB4_311 Depth=4
	s_cmpk_lt_i32 s8, 0x270f
	s_cselect_b64 s[38:39], -1, 0
	s_cmpk_gt_i32 s8, 0x270e
	s_mov_b64 s[34:35], -1
	s_cbranch_scc0 .LBB4_314
; %bb.313:                              ;   in Loop: Header=BB4_311 Depth=4
	s_trap 2
	ds_read_b64 v[3:4], v0
	s_andn2_b64 s[38:39], s[38:39], exec
	s_mov_b32 s8, 0
	s_mov_b64 s[36:37], 0
	s_waitcnt vmcnt(0) lgkmcnt(0)
	flat_load_dword v3, v[3:4] glc
	s_waitcnt vmcnt(0) lgkmcnt(0)
	buffer_wbinvl1_vol
	v_cmp_eq_u32_e64 s[28:29], 0, v3
	s_and_b64 s[28:29], s[28:29], exec
	s_or_b64 s[38:39], s[38:39], s[28:29]
	s_and_saveexec_b64 s[48:49], s[38:39]
	s_cbranch_execz .LBB4_309
	s_branch .LBB4_308
.LBB4_314:                              ;   in Loop: Header=BB4_311 Depth=4
	s_add_i32 s8, s8, 1
	s_mov_b64 s[36:37], -1
                                        ; implicit-def: $vgpr3
	s_and_saveexec_b64 s[48:49], s[38:39]
	s_cbranch_execz .LBB4_309
	s_branch .LBB4_308
.LBB4_315:                              ;   in Loop: Header=BB4_303 Depth=3
	s_or_b64 exec, exec, s[88:89]
	s_xor_b64 s[28:29], s[90:91], -1
	s_and_saveexec_b64 s[88:89], s[28:29]
	s_xor_b64 s[28:29], exec, s[88:89]
	s_cbranch_execz .LBB4_317
; %bb.316:                              ;   in Loop: Header=BB4_303 Depth=3
	v_or_b32_e32 v5, 64, v5
	s_waitcnt lgkmcnt(0)
	ds_write_b32 v0, v3
	s_trap 2
.LBB4_317:                              ;   in Loop: Header=BB4_303 Depth=3
	s_or_b64 exec, exec, s[28:29]
.LBB4_318:                              ;   in Loop: Header=BB4_303 Depth=3
	s_or_b64 exec, exec, s[42:43]
	v_and_b32_e32 v3, 0x108, v5
	v_cmp_ne_u32_e32 vcc, s56, v3
	;;#ASMSTART
	s_wakeup
	;;#ASMEND
                                        ; implicit-def: $vgpr16_vgpr17
	s_and_saveexec_b64 s[28:29], vcc
	s_xor_b64 s[28:29], exec, s[28:29]
; %bb.319:                              ;   in Loop: Header=BB4_303 Depth=3
	v_and_b32_e32 v16, 7, v46
	v_mov_b32_e32 v17, v2
                                        ; implicit-def: $vgpr46_vgpr47
; %bb.320:                              ;   in Loop: Header=BB4_303 Depth=3
	s_andn2_saveexec_b64 s[28:29], s[28:29]
	s_cbranch_execz .LBB4_322
; %bb.321:                              ;   in Loop: Header=BB4_303 Depth=3
	buffer_load_dword v17, off, s[0:3], s33 offset:148 ; 4-byte Folded Reload
	buffer_load_dword v18, off, s[0:3], s33 offset:152 ; 4-byte Folded Reload
	buffer_load_dword v19, off, s[0:3], s33 offset:156 ; 4-byte Folded Reload
	buffer_load_dword v20, off, s[0:3], s33 offset:160 ; 4-byte Folded Reload
	v_and_b32_e32 v16, 7, v46
	v_ashrrev_i32_e32 v9, 31, v8
	s_waitcnt vmcnt(0)
	v_mad_u64_u32 v[3:4], s[42:43], v16, 24, v[17:18]
	v_lshlrev_b64 v[18:19], 1, v[8:9]
	v_mov_b32_e32 v17, v2
	flat_store_dwordx2 v[3:4], v[18:19] offset:8
.LBB4_322:                              ;   in Loop: Header=BB4_303 Depth=3
	s_or_b64 exec, exec, s[28:29]
	v_and_b32_e32 v3, 0x100, v5
	v_cmp_ne_u32_e32 vcc, 0, v3
	s_mov_b64 s[28:29], -1
                                        ; implicit-def: $vgpr3_vgpr4
	s_and_saveexec_b64 s[42:43], vcc
	s_cbranch_execz .LBB4_326
; %bb.323:                              ;   in Loop: Header=BB4_303 Depth=3
	buffer_load_dword v18, off, s[0:3], s33 offset:148 ; 4-byte Folded Reload
	buffer_load_dword v19, off, s[0:3], s33 offset:152 ; 4-byte Folded Reload
	;; [unrolled: 1-line block ×4, first 2 shown]
	s_waitcnt vmcnt(0)
	v_mad_u64_u32 v[18:19], s[28:29], v16, 24, v[18:19]
	v_mov_b32_e32 v3, v19
	v_mad_u64_u32 v[3:4], s[28:29], v17, 24, v[3:4]
	v_mov_b32_e32 v19, v3
	flat_load_dword v3, v[18:19]
	s_waitcnt vmcnt(0) lgkmcnt(0)
	v_cmp_ne_u32_e32 vcc, 1, v3
	v_cmp_eq_u32_e64 s[28:29], 1, v3
                                        ; implicit-def: $vgpr3_vgpr4
	s_and_saveexec_b64 s[88:89], s[28:29]
	s_cbranch_execz .LBB4_325
; %bb.324:                              ;   in Loop: Header=BB4_303 Depth=3
	flat_load_dword v3, v[18:19] offset:4 glc
	s_waitcnt vmcnt(0) lgkmcnt(0)
	v_ashrrev_i32_e32 v4, 31, v3
	v_lshrrev_b64 v[3:4], 1, v[3:4]
.LBB4_325:                              ;   in Loop: Header=BB4_303 Depth=3
	s_or_b64 exec, exec, s[88:89]
	s_orn2_b64 s[28:29], vcc, exec
.LBB4_326:                              ;   in Loop: Header=BB4_303 Depth=3
	s_or_b64 exec, exec, s[42:43]
	s_and_saveexec_b64 s[42:43], s[28:29]
	s_cbranch_execz .LBB4_328
; %bb.327:                              ;   in Loop: Header=BB4_303 Depth=3
	buffer_load_dword v3, off, s[0:3], s33 offset:172 ; 4-byte Folded Reload
	buffer_load_dword v4, off, s[0:3], s33 offset:176 ; 4-byte Folded Reload
	s_waitcnt vmcnt(0)
	v_mul_lo_u32 v9, v17, v3
	v_mul_lo_u32 v11, v16, v4
	v_mad_u64_u32 v[3:4], s[28:29], v16, v3, 0
	v_add3_u32 v4, v4, v11, v9
.LBB4_328:                              ;   in Loop: Header=BB4_303 Depth=3
	s_or_b64 exec, exec, s[42:43]
	buffer_load_dword v16, off, s[0:3], s33 offset:140 ; 4-byte Folded Reload
	buffer_load_dword v17, off, s[0:3], s33 offset:144 ; 4-byte Folded Reload
	v_lshlrev_b64 v[3:4], 1, v[3:4]
	v_cmp_eq_u32_e32 vcc, 0, v0
	v_mov_b32_e32 v0, 0xc8
	v_mov_b32_e32 v9, 0x90
	v_cndmask_b32_e32 v0, v0, v9, vcc
	v_add_u32_e32 v0, v0, v0
	s_waitcnt vmcnt(0)
	v_add_co_u32_e32 v3, vcc, v16, v3
	v_addc_co_u32_e32 v4, vcc, v17, v4, vcc
	ds_write_b64 v0, v[3:4] offset:584
	v_and_b32_e32 v0, 0x2000, v5
	v_cmp_ne_u32_e32 vcc, 0, v0
	s_and_saveexec_b64 s[28:29], vcc
	s_cbranch_execz .LBB4_330
; %bb.329:                              ;   in Loop: Header=BB4_303 Depth=3
	ds_read_b64 v[3:4], v0 offset:872
	s_waitcnt lgkmcnt(0)
	v_add_co_u32_e32 v3, vcc, 1, v3
	v_addc_co_u32_e32 v4, vcc, 0, v4, vcc
	ds_write_b64 v0, v[3:4] offset:872
.LBB4_330:                              ;   in Loop: Header=BB4_303 Depth=3
	s_or_b64 exec, exec, s[28:29]
	v_mov_b32_e32 v47, v15
	v_mov_b32_e32 v46, v14
.LBB4_331:                              ;   in Loop: Header=BB4_303 Depth=3
	s_or_b64 exec, exec, s[40:41]
	s_and_saveexec_b64 s[28:29], s[10:11]
	s_cbranch_execz .LBB4_350
; %bb.332:                              ;   in Loop: Header=BB4_303 Depth=3
	s_and_saveexec_b64 s[40:41], s[58:59]
	s_xor_b64 s[40:41], exec, s[40:41]
	s_cbranch_execz .LBB4_347
; %bb.333:                              ;   in Loop: Header=BB4_303 Depth=3
	s_and_saveexec_b64 s[42:43], s[16:17]
	s_cbranch_execz .LBB4_346
; %bb.334:                              ;   in Loop: Header=BB4_303 Depth=3
	s_mov_b64 s[90:91], exec
	v_mbcnt_lo_u32_b32 v0, s90, 0
	v_mbcnt_hi_u32_b32 v0, s91, v0
	v_cmp_eq_u32_e32 vcc, 0, v0
	s_waitcnt vmcnt(0) lgkmcnt(0)
	buffer_wbinvl1_vol
	s_and_saveexec_b64 s[88:89], vcc
	s_cbranch_execz .LBB4_336
; %bb.335:                              ;   in Loop: Header=BB4_303 Depth=3
	s_bcnt1_i32_b64 s8, s[90:91]
	v_mov_b32_e32 v3, s8
	v_mov_b32_e32 v4, v2
	ds_add_u64 v0, v[3:4]
	s_trap 2
.LBB4_336:                              ;   in Loop: Header=BB4_303 Depth=3
	s_or_b64 exec, exec, s[88:89]
	s_trap 2
	ds_read_b64 v[3:4], v0
	s_waitcnt lgkmcnt(0)
	v_add_co_u32_e32 v48, vcc, v48, v57
	v_addc_co_u32_e32 v49, vcc, 0, v49, vcc
	v_cmp_lt_u64_e32 vcc, v[3:4], v[48:49]
	s_and_saveexec_b64 s[88:89], vcc
	s_cbranch_execz .LBB4_345
; %bb.337:                              ;   in Loop: Header=BB4_303 Depth=3
	s_mov_b32 s8, 0
	s_mov_b64 s[90:91], 0
                                        ; implicit-def: $sgpr92_sgpr93
                                        ; implicit-def: $sgpr94_sgpr95
	s_branch .LBB4_339
.LBB4_338:                              ;   in Loop: Header=BB4_339 Depth=4
	s_or_b64 exec, exec, s[34:35]
	s_and_b64 vcc, exec, vcc
	s_or_b64 s[90:91], vcc, s[90:91]
	s_andn2_b64 s[92:93], s[92:93], exec
	s_and_b64 vcc, s[94:95], exec
	s_or_b64 s[92:93], s[92:93], vcc
	s_andn2_b64 exec, exec, s[90:91]
	s_cbranch_execz .LBB4_343
.LBB4_339:                              ;   Parent Loop BB4_47 Depth=1
                                        ;     Parent Loop BB4_300 Depth=2
                                        ;       Parent Loop BB4_303 Depth=3
                                        ; =>      This Inner Loop Header: Depth=4
	s_add_i32 s8, s8, 1
	s_cmpk_lg_i32 s8, 0x2710
	s_cselect_b64 s[30:31], -1, 0
	s_and_b64 vcc, exec, s[30:31]
	s_cbranch_vccz .LBB4_341
; %bb.340:                              ;   in Loop: Header=BB4_339 Depth=4
	s_mov_b64 vcc, -1
	s_or_b64 s[94:95], s[94:95], exec
	s_and_saveexec_b64 s[34:35], s[30:31]
	s_cbranch_execz .LBB4_338
	s_branch .LBB4_342
.LBB4_341:                              ;   in Loop: Header=BB4_339 Depth=4
	s_trap 2
	ds_read_b64 v[3:4], v0
	s_andn2_b64 s[30:31], s[30:31], exec
	s_mov_b32 s8, 0
	s_waitcnt lgkmcnt(0)
	flat_load_dword v0, v[3:4] glc
	s_waitcnt vmcnt(0) lgkmcnt(0)
	buffer_wbinvl1_vol
	v_cmp_eq_u32_e32 vcc, 0, v0
	s_and_b64 vcc, vcc, exec
	s_or_b64 s[30:31], s[30:31], vcc
	s_mov_b64 vcc, -1
	s_or_b64 s[94:95], s[94:95], exec
	s_and_saveexec_b64 s[34:35], s[30:31]
	s_cbranch_execz .LBB4_338
.LBB4_342:                              ;   in Loop: Header=BB4_339 Depth=4
	s_sleep 1
	s_trap 2
	ds_read_b64 v[3:4], v0
	s_waitcnt lgkmcnt(0)
	s_andn2_b64 s[94:95], s[94:95], exec
	v_cmp_ge_u64_e32 vcc, v[3:4], v[48:49]
	s_orn2_b64 vcc, vcc, exec
	s_branch .LBB4_338
.LBB4_343:                              ;   in Loop: Header=BB4_303 Depth=3
	s_or_b64 exec, exec, s[90:91]
	s_and_saveexec_b64 s[90:91], s[92:93]
	s_xor_b64 s[90:91], exec, s[90:91]
	s_cbranch_execz .LBB4_345
; %bb.344:                              ;   in Loop: Header=BB4_303 Depth=3
	v_mov_b32_e32 v0, 1
	ds_write_b32 v0, v0
	s_trap 2
.LBB4_345:                              ;   in Loop: Header=BB4_303 Depth=3
	s_or_b64 exec, exec, s[88:89]
	;;#ASMSTART
	s_wakeup
	;;#ASMEND
.LBB4_346:                              ;   in Loop: Header=BB4_303 Depth=3
	s_or_b64 exec, exec, s[42:43]
.LBB4_347:                              ;   in Loop: Header=BB4_303 Depth=3
	s_andn2_saveexec_b64 s[40:41], s[40:41]
	s_cbranch_execz .LBB4_349
; %bb.348:                              ;   in Loop: Header=BB4_303 Depth=3
	s_waitcnt vmcnt(0) lgkmcnt(0)
	buffer_wbinvl1_vol
	s_barrier
.LBB4_349:                              ;   in Loop: Header=BB4_303 Depth=3
	s_or_b64 exec, exec, s[40:41]
.LBB4_350:                              ;   in Loop: Header=BB4_303 Depth=3
	s_or_b64 exec, exec, s[28:29]
	s_trap 2
	ds_read_b32 v0, v0
	v_and_b32_e32 v3, 0x4000, v5
	v_cmp_ne_u32_e32 vcc, 0, v3
	s_xor_b64 s[28:29], s[6:7], -1
	s_and_b64 s[40:41], s[28:29], vcc
	s_and_saveexec_b64 s[28:29], s[40:41]
	s_cbranch_execz .LBB4_369
; %bb.351:                              ;   in Loop: Header=BB4_303 Depth=3
	s_and_saveexec_b64 s[40:41], s[58:59]
	s_xor_b64 s[40:41], exec, s[40:41]
	s_cbranch_execz .LBB4_366
; %bb.352:                              ;   in Loop: Header=BB4_303 Depth=3
	s_and_saveexec_b64 s[42:43], s[16:17]
	s_cbranch_execz .LBB4_365
; %bb.353:                              ;   in Loop: Header=BB4_303 Depth=3
	s_mov_b64 s[90:91], exec
	v_mbcnt_lo_u32_b32 v3, s90, 0
	v_mbcnt_hi_u32_b32 v3, s91, v3
	v_cmp_eq_u32_e32 vcc, 0, v3
	s_waitcnt vmcnt(0) lgkmcnt(0)
	buffer_wbinvl1_vol
	s_and_saveexec_b64 s[88:89], vcc
	s_cbranch_execz .LBB4_355
; %bb.354:                              ;   in Loop: Header=BB4_303 Depth=3
	s_bcnt1_i32_b64 s8, s[90:91]
	v_mov_b32_e32 v3, s8
	v_mov_b32_e32 v4, v2
	ds_add_u64 v0, v[3:4]
	s_trap 2
.LBB4_355:                              ;   in Loop: Header=BB4_303 Depth=3
	s_or_b64 exec, exec, s[88:89]
	s_trap 2
	ds_read_b64 v[3:4], v0
	s_waitcnt lgkmcnt(0)
	v_add_co_u32_e32 v48, vcc, v48, v57
	v_addc_co_u32_e32 v49, vcc, 0, v49, vcc
	v_cmp_lt_u64_e32 vcc, v[3:4], v[48:49]
	s_and_saveexec_b64 s[88:89], vcc
	s_cbranch_execz .LBB4_364
; %bb.356:                              ;   in Loop: Header=BB4_303 Depth=3
	s_mov_b32 s8, 0
	s_mov_b64 s[90:91], 0
                                        ; implicit-def: $sgpr92_sgpr93
                                        ; implicit-def: $sgpr94_sgpr95
	s_branch .LBB4_358
.LBB4_357:                              ;   in Loop: Header=BB4_358 Depth=4
	s_or_b64 exec, exec, s[34:35]
	s_and_b64 vcc, exec, vcc
	s_or_b64 s[90:91], vcc, s[90:91]
	s_andn2_b64 s[92:93], s[92:93], exec
	s_and_b64 vcc, s[94:95], exec
	s_or_b64 s[92:93], s[92:93], vcc
	s_andn2_b64 exec, exec, s[90:91]
	s_cbranch_execz .LBB4_362
.LBB4_358:                              ;   Parent Loop BB4_47 Depth=1
                                        ;     Parent Loop BB4_300 Depth=2
                                        ;       Parent Loop BB4_303 Depth=3
                                        ; =>      This Inner Loop Header: Depth=4
	s_add_i32 s8, s8, 1
	s_cmpk_lg_i32 s8, 0x2710
	s_cselect_b64 s[30:31], -1, 0
	s_and_b64 vcc, exec, s[30:31]
	s_cbranch_vccz .LBB4_360
; %bb.359:                              ;   in Loop: Header=BB4_358 Depth=4
	s_mov_b64 vcc, -1
	s_or_b64 s[94:95], s[94:95], exec
	s_and_saveexec_b64 s[34:35], s[30:31]
	s_cbranch_execz .LBB4_357
	s_branch .LBB4_361
.LBB4_360:                              ;   in Loop: Header=BB4_358 Depth=4
	s_trap 2
	ds_read_b64 v[3:4], v0
	s_andn2_b64 s[30:31], s[30:31], exec
	s_mov_b32 s8, 0
	s_waitcnt lgkmcnt(0)
	flat_load_dword v3, v[3:4] glc
	s_waitcnt vmcnt(0) lgkmcnt(0)
	buffer_wbinvl1_vol
	v_cmp_eq_u32_e32 vcc, 0, v3
	s_and_b64 vcc, vcc, exec
	s_or_b64 s[30:31], s[30:31], vcc
	s_mov_b64 vcc, -1
	s_or_b64 s[94:95], s[94:95], exec
	s_and_saveexec_b64 s[34:35], s[30:31]
	s_cbranch_execz .LBB4_357
.LBB4_361:                              ;   in Loop: Header=BB4_358 Depth=4
	s_sleep 1
	s_trap 2
	ds_read_b64 v[3:4], v0
	s_waitcnt lgkmcnt(0)
	s_andn2_b64 s[94:95], s[94:95], exec
	v_cmp_ge_u64_e32 vcc, v[3:4], v[48:49]
	s_orn2_b64 vcc, vcc, exec
	s_branch .LBB4_357
.LBB4_362:                              ;   in Loop: Header=BB4_303 Depth=3
	s_or_b64 exec, exec, s[90:91]
	s_and_saveexec_b64 s[90:91], s[92:93]
	s_xor_b64 s[90:91], exec, s[90:91]
	s_cbranch_execz .LBB4_364
; %bb.363:                              ;   in Loop: Header=BB4_303 Depth=3
	v_mov_b32_e32 v3, 1
	ds_write_b32 v0, v3
	s_trap 2
.LBB4_364:                              ;   in Loop: Header=BB4_303 Depth=3
	s_or_b64 exec, exec, s[88:89]
	;;#ASMSTART
	s_wakeup
	;;#ASMEND
.LBB4_365:                              ;   in Loop: Header=BB4_303 Depth=3
	s_or_b64 exec, exec, s[42:43]
.LBB4_366:                              ;   in Loop: Header=BB4_303 Depth=3
	s_andn2_saveexec_b64 s[40:41], s[40:41]
	s_cbranch_execz .LBB4_368
; %bb.367:                              ;   in Loop: Header=BB4_303 Depth=3
	s_waitcnt vmcnt(0) lgkmcnt(0)
	buffer_wbinvl1_vol
	s_barrier
.LBB4_368:                              ;   in Loop: Header=BB4_303 Depth=3
	s_or_b64 exec, exec, s[40:41]
.LBB4_369:                              ;   in Loop: Header=BB4_303 Depth=3
	s_or_b64 exec, exec, s[28:29]
	s_trap 2
	s_waitcnt lgkmcnt(0)
	ds_read_b64 v[14:15], v0
	s_waitcnt lgkmcnt(0)
	v_cmp_eq_u64_e32 vcc, 0, v[14:15]
	s_cbranch_vccnz .LBB4_377
; %bb.370:                              ;   in Loop: Header=BB4_303 Depth=3
	s_trap 2
	ds_read_b64 v[16:17], v0
	s_waitcnt lgkmcnt(0)
	v_cmp_eq_u64_e32 vcc, 0, v[16:17]
	s_cbranch_vccnz .LBB4_377
; %bb.371:                              ;   in Loop: Header=BB4_303 Depth=3
	s_trap 2
	ds_read_b64 v[3:4], v0
	s_mov_b64 s[40:41], -1
	s_waitcnt lgkmcnt(0)
	v_readfirstlane_b32 s90, v3
	s_and_saveexec_b64 s[28:29], s[22:23]
	s_cbranch_execz .LBB4_373
; %bb.372:                              ;   in Loop: Header=BB4_303 Depth=3
	ds_read_b32 v3, v0 offset:720
	s_waitcnt lgkmcnt(0)
	v_and_b32_e32 v3, 15, v3
	v_cmp_eq_u32_e32 vcc, 0, v3
	s_orn2_b64 s[40:41], vcc, exec
.LBB4_373:                              ;   in Loop: Header=BB4_303 Depth=3
	s_or_b64 exec, exec, s[28:29]
	s_and_saveexec_b64 s[28:29], s[20:21]
	s_cbranch_execz .LBB4_375
; %bb.374:                              ;   in Loop: Header=BB4_303 Depth=3
	ds_read_b32 v3, v0 offset:784
	s_waitcnt lgkmcnt(0)
	v_and_b32_e32 v3, 15, v3
	v_cmp_eq_u32_e32 vcc, 0, v3
	s_and_b64 s[42:43], s[40:41], vcc
	s_andn2_b64 s[40:41], s[40:41], exec
	s_and_b64 s[42:43], s[42:43], exec
	s_or_b64 s[40:41], s[40:41], s[42:43]
.LBB4_375:                              ;   in Loop: Header=BB4_303 Depth=3
	s_or_b64 exec, exec, s[28:29]
	s_xor_b64 s[40:41], s[40:41], -1
	v_cmp_eq_u32_e64 s[28:29], 0, v0
	v_cndmask_b32_e64 v0, 0, 1, s[40:41]
	s_mov_b64 s[42:43], -1
	v_cmp_ne_u32_e32 vcc, 0, v0
	s_cbranch_vccz .LBB4_382
; %bb.376:                              ;   in Loop: Header=BB4_303 Depth=3
	s_and_b32 s8, s90, 1
	s_mov_b64 s[42:43], 0
	s_mov_b64 s[88:89], -1
	s_branch .LBB4_383
.LBB4_377:                              ;   in Loop: Header=BB4_303 Depth=3
	s_mov_b64 s[28:29], 0
	s_and_saveexec_b64 s[40:41], s[10:11]
	s_cbranch_execnz .LBB4_696
.LBB4_378:                              ;   in Loop: Header=BB4_303 Depth=3
	s_or_b64 exec, exec, s[40:41]
                                        ; implicit-def: $vgpr0
	s_and_saveexec_b64 s[40:41], s[24:25]
	s_xor_b64 s[40:41], exec, s[40:41]
	s_cbranch_execz .LBB4_714
.LBB4_379:                              ;   in Loop: Header=BB4_303 Depth=3
	v_and_b32_e32 v3, 16, v5
	v_cmp_ne_u32_e32 vcc, 0, v3
	s_waitcnt vmcnt(0)
	v_and_b32_e32 v0, 16, v5
	s_and_b64 s[42:43], vcc, s[28:29]
	s_and_saveexec_b64 s[28:29], s[42:43]
	s_cbranch_execz .LBB4_381
; %bb.380:                              ;   in Loop: Header=BB4_303 Depth=3
	v_mov_b32_e32 v0, 1
	s_waitcnt lgkmcnt(0)
	buffer_wbinvl1_vol
.LBB4_381:                              ;   in Loop: Header=BB4_303 Depth=3
	s_or_b64 exec, exec, s[28:29]
	s_andn2_saveexec_b64 s[28:29], s[40:41]
	s_cbranch_execz .LBB4_733
	s_branch .LBB4_715
.LBB4_382:                              ;   in Loop: Header=BB4_303 Depth=3
	s_mov_b64 s[88:89], 0
                                        ; implicit-def: $sgpr8
.LBB4_383:                              ;   in Loop: Header=BB4_303 Depth=3
	v_cndmask_b32_e64 v3, 0, v8, s[28:29]
	v_lshlrev_b32_e32 v4, 1, v3
	s_andn2_b64 vcc, exec, s[42:43]
	v_mov_b32_e32 v27, 0
	s_cbranch_vccnz .LBB4_460
; %bb.384:                              ;   in Loop: Header=BB4_303 Depth=3
	v_ashrrev_i32_e32 v0, 31, v4
	v_lshrrev_b32_e32 v0, 22, v0
	v_add_u32_e32 v0, v4, v0
	buffer_load_dword v21, off, s[0:3], s33 offset:200 ; 4-byte Folded Reload
	v_ashrrev_i32_e32 v20, 10, v0
	v_and_b32_e32 v11, 0xfffffc00, v0
	s_trap 2
	ds_read_b64 v[18:19], v0
	buffer_load_dword v0, off, s[0:3], s33 offset:208 ; 4-byte Folded Reload
	v_sub_u32_e32 v22, v4, v11
	v_cmp_lt_i32_e64 s[28:29], 15, v22
	s_and_b32 s8, s90, 1
	s_mov_b64 s[40:41], 0
	s_waitcnt vmcnt(0)
	v_sub_u32_e32 v9, v4, v21
	s_waitcnt vmcnt(0)
	v_sub_u32_e32 v0, v20, v0
	v_addc_co_u32_e64 v23, vcc, 0, v0, s[28:29]
	v_add_co_u32_e32 v20, vcc, v16, v21
	v_addc_co_u32_e32 v21, vcc, 0, v17, vcc
	v_cmp_lt_i32_e32 vcc, 15, v9
	s_and_saveexec_b64 s[90:91], vcc
	s_cbranch_execz .LBB4_462
; %bb.385:                              ;   in Loop: Header=BB4_303 Depth=3
	buffer_load_dword v0, off, s[0:3], s33 offset:200 ; 4-byte Folded Reload
	s_and_b32 s40, 0xffff, s8
	s_cmp_eq_u32 s40, 0
	s_mov_b64 s[30:31], 0
	s_mov_b64 s[92:93], 0
	s_cselect_b64 s[40:41], -1, 0
                                        ; implicit-def: $sgpr94_sgpr95
	s_waitcnt vmcnt(0)
	v_add_co_u32_e32 v25, vcc, v14, v0
	v_addc_co_u32_e32 v26, vcc, 0, v15, vcc
	s_waitcnt lgkmcnt(0)
	v_add_co_u32_e32 v27, vcc, v18, v0
	v_addc_co_u32_e32 v28, vcc, 0, v19, vcc
	s_branch .LBB4_387
.LBB4_386:                              ;   in Loop: Header=BB4_387 Depth=4
	s_or_b64 exec, exec, s[42:43]
	v_cmp_gt_i32_e32 vcc, 16, v9
	s_or_b64 s[92:93], vcc, s[92:93]
	s_andn2_b64 s[42:43], s[94:95], exec
	s_and_b64 s[94:95], s[30:31], exec
	s_or_b64 s[94:95], s[42:43], s[94:95]
	s_andn2_b64 exec, exec, s[92:93]
	s_cbranch_execz .LBB4_461
.LBB4_387:                              ;   Parent Loop BB4_47 Depth=1
                                        ;     Parent Loop BB4_300 Depth=2
                                        ;       Parent Loop BB4_303 Depth=3
                                        ; =>      This Loop Header: Depth=4
                                        ;           Child Loop BB4_388 Depth 5
                                        ;           Child Loop BB4_425 Depth 5
	s_lshr_b32 s38, s33, 6
	s_add_i32 s38, s38, 64
	s_mov_b64 s[34:35], -1
	s_mov_b64 s[36:37], 0
.LBB4_388:                              ;   Parent Loop BB4_47 Depth=1
                                        ;     Parent Loop BB4_300 Depth=2
                                        ;       Parent Loop BB4_303 Depth=3
                                        ;         Parent Loop BB4_387 Depth=4
                                        ; =>        This Inner Loop Header: Depth=5
	s_cmp_eq_u32 s36, 1
	s_cselect_b64 s[42:43], -1, 0
	v_cndmask_b32_e64 v30, v26, v28, s[42:43]
	v_cndmask_b32_e64 v29, v25, v27, s[42:43]
	global_load_dwordx4 v[50:53], v[29:30], off glc slc
	v_mov_b32_e32 v0, s38
	s_cmp_eq_u32 s36, 0
	s_mov_b64 s[36:37], 1
	s_mov_b32 s38, s68
	s_waitcnt vmcnt(0)
	buffer_store_dword v51, v0, s[0:3], 0 offen offset:4
	buffer_store_dword v50, v0, s[0:3], 0 offen
	buffer_store_dword v53, v0, s[0:3], 0 offen offset:12
	buffer_store_dword v52, v0, s[0:3], 0 offen offset:8
	v_add_co_u32_e32 v0, vcc, s52, v29
	v_addc_co_u32_e32 v29, vcc, 0, v30, vcc
	s_cselect_b64 vcc, -1, 0
	v_cndmask_b32_e32 v26, v26, v29, vcc
	v_cndmask_b32_e32 v25, v25, v0, vcc
	v_cndmask_b32_e64 v28, v28, v29, s[42:43]
	v_cndmask_b32_e64 v27, v27, v0, s[42:43]
	s_and_b64 vcc, exec, s[34:35]
	s_mov_b64 s[34:35], 0
	s_cbranch_vccnz .LBB4_388
; %bb.389:                              ;   in Loop: Header=BB4_387 Depth=4
	s_and_saveexec_b64 s[42:43], s[30:31]
	s_cbranch_execz .LBB4_423
; %bb.390:                              ;   in Loop: Header=BB4_387 Depth=4
	buffer_load_dword v31, off, s[0:3], s33 offset:96
	buffer_load_dword v34, off, s[0:3], s33 offset:112
	;; [unrolled: 1-line block ×8, first 2 shown]
	s_waitcnt vmcnt(7)
	v_lshlrev_b32_e32 v29, 16, v31
	s_waitcnt vmcnt(6)
	v_lshlrev_b32_e32 v53, 16, v34
	v_max_f32_e32 v53, v53, v53
	v_max_f32_e32 v29, v29, v29
	v_min_f32_e32 v42, v29, v53
	v_max_f32_e32 v29, v29, v53
	v_cndmask_b32_e64 v53, v29, v42, s[40:41]
	v_and_b32_e32 v29, 0x7f800000, v53
	v_cmp_ne_u32_e32 vcc, s57, v29
                                        ; implicit-def: $vgpr29
	s_and_saveexec_b64 s[30:31], vcc
	s_xor_b64 vcc, exec, s[30:31]
; %bb.391:                              ;   in Loop: Header=BB4_387 Depth=4
	v_bfe_u32 v29, v53, 16, 1
	v_add3_u32 v29, v53, v29, s46
                                        ; implicit-def: $vgpr53
; %bb.392:                              ;   in Loop: Header=BB4_387 Depth=4
	s_andn2_saveexec_b64 s[30:31], vcc
; %bb.393:                              ;   in Loop: Header=BB4_387 Depth=4
	v_or_b32_e32 v29, 0x10000, v53
	v_cmp_eq_u32_sdwa vcc, v53, v2 src0_sel:WORD_0 src1_sel:DWORD
	v_cndmask_b32_e32 v29, v29, v53, vcc
; %bb.394:                              ;   in Loop: Header=BB4_387 Depth=4
	s_or_b64 exec, exec, s[30:31]
	v_and_b32_e32 v31, 0xffff0000, v31
	v_and_b32_e32 v34, 0xffff0000, v34
	v_max_f32_e32 v34, v34, v34
	v_max_f32_e32 v31, v31, v31
	v_min_f32_e32 v53, v31, v34
	v_max_f32_e32 v31, v31, v34
	v_cndmask_b32_e64 v34, v31, v53, s[40:41]
	v_and_b32_e32 v31, 0x7f800000, v34
	v_cmp_ne_u32_e32 vcc, s57, v31
                                        ; implicit-def: $vgpr31
	s_and_saveexec_b64 s[30:31], vcc
	s_xor_b64 vcc, exec, s[30:31]
; %bb.395:                              ;   in Loop: Header=BB4_387 Depth=4
	v_bfe_u32 v31, v34, 16, 1
	v_add3_u32 v31, v34, v31, s46
                                        ; implicit-def: $vgpr34
; %bb.396:                              ;   in Loop: Header=BB4_387 Depth=4
	s_andn2_saveexec_b64 s[30:31], vcc
; %bb.397:                              ;   in Loop: Header=BB4_387 Depth=4
	v_or_b32_e32 v31, 0x10000, v34
	v_cmp_eq_u32_sdwa vcc, v34, v2 src0_sel:WORD_0 src1_sel:DWORD
	v_cndmask_b32_e32 v31, v31, v34, vcc
; %bb.398:                              ;   in Loop: Header=BB4_387 Depth=4
	s_or_b64 exec, exec, s[30:31]
	s_waitcnt vmcnt(5)
	v_lshlrev_b32_e32 v34, 16, v51
	s_waitcnt vmcnt(3)
	v_lshlrev_b32_e32 v53, 16, v52
	v_max_f32_e32 v53, v53, v53
	v_max_f32_e32 v34, v34, v34
	v_min_f32_e32 v42, v34, v53
	v_max_f32_e32 v34, v34, v53
	v_cndmask_b32_e64 v53, v34, v42, s[40:41]
	v_and_b32_e32 v34, 0x7f800000, v53
	v_cmp_ne_u32_e32 vcc, s57, v34
                                        ; implicit-def: $vgpr34
	s_and_saveexec_b64 s[30:31], vcc
	s_xor_b64 vcc, exec, s[30:31]
; %bb.399:                              ;   in Loop: Header=BB4_387 Depth=4
	v_bfe_u32 v34, v53, 16, 1
	v_add3_u32 v34, v53, v34, s46
                                        ; implicit-def: $vgpr53
; %bb.400:                              ;   in Loop: Header=BB4_387 Depth=4
	s_andn2_saveexec_b64 s[30:31], vcc
; %bb.401:                              ;   in Loop: Header=BB4_387 Depth=4
	v_or_b32_e32 v34, 0x10000, v53
	v_cmp_eq_u32_sdwa vcc, v53, v2 src0_sel:WORD_0 src1_sel:DWORD
	v_cndmask_b32_e32 v34, v34, v53, vcc
; %bb.402:                              ;   in Loop: Header=BB4_387 Depth=4
	s_or_b64 exec, exec, s[30:31]
	v_and_b32_e32 v51, 0xffff0000, v51
	v_and_b32_e32 v52, 0xffff0000, v52
	v_max_f32_e32 v52, v52, v52
	v_max_f32_e32 v51, v51, v51
	v_min_f32_e32 v53, v51, v52
	v_max_f32_e32 v51, v51, v52
	v_cndmask_b32_e64 v52, v51, v53, s[40:41]
	v_and_b32_e32 v51, 0x7f800000, v52
	v_cmp_ne_u32_e32 vcc, s57, v51
                                        ; implicit-def: $vgpr51
	s_and_saveexec_b64 s[30:31], vcc
	s_xor_b64 vcc, exec, s[30:31]
; %bb.403:                              ;   in Loop: Header=BB4_387 Depth=4
	v_bfe_u32 v51, v52, 16, 1
	v_add3_u32 v51, v52, v51, s46
                                        ; implicit-def: $vgpr52
; %bb.404:                              ;   in Loop: Header=BB4_387 Depth=4
	s_andn2_saveexec_b64 s[30:31], vcc
; %bb.405:                              ;   in Loop: Header=BB4_387 Depth=4
	v_or_b32_e32 v51, 0x10000, v52
	v_cmp_eq_u32_sdwa vcc, v52, v2 src0_sel:WORD_0 src1_sel:DWORD
	v_cndmask_b32_e32 v51, v51, v52, vcc
; %bb.406:                              ;   in Loop: Header=BB4_387 Depth=4
	s_or_b64 exec, exec, s[30:31]
	v_lshlrev_b32_e32 v52, 16, v35
	s_waitcnt vmcnt(2)
	v_lshlrev_b32_e32 v53, 16, v50
	v_max_f32_e32 v53, v53, v53
	v_max_f32_e32 v52, v52, v52
	v_min_f32_e32 v42, v52, v53
	v_max_f32_e32 v52, v52, v53
	v_cndmask_b32_e64 v53, v52, v42, s[40:41]
	v_and_b32_e32 v52, 0x7f800000, v53
	v_cmp_ne_u32_e32 vcc, s57, v52
                                        ; implicit-def: $vgpr52
	s_and_saveexec_b64 s[30:31], vcc
	s_xor_b64 vcc, exec, s[30:31]
; %bb.407:                              ;   in Loop: Header=BB4_387 Depth=4
	v_bfe_u32 v52, v53, 16, 1
	v_add3_u32 v52, v53, v52, s46
                                        ; implicit-def: $vgpr53
; %bb.408:                              ;   in Loop: Header=BB4_387 Depth=4
	s_andn2_saveexec_b64 s[30:31], vcc
; %bb.409:                              ;   in Loop: Header=BB4_387 Depth=4
	v_or_b32_e32 v52, 0x10000, v53
	v_cmp_eq_u32_sdwa vcc, v53, v2 src0_sel:WORD_0 src1_sel:DWORD
	v_cndmask_b32_e32 v52, v52, v53, vcc
; %bb.410:                              ;   in Loop: Header=BB4_387 Depth=4
	s_or_b64 exec, exec, s[30:31]
	v_and_b32_e32 v35, 0xffff0000, v35
	v_and_b32_e32 v50, 0xffff0000, v50
	v_max_f32_e32 v50, v50, v50
	v_max_f32_e32 v35, v35, v35
	v_min_f32_e32 v53, v35, v50
	v_max_f32_e32 v35, v35, v50
	v_cndmask_b32_e64 v50, v35, v53, s[40:41]
	v_and_b32_e32 v35, 0x7f800000, v50
	v_cmp_ne_u32_e32 vcc, s57, v35
                                        ; implicit-def: $vgpr35
	s_and_saveexec_b64 s[30:31], vcc
	s_xor_b64 vcc, exec, s[30:31]
; %bb.411:                              ;   in Loop: Header=BB4_387 Depth=4
	v_bfe_u32 v35, v50, 16, 1
	v_add3_u32 v35, v50, v35, s46
                                        ; implicit-def: $vgpr50
; %bb.412:                              ;   in Loop: Header=BB4_387 Depth=4
	s_andn2_saveexec_b64 s[30:31], vcc
; %bb.413:                              ;   in Loop: Header=BB4_387 Depth=4
	v_or_b32_e32 v35, 0x10000, v50
	v_cmp_eq_u32_sdwa vcc, v50, v2 src0_sel:WORD_0 src1_sel:DWORD
	v_cndmask_b32_e32 v35, v35, v50, vcc
; %bb.414:                              ;   in Loop: Header=BB4_387 Depth=4
	s_or_b64 exec, exec, s[30:31]
	s_waitcnt vmcnt(0)
	v_lshlrev_b32_e32 v50, 16, v30
	v_lshlrev_b32_e32 v53, 16, v0
	v_max_f32_e32 v53, v53, v53
	v_max_f32_e32 v50, v50, v50
	v_min_f32_e32 v42, v50, v53
	v_max_f32_e32 v50, v50, v53
	v_cndmask_b32_e64 v53, v50, v42, s[40:41]
	v_and_b32_e32 v50, 0x7f800000, v53
	v_cmp_ne_u32_e32 vcc, s57, v50
                                        ; implicit-def: $vgpr50
	s_and_saveexec_b64 s[30:31], vcc
	s_xor_b64 vcc, exec, s[30:31]
; %bb.415:                              ;   in Loop: Header=BB4_387 Depth=4
	v_bfe_u32 v50, v53, 16, 1
	v_add3_u32 v50, v53, v50, s46
                                        ; implicit-def: $vgpr53
; %bb.416:                              ;   in Loop: Header=BB4_387 Depth=4
	s_andn2_saveexec_b64 s[30:31], vcc
; %bb.417:                              ;   in Loop: Header=BB4_387 Depth=4
	v_or_b32_e32 v50, 0x10000, v53
	v_cmp_eq_u32_sdwa vcc, v53, v2 src0_sel:WORD_0 src1_sel:DWORD
	v_cndmask_b32_e32 v50, v50, v53, vcc
; %bb.418:                              ;   in Loop: Header=BB4_387 Depth=4
	s_or_b64 exec, exec, s[30:31]
	v_and_b32_e32 v30, 0xffff0000, v30
	v_and_b32_e32 v0, 0xffff0000, v0
	v_max_f32_e32 v0, v0, v0
	v_max_f32_e32 v30, v30, v30
	v_min_f32_e32 v53, v30, v0
	v_max_f32_e32 v0, v30, v0
	v_cndmask_b32_e64 v30, v0, v53, s[40:41]
	v_and_b32_e32 v0, 0x7f800000, v30
	v_cmp_ne_u32_e32 vcc, s57, v0
                                        ; implicit-def: $vgpr0
	s_and_saveexec_b64 s[30:31], vcc
	s_xor_b64 vcc, exec, s[30:31]
; %bb.419:                              ;   in Loop: Header=BB4_387 Depth=4
	v_bfe_u32 v0, v30, 16, 1
	v_add3_u32 v0, v30, v0, s46
                                        ; implicit-def: $vgpr30
; %bb.420:                              ;   in Loop: Header=BB4_387 Depth=4
	s_andn2_saveexec_b64 s[30:31], vcc
; %bb.421:                              ;   in Loop: Header=BB4_387 Depth=4
	v_or_b32_e32 v0, 0x10000, v30
	v_cmp_eq_u32_sdwa vcc, v30, v2 src0_sel:WORD_0 src1_sel:DWORD
	v_cndmask_b32_e32 v0, v0, v30, vcc
; %bb.422:                              ;   in Loop: Header=BB4_387 Depth=4
	s_or_b64 exec, exec, s[30:31]
	v_lshrrev_b32_e32 v29, 16, v29
	v_and_or_b32 v58, v31, s47, v29
	v_lshrrev_b32_e32 v29, 16, v52
	v_lshrrev_b32_e32 v30, 16, v34
	v_and_or_b32 v60, v35, s47, v29
	v_lshrrev_b32_e32 v29, 16, v50
	v_and_or_b32 v59, v51, s47, v30
	v_and_or_b32 v61, v0, s47, v29
	buffer_store_dword v59, off, s[0:3], s33 offset:100
	buffer_store_dword v58, off, s[0:3], s33 offset:96
	;; [unrolled: 1-line block ×4, first 2 shown]
	global_store_dwordx4 v[20:21], v[58:61], off glc slc
	v_add_co_u32_e32 v20, vcc, v36, v20
	v_addc_co_u32_e32 v21, vcc, v37, v21, vcc
.LBB4_423:                              ;   in Loop: Header=BB4_387 Depth=4
	s_or_b64 exec, exec, s[42:43]
	v_add_co_u32_e32 v25, vcc, v25, v6
	v_addc_co_u32_e32 v26, vcc, v26, v43, vcc
	v_add_co_u32_e32 v27, vcc, v27, v6
	v_sub_u32_e32 v9, v9, v1
	v_addc_co_u32_e32 v28, vcc, v28, v43, vcc
	v_cmp_lt_i32_e64 s[30:31], 15, v9
	s_and_saveexec_b64 s[34:35], s[30:31]
	s_cbranch_execz .LBB4_426
; %bb.424:                              ;   in Loop: Header=BB4_387 Depth=4
	s_lshr_b32 s48, s33, 6
	s_addk_i32 s48, 0x60
	s_mov_b64 s[38:39], 0
	s_mov_b64 s[36:37], -1
.LBB4_425:                              ;   Parent Loop BB4_47 Depth=1
                                        ;     Parent Loop BB4_300 Depth=2
                                        ;       Parent Loop BB4_303 Depth=3
                                        ;         Parent Loop BB4_387 Depth=4
                                        ; =>        This Inner Loop Header: Depth=5
	s_cmp_eq_u32 s38, 1
	s_cselect_b64 s[42:43], -1, 0
	v_cndmask_b32_e64 v30, v26, v28, s[42:43]
	v_cndmask_b32_e64 v29, v25, v27, s[42:43]
	global_load_dwordx4 v[50:53], v[29:30], off glc slc
	v_mov_b32_e32 v0, s48
	s_cmp_eq_u32 s38, 0
	s_mov_b64 s[38:39], 1
	s_mov_b32 s48, s67
	s_waitcnt vmcnt(0)
	buffer_store_dword v51, v0, s[0:3], 0 offen offset:4
	buffer_store_dword v50, v0, s[0:3], 0 offen
	buffer_store_dword v53, v0, s[0:3], 0 offen offset:12
	buffer_store_dword v52, v0, s[0:3], 0 offen offset:8
	v_add_co_u32_e32 v0, vcc, s52, v29
	v_addc_co_u32_e32 v29, vcc, 0, v30, vcc
	s_cselect_b64 vcc, -1, 0
	v_cndmask_b32_e32 v26, v26, v29, vcc
	v_cndmask_b32_e32 v25, v25, v0, vcc
	v_cndmask_b32_e64 v28, v28, v29, s[42:43]
	v_cndmask_b32_e64 v27, v27, v0, s[42:43]
	s_and_b64 vcc, exec, s[36:37]
	s_mov_b64 s[36:37], 0
	s_cbranch_vccnz .LBB4_425
.LBB4_426:                              ;   in Loop: Header=BB4_387 Depth=4
	s_or_b64 exec, exec, s[34:35]
	buffer_load_dword v31, off, s[0:3], s33 offset:64
	buffer_load_dword v34, off, s[0:3], s33 offset:80
	buffer_load_dword v51, off, s[0:3], s33 offset:68
	buffer_load_dword v35, off, s[0:3], s33 offset:72
	buffer_load_dword v52, off, s[0:3], s33 offset:84
	buffer_load_dword v50, off, s[0:3], s33 offset:88
	buffer_load_dword v0, off, s[0:3], s33 offset:92
	buffer_load_dword v30, off, s[0:3], s33 offset:76
	s_waitcnt vmcnt(7)
	v_lshlrev_b32_e32 v29, 16, v31
	s_waitcnt vmcnt(6)
	v_lshlrev_b32_e32 v53, 16, v34
	v_max_f32_e32 v53, v53, v53
	v_max_f32_e32 v29, v29, v29
	v_min_f32_e32 v42, v29, v53
	v_max_f32_e32 v29, v29, v53
	v_cndmask_b32_e64 v53, v29, v42, s[40:41]
	v_and_b32_e32 v29, 0x7f800000, v53
	v_cmp_ne_u32_e32 vcc, s57, v29
                                        ; implicit-def: $vgpr29
	s_and_saveexec_b64 s[42:43], vcc
	s_xor_b64 s[42:43], exec, s[42:43]
; %bb.427:                              ;   in Loop: Header=BB4_387 Depth=4
	v_bfe_u32 v29, v53, 16, 1
	v_add3_u32 v29, v53, v29, s46
                                        ; implicit-def: $vgpr53
; %bb.428:                              ;   in Loop: Header=BB4_387 Depth=4
	s_andn2_saveexec_b64 s[42:43], s[42:43]
; %bb.429:                              ;   in Loop: Header=BB4_387 Depth=4
	v_or_b32_e32 v29, 0x10000, v53
	v_cmp_eq_u32_sdwa vcc, v53, v2 src0_sel:WORD_0 src1_sel:DWORD
	v_cndmask_b32_e32 v29, v29, v53, vcc
; %bb.430:                              ;   in Loop: Header=BB4_387 Depth=4
	s_or_b64 exec, exec, s[42:43]
	v_and_b32_e32 v31, 0xffff0000, v31
	v_and_b32_e32 v34, 0xffff0000, v34
	v_max_f32_e32 v34, v34, v34
	v_max_f32_e32 v31, v31, v31
	v_min_f32_e32 v53, v31, v34
	v_max_f32_e32 v31, v31, v34
	v_cndmask_b32_e64 v34, v31, v53, s[40:41]
	v_and_b32_e32 v31, 0x7f800000, v34
	v_cmp_ne_u32_e32 vcc, s57, v31
                                        ; implicit-def: $vgpr31
	s_and_saveexec_b64 s[42:43], vcc
	s_xor_b64 s[42:43], exec, s[42:43]
; %bb.431:                              ;   in Loop: Header=BB4_387 Depth=4
	v_bfe_u32 v31, v34, 16, 1
	v_add3_u32 v31, v34, v31, s46
                                        ; implicit-def: $vgpr34
; %bb.432:                              ;   in Loop: Header=BB4_387 Depth=4
	s_andn2_saveexec_b64 s[42:43], s[42:43]
; %bb.433:                              ;   in Loop: Header=BB4_387 Depth=4
	v_or_b32_e32 v31, 0x10000, v34
	v_cmp_eq_u32_sdwa vcc, v34, v2 src0_sel:WORD_0 src1_sel:DWORD
	v_cndmask_b32_e32 v31, v31, v34, vcc
; %bb.434:                              ;   in Loop: Header=BB4_387 Depth=4
	s_or_b64 exec, exec, s[42:43]
	s_waitcnt vmcnt(5)
	v_lshlrev_b32_e32 v34, 16, v51
	s_waitcnt vmcnt(3)
	v_lshlrev_b32_e32 v53, 16, v52
	v_max_f32_e32 v53, v53, v53
	v_max_f32_e32 v34, v34, v34
	v_min_f32_e32 v42, v34, v53
	v_max_f32_e32 v34, v34, v53
	v_cndmask_b32_e64 v53, v34, v42, s[40:41]
	v_and_b32_e32 v34, 0x7f800000, v53
	v_cmp_ne_u32_e32 vcc, s57, v34
                                        ; implicit-def: $vgpr34
	s_and_saveexec_b64 s[42:43], vcc
	s_xor_b64 s[42:43], exec, s[42:43]
; %bb.435:                              ;   in Loop: Header=BB4_387 Depth=4
	v_bfe_u32 v34, v53, 16, 1
	v_add3_u32 v34, v53, v34, s46
                                        ; implicit-def: $vgpr53
; %bb.436:                              ;   in Loop: Header=BB4_387 Depth=4
	s_andn2_saveexec_b64 s[42:43], s[42:43]
; %bb.437:                              ;   in Loop: Header=BB4_387 Depth=4
	v_or_b32_e32 v34, 0x10000, v53
	v_cmp_eq_u32_sdwa vcc, v53, v2 src0_sel:WORD_0 src1_sel:DWORD
	v_cndmask_b32_e32 v34, v34, v53, vcc
; %bb.438:                              ;   in Loop: Header=BB4_387 Depth=4
	s_or_b64 exec, exec, s[42:43]
	v_and_b32_e32 v51, 0xffff0000, v51
	v_and_b32_e32 v52, 0xffff0000, v52
	v_max_f32_e32 v52, v52, v52
	v_max_f32_e32 v51, v51, v51
	v_min_f32_e32 v53, v51, v52
	v_max_f32_e32 v51, v51, v52
	v_cndmask_b32_e64 v52, v51, v53, s[40:41]
	v_and_b32_e32 v51, 0x7f800000, v52
	v_cmp_ne_u32_e32 vcc, s57, v51
                                        ; implicit-def: $vgpr51
	s_and_saveexec_b64 s[42:43], vcc
	s_xor_b64 s[42:43], exec, s[42:43]
; %bb.439:                              ;   in Loop: Header=BB4_387 Depth=4
	v_bfe_u32 v51, v52, 16, 1
	v_add3_u32 v51, v52, v51, s46
                                        ; implicit-def: $vgpr52
; %bb.440:                              ;   in Loop: Header=BB4_387 Depth=4
	s_andn2_saveexec_b64 s[42:43], s[42:43]
; %bb.441:                              ;   in Loop: Header=BB4_387 Depth=4
	v_or_b32_e32 v51, 0x10000, v52
	v_cmp_eq_u32_sdwa vcc, v52, v2 src0_sel:WORD_0 src1_sel:DWORD
	v_cndmask_b32_e32 v51, v51, v52, vcc
; %bb.442:                              ;   in Loop: Header=BB4_387 Depth=4
	s_or_b64 exec, exec, s[42:43]
	v_lshlrev_b32_e32 v52, 16, v35
	s_waitcnt vmcnt(2)
	v_lshlrev_b32_e32 v53, 16, v50
	v_max_f32_e32 v53, v53, v53
	v_max_f32_e32 v52, v52, v52
	v_min_f32_e32 v42, v52, v53
	v_max_f32_e32 v52, v52, v53
	v_cndmask_b32_e64 v53, v52, v42, s[40:41]
	v_and_b32_e32 v52, 0x7f800000, v53
	v_cmp_ne_u32_e32 vcc, s57, v52
                                        ; implicit-def: $vgpr52
	s_and_saveexec_b64 s[42:43], vcc
	s_xor_b64 s[42:43], exec, s[42:43]
; %bb.443:                              ;   in Loop: Header=BB4_387 Depth=4
	v_bfe_u32 v52, v53, 16, 1
	v_add3_u32 v52, v53, v52, s46
                                        ; implicit-def: $vgpr53
; %bb.444:                              ;   in Loop: Header=BB4_387 Depth=4
	s_andn2_saveexec_b64 s[42:43], s[42:43]
; %bb.445:                              ;   in Loop: Header=BB4_387 Depth=4
	v_or_b32_e32 v52, 0x10000, v53
	v_cmp_eq_u32_sdwa vcc, v53, v2 src0_sel:WORD_0 src1_sel:DWORD
	v_cndmask_b32_e32 v52, v52, v53, vcc
; %bb.446:                              ;   in Loop: Header=BB4_387 Depth=4
	s_or_b64 exec, exec, s[42:43]
	v_and_b32_e32 v35, 0xffff0000, v35
	v_and_b32_e32 v50, 0xffff0000, v50
	v_max_f32_e32 v50, v50, v50
	v_max_f32_e32 v35, v35, v35
	v_min_f32_e32 v53, v35, v50
	v_max_f32_e32 v35, v35, v50
	v_cndmask_b32_e64 v50, v35, v53, s[40:41]
	v_and_b32_e32 v35, 0x7f800000, v50
	v_cmp_ne_u32_e32 vcc, s57, v35
                                        ; implicit-def: $vgpr35
	s_and_saveexec_b64 s[42:43], vcc
	s_xor_b64 s[42:43], exec, s[42:43]
; %bb.447:                              ;   in Loop: Header=BB4_387 Depth=4
	v_bfe_u32 v35, v50, 16, 1
	v_add3_u32 v35, v50, v35, s46
                                        ; implicit-def: $vgpr50
; %bb.448:                              ;   in Loop: Header=BB4_387 Depth=4
	s_andn2_saveexec_b64 s[42:43], s[42:43]
; %bb.449:                              ;   in Loop: Header=BB4_387 Depth=4
	v_or_b32_e32 v35, 0x10000, v50
	v_cmp_eq_u32_sdwa vcc, v50, v2 src0_sel:WORD_0 src1_sel:DWORD
	v_cndmask_b32_e32 v35, v35, v50, vcc
; %bb.450:                              ;   in Loop: Header=BB4_387 Depth=4
	s_or_b64 exec, exec, s[42:43]
	s_waitcnt vmcnt(0)
	v_lshlrev_b32_e32 v50, 16, v30
	v_lshlrev_b32_e32 v53, 16, v0
	v_max_f32_e32 v53, v53, v53
	v_max_f32_e32 v50, v50, v50
	v_min_f32_e32 v42, v50, v53
	v_max_f32_e32 v50, v50, v53
	v_cndmask_b32_e64 v53, v50, v42, s[40:41]
	v_and_b32_e32 v50, 0x7f800000, v53
	v_cmp_ne_u32_e32 vcc, s57, v50
                                        ; implicit-def: $vgpr50
	s_and_saveexec_b64 s[42:43], vcc
	s_xor_b64 s[42:43], exec, s[42:43]
; %bb.451:                              ;   in Loop: Header=BB4_387 Depth=4
	v_bfe_u32 v50, v53, 16, 1
	v_add3_u32 v50, v53, v50, s46
                                        ; implicit-def: $vgpr53
; %bb.452:                              ;   in Loop: Header=BB4_387 Depth=4
	s_andn2_saveexec_b64 s[42:43], s[42:43]
; %bb.453:                              ;   in Loop: Header=BB4_387 Depth=4
	v_or_b32_e32 v50, 0x10000, v53
	v_cmp_eq_u32_sdwa vcc, v53, v2 src0_sel:WORD_0 src1_sel:DWORD
	v_cndmask_b32_e32 v50, v50, v53, vcc
; %bb.454:                              ;   in Loop: Header=BB4_387 Depth=4
	s_or_b64 exec, exec, s[42:43]
	v_and_b32_e32 v30, 0xffff0000, v30
	v_and_b32_e32 v0, 0xffff0000, v0
	v_max_f32_e32 v0, v0, v0
	v_max_f32_e32 v30, v30, v30
	v_min_f32_e32 v53, v30, v0
	v_max_f32_e32 v0, v30, v0
	v_cndmask_b32_e64 v30, v0, v53, s[40:41]
	v_and_b32_e32 v0, 0x7f800000, v30
	v_cmp_ne_u32_e32 vcc, s57, v0
                                        ; implicit-def: $vgpr0
	s_and_saveexec_b64 s[42:43], vcc
	s_xor_b64 s[42:43], exec, s[42:43]
; %bb.455:                              ;   in Loop: Header=BB4_387 Depth=4
	v_bfe_u32 v0, v30, 16, 1
	v_add3_u32 v0, v30, v0, s46
                                        ; implicit-def: $vgpr30
; %bb.456:                              ;   in Loop: Header=BB4_387 Depth=4
	s_andn2_saveexec_b64 s[42:43], s[42:43]
; %bb.457:                              ;   in Loop: Header=BB4_387 Depth=4
	v_or_b32_e32 v0, 0x10000, v30
	v_cmp_eq_u32_sdwa vcc, v30, v2 src0_sel:WORD_0 src1_sel:DWORD
	v_cndmask_b32_e32 v0, v0, v30, vcc
; %bb.458:                              ;   in Loop: Header=BB4_387 Depth=4
	s_or_b64 exec, exec, s[42:43]
	v_lshrrev_b32_e32 v29, 16, v29
	v_and_or_b32 v58, v31, s47, v29
	v_lshrrev_b32_e32 v29, 16, v52
	v_lshrrev_b32_e32 v30, 16, v34
	v_and_or_b32 v60, v35, s47, v29
	v_lshrrev_b32_e32 v29, 16, v50
	v_and_or_b32 v59, v51, s47, v30
	v_and_or_b32 v61, v0, s47, v29
	buffer_store_dword v59, off, s[0:3], s33 offset:68
	buffer_store_dword v58, off, s[0:3], s33 offset:64
	;; [unrolled: 1-line block ×4, first 2 shown]
	global_store_dwordx4 v[20:21], v[58:61], off glc slc
	v_add_co_u32_e32 v20, vcc, 0x400, v20
	v_sub_u32_e32 v23, v23, v57
	v_addc_co_u32_e32 v21, vcc, 0, v21, vcc
	s_and_saveexec_b64 s[42:43], s[30:31]
	s_cbranch_execz .LBB4_386
; %bb.459:                              ;   in Loop: Header=BB4_387 Depth=4
	v_add_co_u32_e32 v25, vcc, v25, v6
	v_addc_co_u32_e32 v26, vcc, v26, v43, vcc
	v_add_co_u32_e32 v27, vcc, v27, v6
	v_addc_co_u32_e32 v28, vcc, v28, v43, vcc
	;; [unrolled: 2-line block ×3, first 2 shown]
	v_sub_u32_e32 v9, v9, v1
	v_sub_u32_e32 v23, v23, v57
	s_branch .LBB4_386
.LBB4_460:                              ;   in Loop: Header=BB4_303 Depth=3
	buffer_load_dword v0, off, s[0:3], s33 offset:204 ; 4-byte Folded Reload
	buffer_load_dword v28, off, s[0:3], s33 offset:188 ; 4-byte Folded Reload
	s_and_saveexec_b64 s[42:43], s[88:89]
	s_cbranch_execnz .LBB4_612
	s_branch .LBB4_695
.LBB4_461:                              ;   in Loop: Header=BB4_303 Depth=3
	s_or_b64 exec, exec, s[92:93]
	s_and_b64 s[40:41], s[94:95], exec
.LBB4_462:                              ;   in Loop: Header=BB4_303 Depth=3
	s_or_b64 exec, exec, s[90:91]
	s_and_saveexec_b64 s[42:43], s[40:41]
	s_cbranch_execz .LBB4_496
; %bb.463:                              ;   in Loop: Header=BB4_303 Depth=3
	buffer_load_dword v26, off, s[0:3], s33 offset:96
	buffer_load_dword v27, off, s[0:3], s33 offset:112
	buffer_load_dword v30, off, s[0:3], s33 offset:100
	buffer_load_dword v28, off, s[0:3], s33 offset:104
	buffer_load_dword v31, off, s[0:3], s33 offset:116
	buffer_load_dword v29, off, s[0:3], s33 offset:120
	buffer_load_dword v0, off, s[0:3], s33 offset:124
	buffer_load_dword v25, off, s[0:3], s33 offset:108
	s_and_b32 s40, 0xffff, s8
	s_cmp_eq_u32 s40, 0
	s_cselect_b64 vcc, -1, 0
	s_waitcnt vmcnt(7)
	v_lshlrev_b32_e32 v9, 16, v26
	s_waitcnt vmcnt(6)
	v_lshlrev_b32_e32 v34, 16, v27
	v_max_f32_e32 v34, v34, v34
	v_max_f32_e32 v9, v9, v9
	v_min_f32_e32 v35, v9, v34
	v_max_f32_e32 v9, v9, v34
	v_cndmask_b32_e32 v34, v9, v35, vcc
	v_and_b32_e32 v9, 0x7f800000, v34
	v_cmp_ne_u32_e64 s[40:41], s57, v9
                                        ; implicit-def: $vgpr9
	s_and_saveexec_b64 s[90:91], s[40:41]
	s_xor_b64 s[40:41], exec, s[90:91]
; %bb.464:                              ;   in Loop: Header=BB4_303 Depth=3
	v_bfe_u32 v9, v34, 16, 1
	v_add3_u32 v9, v34, v9, s46
                                        ; implicit-def: $vgpr34
; %bb.465:                              ;   in Loop: Header=BB4_303 Depth=3
	s_andn2_saveexec_b64 s[90:91], s[40:41]
; %bb.466:                              ;   in Loop: Header=BB4_303 Depth=3
	v_or_b32_e32 v9, 0x10000, v34
	v_cmp_eq_u32_sdwa s[40:41], v34, v2 src0_sel:WORD_0 src1_sel:DWORD
	v_cndmask_b32_e64 v9, v9, v34, s[40:41]
; %bb.467:                              ;   in Loop: Header=BB4_303 Depth=3
	s_or_b64 exec, exec, s[90:91]
	v_and_b32_e32 v26, 0xffff0000, v26
	v_and_b32_e32 v27, 0xffff0000, v27
	v_max_f32_e32 v27, v27, v27
	v_max_f32_e32 v26, v26, v26
	v_min_f32_e32 v34, v26, v27
	v_max_f32_e32 v26, v26, v27
	v_cndmask_b32_e32 v27, v26, v34, vcc
	v_and_b32_e32 v26, 0x7f800000, v27
	v_cmp_ne_u32_e64 s[40:41], s57, v26
                                        ; implicit-def: $vgpr26
	s_and_saveexec_b64 s[90:91], s[40:41]
	s_xor_b64 s[40:41], exec, s[90:91]
; %bb.468:                              ;   in Loop: Header=BB4_303 Depth=3
	v_bfe_u32 v26, v27, 16, 1
	v_add3_u32 v26, v27, v26, s46
                                        ; implicit-def: $vgpr27
; %bb.469:                              ;   in Loop: Header=BB4_303 Depth=3
	s_andn2_saveexec_b64 s[90:91], s[40:41]
; %bb.470:                              ;   in Loop: Header=BB4_303 Depth=3
	v_or_b32_e32 v26, 0x10000, v27
	v_cmp_eq_u32_sdwa s[40:41], v27, v2 src0_sel:WORD_0 src1_sel:DWORD
	v_cndmask_b32_e64 v26, v26, v27, s[40:41]
; %bb.471:                              ;   in Loop: Header=BB4_303 Depth=3
	s_or_b64 exec, exec, s[90:91]
	s_waitcnt vmcnt(5)
	v_lshlrev_b32_e32 v27, 16, v30
	s_waitcnt vmcnt(3)
	v_lshlrev_b32_e32 v34, 16, v31
	v_max_f32_e32 v34, v34, v34
	v_max_f32_e32 v27, v27, v27
	v_min_f32_e32 v35, v27, v34
	v_max_f32_e32 v27, v27, v34
	v_cndmask_b32_e32 v34, v27, v35, vcc
	v_and_b32_e32 v27, 0x7f800000, v34
	v_cmp_ne_u32_e64 s[40:41], s57, v27
                                        ; implicit-def: $vgpr27
	s_and_saveexec_b64 s[90:91], s[40:41]
	s_xor_b64 s[40:41], exec, s[90:91]
; %bb.472:                              ;   in Loop: Header=BB4_303 Depth=3
	v_bfe_u32 v27, v34, 16, 1
	v_add3_u32 v27, v34, v27, s46
                                        ; implicit-def: $vgpr34
; %bb.473:                              ;   in Loop: Header=BB4_303 Depth=3
	s_andn2_saveexec_b64 s[90:91], s[40:41]
; %bb.474:                              ;   in Loop: Header=BB4_303 Depth=3
	v_or_b32_e32 v27, 0x10000, v34
	v_cmp_eq_u32_sdwa s[40:41], v34, v2 src0_sel:WORD_0 src1_sel:DWORD
	v_cndmask_b32_e64 v27, v27, v34, s[40:41]
; %bb.475:                              ;   in Loop: Header=BB4_303 Depth=3
	s_or_b64 exec, exec, s[90:91]
	v_and_b32_e32 v30, 0xffff0000, v30
	v_and_b32_e32 v31, 0xffff0000, v31
	v_max_f32_e32 v31, v31, v31
	v_max_f32_e32 v30, v30, v30
	v_min_f32_e32 v34, v30, v31
	v_max_f32_e32 v30, v30, v31
	v_cndmask_b32_e32 v31, v30, v34, vcc
	v_and_b32_e32 v30, 0x7f800000, v31
	v_cmp_ne_u32_e64 s[40:41], s57, v30
                                        ; implicit-def: $vgpr30
	s_and_saveexec_b64 s[90:91], s[40:41]
	s_xor_b64 s[40:41], exec, s[90:91]
; %bb.476:                              ;   in Loop: Header=BB4_303 Depth=3
	v_bfe_u32 v30, v31, 16, 1
	v_add3_u32 v30, v31, v30, s46
                                        ; implicit-def: $vgpr31
; %bb.477:                              ;   in Loop: Header=BB4_303 Depth=3
	s_andn2_saveexec_b64 s[90:91], s[40:41]
; %bb.478:                              ;   in Loop: Header=BB4_303 Depth=3
	v_or_b32_e32 v30, 0x10000, v31
	v_cmp_eq_u32_sdwa s[40:41], v31, v2 src0_sel:WORD_0 src1_sel:DWORD
	v_cndmask_b32_e64 v30, v30, v31, s[40:41]
; %bb.479:                              ;   in Loop: Header=BB4_303 Depth=3
	s_or_b64 exec, exec, s[90:91]
	v_lshlrev_b32_e32 v31, 16, v28
	s_waitcnt vmcnt(2)
	v_lshlrev_b32_e32 v34, 16, v29
	v_max_f32_e32 v34, v34, v34
	v_max_f32_e32 v31, v31, v31
	v_min_f32_e32 v35, v31, v34
	v_max_f32_e32 v31, v31, v34
	v_cndmask_b32_e32 v34, v31, v35, vcc
	v_and_b32_e32 v31, 0x7f800000, v34
	v_cmp_ne_u32_e64 s[40:41], s57, v31
                                        ; implicit-def: $vgpr31
	s_and_saveexec_b64 s[90:91], s[40:41]
	s_xor_b64 s[40:41], exec, s[90:91]
; %bb.480:                              ;   in Loop: Header=BB4_303 Depth=3
	v_bfe_u32 v31, v34, 16, 1
	v_add3_u32 v31, v34, v31, s46
                                        ; implicit-def: $vgpr34
; %bb.481:                              ;   in Loop: Header=BB4_303 Depth=3
	s_andn2_saveexec_b64 s[90:91], s[40:41]
; %bb.482:                              ;   in Loop: Header=BB4_303 Depth=3
	v_or_b32_e32 v31, 0x10000, v34
	v_cmp_eq_u32_sdwa s[40:41], v34, v2 src0_sel:WORD_0 src1_sel:DWORD
	v_cndmask_b32_e64 v31, v31, v34, s[40:41]
; %bb.483:                              ;   in Loop: Header=BB4_303 Depth=3
	s_or_b64 exec, exec, s[90:91]
	v_and_b32_e32 v28, 0xffff0000, v28
	v_and_b32_e32 v29, 0xffff0000, v29
	v_max_f32_e32 v29, v29, v29
	v_max_f32_e32 v28, v28, v28
	v_min_f32_e32 v34, v28, v29
	v_max_f32_e32 v28, v28, v29
	v_cndmask_b32_e32 v29, v28, v34, vcc
	v_and_b32_e32 v28, 0x7f800000, v29
	v_cmp_ne_u32_e64 s[40:41], s57, v28
                                        ; implicit-def: $vgpr28
	s_and_saveexec_b64 s[90:91], s[40:41]
	s_xor_b64 s[40:41], exec, s[90:91]
; %bb.484:                              ;   in Loop: Header=BB4_303 Depth=3
	v_bfe_u32 v28, v29, 16, 1
	v_add3_u32 v28, v29, v28, s46
                                        ; implicit-def: $vgpr29
; %bb.485:                              ;   in Loop: Header=BB4_303 Depth=3
	s_andn2_saveexec_b64 s[90:91], s[40:41]
; %bb.486:                              ;   in Loop: Header=BB4_303 Depth=3
	v_or_b32_e32 v28, 0x10000, v29
	v_cmp_eq_u32_sdwa s[40:41], v29, v2 src0_sel:WORD_0 src1_sel:DWORD
	v_cndmask_b32_e64 v28, v28, v29, s[40:41]
; %bb.487:                              ;   in Loop: Header=BB4_303 Depth=3
	s_or_b64 exec, exec, s[90:91]
	s_waitcnt vmcnt(0)
	v_lshlrev_b32_e32 v29, 16, v25
	v_lshlrev_b32_e32 v34, 16, v0
	v_max_f32_e32 v34, v34, v34
	v_max_f32_e32 v29, v29, v29
	v_min_f32_e32 v35, v29, v34
	v_max_f32_e32 v29, v29, v34
	v_cndmask_b32_e32 v34, v29, v35, vcc
	v_and_b32_e32 v29, 0x7f800000, v34
	v_cmp_ne_u32_e64 s[40:41], s57, v29
                                        ; implicit-def: $vgpr29
	s_and_saveexec_b64 s[90:91], s[40:41]
	s_xor_b64 s[40:41], exec, s[90:91]
; %bb.488:                              ;   in Loop: Header=BB4_303 Depth=3
	v_bfe_u32 v29, v34, 16, 1
	v_add3_u32 v29, v34, v29, s46
                                        ; implicit-def: $vgpr34
; %bb.489:                              ;   in Loop: Header=BB4_303 Depth=3
	s_andn2_saveexec_b64 s[90:91], s[40:41]
; %bb.490:                              ;   in Loop: Header=BB4_303 Depth=3
	v_or_b32_e32 v29, 0x10000, v34
	v_cmp_eq_u32_sdwa s[40:41], v34, v2 src0_sel:WORD_0 src1_sel:DWORD
	v_cndmask_b32_e64 v29, v29, v34, s[40:41]
; %bb.491:                              ;   in Loop: Header=BB4_303 Depth=3
	s_or_b64 exec, exec, s[90:91]
	v_and_b32_e32 v25, 0xffff0000, v25
	v_and_b32_e32 v0, 0xffff0000, v0
	v_max_f32_e32 v0, v0, v0
	v_max_f32_e32 v25, v25, v25
	v_min_f32_e32 v34, v25, v0
	v_max_f32_e32 v0, v25, v0
	v_cndmask_b32_e32 v25, v0, v34, vcc
	v_and_b32_e32 v0, 0x7f800000, v25
	v_cmp_ne_u32_e32 vcc, s57, v0
                                        ; implicit-def: $vgpr0
	s_and_saveexec_b64 s[40:41], vcc
	s_xor_b64 s[40:41], exec, s[40:41]
; %bb.492:                              ;   in Loop: Header=BB4_303 Depth=3
	v_bfe_u32 v0, v25, 16, 1
	v_add3_u32 v0, v25, v0, s46
                                        ; implicit-def: $vgpr25
; %bb.493:                              ;   in Loop: Header=BB4_303 Depth=3
	s_andn2_saveexec_b64 s[40:41], s[40:41]
; %bb.494:                              ;   in Loop: Header=BB4_303 Depth=3
	v_or_b32_e32 v0, 0x10000, v25
	v_cmp_eq_u32_sdwa vcc, v25, v2 src0_sel:WORD_0 src1_sel:DWORD
	v_cndmask_b32_e32 v0, v0, v25, vcc
; %bb.495:                              ;   in Loop: Header=BB4_303 Depth=3
	s_or_b64 exec, exec, s[40:41]
	v_lshrrev_b32_e32 v9, 16, v9
	v_and_or_b32 v26, v26, s47, v9
	v_lshrrev_b32_e32 v9, 16, v31
	v_lshrrev_b32_e32 v25, 16, v27
	v_and_or_b32 v28, v28, s47, v9
	v_lshrrev_b32_e32 v9, 16, v29
	v_and_or_b32 v27, v30, s47, v25
	v_and_or_b32 v29, v0, s47, v9
	global_store_dwordx4 v[20:21], v[26:29], off glc slc
.LBB4_496:                              ;   in Loop: Header=BB4_303 Depth=3
	s_or_b64 exec, exec, s[42:43]
	v_and_b32_e32 v20, 14, v4
	v_cndmask_b32_e64 v9, v22, v20, s[28:29]
	v_cmp_ne_u32_e32 vcc, 0, v9
                                        ; implicit-def: $vgpr4
                                        ; implicit-def: $vgpr27
                                        ; implicit-def: $vgpr0
                                        ; implicit-def: $vgpr28
	s_and_saveexec_b64 s[90:91], vcc
	s_cbranch_execz .LBB4_611
; %bb.497:                              ;   in Loop: Header=BB4_303 Depth=3
	buffer_load_dword v4, off, s[0:3], s33 offset:188 ; 4-byte Folded Reload
	v_sub_u32_e32 v0, v22, v20
	v_cndmask_b32_e64 v0, 0, v0, s[28:29]
	v_cmp_lt_i32_e32 vcc, 0, v23
	v_add_u32_e32 v11, v0, v11
	v_cndmask_b32_e32 v0, 0, v57, vcc
	v_sub_u32_e32 v0, v0, v23
	v_ashrrev_i32_e32 v21, 31, v9
	v_lshrrev_b32_e32 v21, 22, v21
	v_add_u32_e32 v21, v9, v21
	v_and_b32_e32 v23, 0xfffffc00, v21
	v_sub_u32_e32 v25, v9, v23
	v_ashrrev_i32_e32 v26, 10, v21
	v_cmp_lt_i32_e64 s[28:29], 15, v25
	v_addc_co_u32_e64 v21, vcc, 0, v26, s[28:29]
	s_mov_b64 s[40:41], 0
	s_waitcnt vmcnt(0)
	v_lshl_or_b32 v0, v0, 6, v4
	v_ashrrev_i32_e32 v4, 31, v0
	v_lshrrev_b32_e32 v4, 26, v4
	v_add_u32_e32 v4, v0, v4
	v_ashrrev_i32_e32 v20, 6, v4
	v_and_b32_e32 v4, 0xffffffc0, v4
	v_sub_u32_e32 v22, v0, v4
	v_lshlrev_b32_e32 v0, 4, v22
	v_lshl_add_u32 v4, v20, 10, v0
	v_add_u32_e32 v0, v4, v11
	v_ashrrev_i32_e32 v29, 31, v0
	v_sub_u32_e32 v26, v21, v20
	v_add_co_u32_e32 v20, vcc, v0, v16
	v_sub_u32_e32 v4, v9, v4
	v_addc_co_u32_e32 v21, vcc, v29, v17, vcc
	v_cmp_lt_i32_e32 vcc, 15, v4
	s_and_saveexec_b64 s[92:93], vcc
	s_cbranch_execz .LBB4_574
; %bb.498:                              ;   in Loop: Header=BB4_303 Depth=3
	v_add_co_u32_e32 v27, vcc, v0, v14
	v_addc_co_u32_e32 v28, vcc, v29, v15, vcc
	s_and_b32 s40, 0xffff, s8
	s_waitcnt lgkmcnt(0)
	v_add_co_u32_e32 v18, vcc, v0, v18
	s_cmp_eq_u32 s40, 0
	v_addc_co_u32_e32 v19, vcc, v29, v19, vcc
	s_mov_b64 s[34:35], 0
	s_mov_b64 s[94:95], 0
	s_cselect_b64 s[40:41], -1, 0
                                        ; implicit-def: $sgpr30_sgpr31
	s_branch .LBB4_500
.LBB4_499:                              ;   in Loop: Header=BB4_500 Depth=4
	s_or_b64 exec, exec, s[42:43]
	v_cmp_gt_i32_e32 vcc, 16, v4
	s_or_b64 s[94:95], vcc, s[94:95]
	s_andn2_b64 s[42:43], s[30:31], exec
	s_and_b64 vcc, s[34:35], exec
	s_or_b64 s[30:31], s[42:43], vcc
	s_andn2_b64 exec, exec, s[94:95]
	s_cbranch_execz .LBB4_573
.LBB4_500:                              ;   Parent Loop BB4_47 Depth=1
                                        ;     Parent Loop BB4_300 Depth=2
                                        ;       Parent Loop BB4_303 Depth=3
                                        ; =>      This Loop Header: Depth=4
                                        ;           Child Loop BB4_501 Depth 5
                                        ;           Child Loop BB4_538 Depth 5
	s_lshr_b32 s48, s33, 6
	s_add_i32 s48, s48, 64
	s_mov_b64 s[36:37], -1
	s_mov_b64 s[38:39], 0
.LBB4_501:                              ;   Parent Loop BB4_47 Depth=1
                                        ;     Parent Loop BB4_300 Depth=2
                                        ;       Parent Loop BB4_303 Depth=3
                                        ;         Parent Loop BB4_500 Depth=4
                                        ; =>        This Inner Loop Header: Depth=5
	s_cmp_eq_u32 s38, 1
	s_cselect_b64 s[42:43], -1, 0
	v_cndmask_b32_e64 v30, v28, v19, s[42:43]
	v_cndmask_b32_e64 v29, v27, v18, s[42:43]
	global_load_dwordx4 v[50:53], v[29:30], off glc slc
	v_mov_b32_e32 v0, s48
	s_cmp_eq_u32 s38, 0
	s_mov_b64 s[38:39], 1
	s_mov_b32 s48, s70
	s_waitcnt vmcnt(0)
	buffer_store_dword v51, v0, s[0:3], 0 offen offset:4
	buffer_store_dword v50, v0, s[0:3], 0 offen
	buffer_store_dword v53, v0, s[0:3], 0 offen offset:12
	buffer_store_dword v52, v0, s[0:3], 0 offen offset:8
	v_add_co_u32_e32 v0, vcc, s52, v29
	v_addc_co_u32_e32 v29, vcc, 0, v30, vcc
	s_cselect_b64 vcc, -1, 0
	v_cndmask_b32_e32 v28, v28, v29, vcc
	v_cndmask_b32_e32 v27, v27, v0, vcc
	v_cndmask_b32_e64 v19, v19, v29, s[42:43]
	v_cndmask_b32_e64 v18, v18, v0, s[42:43]
	s_and_b64 vcc, exec, s[36:37]
	s_mov_b64 s[36:37], 0
	s_cbranch_vccnz .LBB4_501
; %bb.502:                              ;   in Loop: Header=BB4_500 Depth=4
	s_and_saveexec_b64 s[42:43], s[34:35]
	s_cbranch_execz .LBB4_536
; %bb.503:                              ;   in Loop: Header=BB4_500 Depth=4
	buffer_load_dword v31, off, s[0:3], s33 offset:96
	buffer_load_dword v34, off, s[0:3], s33 offset:112
	;; [unrolled: 1-line block ×8, first 2 shown]
	s_waitcnt vmcnt(7)
	v_lshlrev_b32_e32 v29, 16, v31
	s_waitcnt vmcnt(6)
	v_lshlrev_b32_e32 v53, 16, v34
	v_max_f32_e32 v53, v53, v53
	v_max_f32_e32 v29, v29, v29
	v_min_f32_e32 v42, v29, v53
	v_max_f32_e32 v29, v29, v53
	v_cndmask_b32_e64 v53, v29, v42, s[40:41]
	v_and_b32_e32 v29, 0x7f800000, v53
	v_cmp_ne_u32_e32 vcc, s57, v29
                                        ; implicit-def: $vgpr29
	s_and_saveexec_b64 s[34:35], vcc
	s_xor_b64 vcc, exec, s[34:35]
; %bb.504:                              ;   in Loop: Header=BB4_500 Depth=4
	v_bfe_u32 v29, v53, 16, 1
	v_add3_u32 v29, v53, v29, s46
                                        ; implicit-def: $vgpr53
; %bb.505:                              ;   in Loop: Header=BB4_500 Depth=4
	s_andn2_saveexec_b64 s[34:35], vcc
; %bb.506:                              ;   in Loop: Header=BB4_500 Depth=4
	v_or_b32_e32 v29, 0x10000, v53
	v_cmp_eq_u32_sdwa vcc, v53, v2 src0_sel:WORD_0 src1_sel:DWORD
	v_cndmask_b32_e32 v29, v29, v53, vcc
; %bb.507:                              ;   in Loop: Header=BB4_500 Depth=4
	s_or_b64 exec, exec, s[34:35]
	v_and_b32_e32 v31, 0xffff0000, v31
	v_and_b32_e32 v34, 0xffff0000, v34
	v_max_f32_e32 v34, v34, v34
	v_max_f32_e32 v31, v31, v31
	v_min_f32_e32 v53, v31, v34
	v_max_f32_e32 v31, v31, v34
	v_cndmask_b32_e64 v34, v31, v53, s[40:41]
	v_and_b32_e32 v31, 0x7f800000, v34
	v_cmp_ne_u32_e32 vcc, s57, v31
                                        ; implicit-def: $vgpr31
	s_and_saveexec_b64 s[34:35], vcc
	s_xor_b64 vcc, exec, s[34:35]
; %bb.508:                              ;   in Loop: Header=BB4_500 Depth=4
	v_bfe_u32 v31, v34, 16, 1
	v_add3_u32 v31, v34, v31, s46
                                        ; implicit-def: $vgpr34
; %bb.509:                              ;   in Loop: Header=BB4_500 Depth=4
	s_andn2_saveexec_b64 s[34:35], vcc
; %bb.510:                              ;   in Loop: Header=BB4_500 Depth=4
	v_or_b32_e32 v31, 0x10000, v34
	v_cmp_eq_u32_sdwa vcc, v34, v2 src0_sel:WORD_0 src1_sel:DWORD
	v_cndmask_b32_e32 v31, v31, v34, vcc
; %bb.511:                              ;   in Loop: Header=BB4_500 Depth=4
	s_or_b64 exec, exec, s[34:35]
	s_waitcnt vmcnt(5)
	v_lshlrev_b32_e32 v34, 16, v51
	s_waitcnt vmcnt(3)
	v_lshlrev_b32_e32 v53, 16, v52
	v_max_f32_e32 v53, v53, v53
	v_max_f32_e32 v34, v34, v34
	v_min_f32_e32 v42, v34, v53
	v_max_f32_e32 v34, v34, v53
	v_cndmask_b32_e64 v53, v34, v42, s[40:41]
	v_and_b32_e32 v34, 0x7f800000, v53
	v_cmp_ne_u32_e32 vcc, s57, v34
                                        ; implicit-def: $vgpr34
	s_and_saveexec_b64 s[34:35], vcc
	s_xor_b64 vcc, exec, s[34:35]
; %bb.512:                              ;   in Loop: Header=BB4_500 Depth=4
	v_bfe_u32 v34, v53, 16, 1
	v_add3_u32 v34, v53, v34, s46
                                        ; implicit-def: $vgpr53
; %bb.513:                              ;   in Loop: Header=BB4_500 Depth=4
	s_andn2_saveexec_b64 s[34:35], vcc
; %bb.514:                              ;   in Loop: Header=BB4_500 Depth=4
	v_or_b32_e32 v34, 0x10000, v53
	v_cmp_eq_u32_sdwa vcc, v53, v2 src0_sel:WORD_0 src1_sel:DWORD
	v_cndmask_b32_e32 v34, v34, v53, vcc
; %bb.515:                              ;   in Loop: Header=BB4_500 Depth=4
	s_or_b64 exec, exec, s[34:35]
	v_and_b32_e32 v51, 0xffff0000, v51
	v_and_b32_e32 v52, 0xffff0000, v52
	v_max_f32_e32 v52, v52, v52
	v_max_f32_e32 v51, v51, v51
	v_min_f32_e32 v53, v51, v52
	v_max_f32_e32 v51, v51, v52
	v_cndmask_b32_e64 v52, v51, v53, s[40:41]
	v_and_b32_e32 v51, 0x7f800000, v52
	v_cmp_ne_u32_e32 vcc, s57, v51
                                        ; implicit-def: $vgpr51
	s_and_saveexec_b64 s[34:35], vcc
	s_xor_b64 vcc, exec, s[34:35]
; %bb.516:                              ;   in Loop: Header=BB4_500 Depth=4
	v_bfe_u32 v51, v52, 16, 1
	v_add3_u32 v51, v52, v51, s46
                                        ; implicit-def: $vgpr52
; %bb.517:                              ;   in Loop: Header=BB4_500 Depth=4
	s_andn2_saveexec_b64 s[34:35], vcc
; %bb.518:                              ;   in Loop: Header=BB4_500 Depth=4
	v_or_b32_e32 v51, 0x10000, v52
	v_cmp_eq_u32_sdwa vcc, v52, v2 src0_sel:WORD_0 src1_sel:DWORD
	v_cndmask_b32_e32 v51, v51, v52, vcc
; %bb.519:                              ;   in Loop: Header=BB4_500 Depth=4
	s_or_b64 exec, exec, s[34:35]
	v_lshlrev_b32_e32 v52, 16, v35
	s_waitcnt vmcnt(2)
	v_lshlrev_b32_e32 v53, 16, v50
	v_max_f32_e32 v53, v53, v53
	v_max_f32_e32 v52, v52, v52
	v_min_f32_e32 v42, v52, v53
	v_max_f32_e32 v52, v52, v53
	v_cndmask_b32_e64 v53, v52, v42, s[40:41]
	v_and_b32_e32 v52, 0x7f800000, v53
	v_cmp_ne_u32_e32 vcc, s57, v52
                                        ; implicit-def: $vgpr52
	s_and_saveexec_b64 s[34:35], vcc
	s_xor_b64 vcc, exec, s[34:35]
; %bb.520:                              ;   in Loop: Header=BB4_500 Depth=4
	v_bfe_u32 v52, v53, 16, 1
	v_add3_u32 v52, v53, v52, s46
                                        ; implicit-def: $vgpr53
; %bb.521:                              ;   in Loop: Header=BB4_500 Depth=4
	s_andn2_saveexec_b64 s[34:35], vcc
; %bb.522:                              ;   in Loop: Header=BB4_500 Depth=4
	v_or_b32_e32 v52, 0x10000, v53
	v_cmp_eq_u32_sdwa vcc, v53, v2 src0_sel:WORD_0 src1_sel:DWORD
	v_cndmask_b32_e32 v52, v52, v53, vcc
; %bb.523:                              ;   in Loop: Header=BB4_500 Depth=4
	s_or_b64 exec, exec, s[34:35]
	v_and_b32_e32 v35, 0xffff0000, v35
	v_and_b32_e32 v50, 0xffff0000, v50
	v_max_f32_e32 v50, v50, v50
	v_max_f32_e32 v35, v35, v35
	v_min_f32_e32 v53, v35, v50
	v_max_f32_e32 v35, v35, v50
	v_cndmask_b32_e64 v50, v35, v53, s[40:41]
	v_and_b32_e32 v35, 0x7f800000, v50
	v_cmp_ne_u32_e32 vcc, s57, v35
                                        ; implicit-def: $vgpr35
	s_and_saveexec_b64 s[34:35], vcc
	s_xor_b64 vcc, exec, s[34:35]
; %bb.524:                              ;   in Loop: Header=BB4_500 Depth=4
	v_bfe_u32 v35, v50, 16, 1
	v_add3_u32 v35, v50, v35, s46
                                        ; implicit-def: $vgpr50
; %bb.525:                              ;   in Loop: Header=BB4_500 Depth=4
	s_andn2_saveexec_b64 s[34:35], vcc
; %bb.526:                              ;   in Loop: Header=BB4_500 Depth=4
	v_or_b32_e32 v35, 0x10000, v50
	v_cmp_eq_u32_sdwa vcc, v50, v2 src0_sel:WORD_0 src1_sel:DWORD
	v_cndmask_b32_e32 v35, v35, v50, vcc
; %bb.527:                              ;   in Loop: Header=BB4_500 Depth=4
	s_or_b64 exec, exec, s[34:35]
	s_waitcnt vmcnt(0)
	v_lshlrev_b32_e32 v50, 16, v30
	v_lshlrev_b32_e32 v53, 16, v0
	v_max_f32_e32 v53, v53, v53
	v_max_f32_e32 v50, v50, v50
	v_min_f32_e32 v42, v50, v53
	v_max_f32_e32 v50, v50, v53
	v_cndmask_b32_e64 v53, v50, v42, s[40:41]
	v_and_b32_e32 v50, 0x7f800000, v53
	v_cmp_ne_u32_e32 vcc, s57, v50
                                        ; implicit-def: $vgpr50
	s_and_saveexec_b64 s[34:35], vcc
	s_xor_b64 vcc, exec, s[34:35]
; %bb.528:                              ;   in Loop: Header=BB4_500 Depth=4
	v_bfe_u32 v50, v53, 16, 1
	v_add3_u32 v50, v53, v50, s46
                                        ; implicit-def: $vgpr53
; %bb.529:                              ;   in Loop: Header=BB4_500 Depth=4
	s_andn2_saveexec_b64 s[34:35], vcc
; %bb.530:                              ;   in Loop: Header=BB4_500 Depth=4
	v_or_b32_e32 v50, 0x10000, v53
	v_cmp_eq_u32_sdwa vcc, v53, v2 src0_sel:WORD_0 src1_sel:DWORD
	v_cndmask_b32_e32 v50, v50, v53, vcc
; %bb.531:                              ;   in Loop: Header=BB4_500 Depth=4
	s_or_b64 exec, exec, s[34:35]
	v_and_b32_e32 v30, 0xffff0000, v30
	v_and_b32_e32 v0, 0xffff0000, v0
	v_max_f32_e32 v0, v0, v0
	v_max_f32_e32 v30, v30, v30
	v_min_f32_e32 v53, v30, v0
	v_max_f32_e32 v0, v30, v0
	v_cndmask_b32_e64 v30, v0, v53, s[40:41]
	v_and_b32_e32 v0, 0x7f800000, v30
	v_cmp_ne_u32_e32 vcc, s57, v0
                                        ; implicit-def: $vgpr0
	s_and_saveexec_b64 s[34:35], vcc
	s_xor_b64 vcc, exec, s[34:35]
; %bb.532:                              ;   in Loop: Header=BB4_500 Depth=4
	v_bfe_u32 v0, v30, 16, 1
	v_add3_u32 v0, v30, v0, s46
                                        ; implicit-def: $vgpr30
; %bb.533:                              ;   in Loop: Header=BB4_500 Depth=4
	s_andn2_saveexec_b64 s[34:35], vcc
; %bb.534:                              ;   in Loop: Header=BB4_500 Depth=4
	v_or_b32_e32 v0, 0x10000, v30
	v_cmp_eq_u32_sdwa vcc, v30, v2 src0_sel:WORD_0 src1_sel:DWORD
	v_cndmask_b32_e32 v0, v0, v30, vcc
; %bb.535:                              ;   in Loop: Header=BB4_500 Depth=4
	s_or_b64 exec, exec, s[34:35]
	v_lshrrev_b32_e32 v29, 16, v29
	v_and_or_b32 v58, v31, s47, v29
	v_lshrrev_b32_e32 v29, 16, v52
	v_lshrrev_b32_e32 v30, 16, v34
	v_and_or_b32 v60, v35, s47, v29
	v_lshrrev_b32_e32 v29, 16, v50
	v_and_or_b32 v59, v51, s47, v30
	v_and_or_b32 v61, v0, s47, v29
	buffer_store_dword v59, off, s[0:3], s33 offset:100
	buffer_store_dword v58, off, s[0:3], s33 offset:96
	buffer_store_dword v61, off, s[0:3], s33 offset:108
	buffer_store_dword v60, off, s[0:3], s33 offset:104
	global_store_dwordx4 v[20:21], v[58:61], off glc slc
	v_add_co_u32_e32 v20, vcc, v36, v20
	v_addc_co_u32_e32 v21, vcc, v37, v21, vcc
.LBB4_536:                              ;   in Loop: Header=BB4_500 Depth=4
	s_or_b64 exec, exec, s[42:43]
	v_add_co_u32_e32 v27, vcc, v27, v6
	v_addc_co_u32_e32 v28, vcc, v28, v43, vcc
	v_add_co_u32_e32 v18, vcc, v18, v6
	v_sub_u32_e32 v4, v4, v1
	v_addc_co_u32_e32 v19, vcc, v19, v43, vcc
	v_cmp_lt_i32_e64 s[34:35], 15, v4
	s_and_saveexec_b64 s[36:37], s[34:35]
	s_cbranch_execz .LBB4_539
; %bb.537:                              ;   in Loop: Header=BB4_500 Depth=4
	s_lshr_b32 s81, s33, 6
	s_addk_i32 s81, 0x60
	s_mov_b64 s[48:49], 0
	s_mov_b64 s[38:39], -1
.LBB4_538:                              ;   Parent Loop BB4_47 Depth=1
                                        ;     Parent Loop BB4_300 Depth=2
                                        ;       Parent Loop BB4_303 Depth=3
                                        ;         Parent Loop BB4_500 Depth=4
                                        ; =>        This Inner Loop Header: Depth=5
	s_cmp_eq_u32 s48, 1
	s_cselect_b64 s[42:43], -1, 0
	v_cndmask_b32_e64 v30, v28, v19, s[42:43]
	v_cndmask_b32_e64 v29, v27, v18, s[42:43]
	global_load_dwordx4 v[50:53], v[29:30], off glc slc
	v_mov_b32_e32 v0, s81
	s_cmp_eq_u32 s48, 0
	s_mov_b64 s[48:49], 1
	s_mov_b32 s81, s69
	s_waitcnt vmcnt(0)
	buffer_store_dword v51, v0, s[0:3], 0 offen offset:4
	buffer_store_dword v50, v0, s[0:3], 0 offen
	buffer_store_dword v53, v0, s[0:3], 0 offen offset:12
	buffer_store_dword v52, v0, s[0:3], 0 offen offset:8
	v_add_co_u32_e32 v0, vcc, s52, v29
	v_addc_co_u32_e32 v29, vcc, 0, v30, vcc
	s_cselect_b64 vcc, -1, 0
	v_cndmask_b32_e32 v28, v28, v29, vcc
	v_cndmask_b32_e32 v27, v27, v0, vcc
	v_cndmask_b32_e64 v19, v19, v29, s[42:43]
	v_cndmask_b32_e64 v18, v18, v0, s[42:43]
	s_and_b64 vcc, exec, s[38:39]
	s_mov_b64 s[38:39], 0
	s_cbranch_vccnz .LBB4_538
.LBB4_539:                              ;   in Loop: Header=BB4_500 Depth=4
	s_or_b64 exec, exec, s[36:37]
	buffer_load_dword v31, off, s[0:3], s33 offset:64
	buffer_load_dword v34, off, s[0:3], s33 offset:80
	buffer_load_dword v51, off, s[0:3], s33 offset:68
	buffer_load_dword v35, off, s[0:3], s33 offset:72
	buffer_load_dword v52, off, s[0:3], s33 offset:84
	buffer_load_dword v50, off, s[0:3], s33 offset:88
	buffer_load_dword v0, off, s[0:3], s33 offset:92
	buffer_load_dword v30, off, s[0:3], s33 offset:76
	s_waitcnt vmcnt(7)
	v_lshlrev_b32_e32 v29, 16, v31
	s_waitcnt vmcnt(6)
	v_lshlrev_b32_e32 v53, 16, v34
	v_max_f32_e32 v53, v53, v53
	v_max_f32_e32 v29, v29, v29
	v_min_f32_e32 v42, v29, v53
	v_max_f32_e32 v29, v29, v53
	v_cndmask_b32_e64 v53, v29, v42, s[40:41]
	v_and_b32_e32 v29, 0x7f800000, v53
	v_cmp_ne_u32_e32 vcc, s57, v29
                                        ; implicit-def: $vgpr29
	s_and_saveexec_b64 s[42:43], vcc
	s_xor_b64 s[42:43], exec, s[42:43]
; %bb.540:                              ;   in Loop: Header=BB4_500 Depth=4
	v_bfe_u32 v29, v53, 16, 1
	v_add3_u32 v29, v53, v29, s46
                                        ; implicit-def: $vgpr53
; %bb.541:                              ;   in Loop: Header=BB4_500 Depth=4
	s_andn2_saveexec_b64 s[42:43], s[42:43]
; %bb.542:                              ;   in Loop: Header=BB4_500 Depth=4
	v_or_b32_e32 v29, 0x10000, v53
	v_cmp_eq_u32_sdwa vcc, v53, v2 src0_sel:WORD_0 src1_sel:DWORD
	v_cndmask_b32_e32 v29, v29, v53, vcc
; %bb.543:                              ;   in Loop: Header=BB4_500 Depth=4
	s_or_b64 exec, exec, s[42:43]
	v_and_b32_e32 v31, 0xffff0000, v31
	v_and_b32_e32 v34, 0xffff0000, v34
	v_max_f32_e32 v34, v34, v34
	v_max_f32_e32 v31, v31, v31
	v_min_f32_e32 v53, v31, v34
	v_max_f32_e32 v31, v31, v34
	v_cndmask_b32_e64 v34, v31, v53, s[40:41]
	v_and_b32_e32 v31, 0x7f800000, v34
	v_cmp_ne_u32_e32 vcc, s57, v31
                                        ; implicit-def: $vgpr31
	s_and_saveexec_b64 s[42:43], vcc
	s_xor_b64 s[42:43], exec, s[42:43]
; %bb.544:                              ;   in Loop: Header=BB4_500 Depth=4
	v_bfe_u32 v31, v34, 16, 1
	v_add3_u32 v31, v34, v31, s46
                                        ; implicit-def: $vgpr34
; %bb.545:                              ;   in Loop: Header=BB4_500 Depth=4
	s_andn2_saveexec_b64 s[42:43], s[42:43]
; %bb.546:                              ;   in Loop: Header=BB4_500 Depth=4
	v_or_b32_e32 v31, 0x10000, v34
	v_cmp_eq_u32_sdwa vcc, v34, v2 src0_sel:WORD_0 src1_sel:DWORD
	v_cndmask_b32_e32 v31, v31, v34, vcc
; %bb.547:                              ;   in Loop: Header=BB4_500 Depth=4
	s_or_b64 exec, exec, s[42:43]
	s_waitcnt vmcnt(5)
	v_lshlrev_b32_e32 v34, 16, v51
	s_waitcnt vmcnt(3)
	v_lshlrev_b32_e32 v53, 16, v52
	v_max_f32_e32 v53, v53, v53
	v_max_f32_e32 v34, v34, v34
	v_min_f32_e32 v42, v34, v53
	v_max_f32_e32 v34, v34, v53
	v_cndmask_b32_e64 v53, v34, v42, s[40:41]
	v_and_b32_e32 v34, 0x7f800000, v53
	v_cmp_ne_u32_e32 vcc, s57, v34
                                        ; implicit-def: $vgpr34
	s_and_saveexec_b64 s[42:43], vcc
	s_xor_b64 s[42:43], exec, s[42:43]
; %bb.548:                              ;   in Loop: Header=BB4_500 Depth=4
	v_bfe_u32 v34, v53, 16, 1
	v_add3_u32 v34, v53, v34, s46
                                        ; implicit-def: $vgpr53
; %bb.549:                              ;   in Loop: Header=BB4_500 Depth=4
	s_andn2_saveexec_b64 s[42:43], s[42:43]
; %bb.550:                              ;   in Loop: Header=BB4_500 Depth=4
	v_or_b32_e32 v34, 0x10000, v53
	v_cmp_eq_u32_sdwa vcc, v53, v2 src0_sel:WORD_0 src1_sel:DWORD
	v_cndmask_b32_e32 v34, v34, v53, vcc
; %bb.551:                              ;   in Loop: Header=BB4_500 Depth=4
	s_or_b64 exec, exec, s[42:43]
	v_and_b32_e32 v51, 0xffff0000, v51
	v_and_b32_e32 v52, 0xffff0000, v52
	v_max_f32_e32 v52, v52, v52
	v_max_f32_e32 v51, v51, v51
	v_min_f32_e32 v53, v51, v52
	v_max_f32_e32 v51, v51, v52
	v_cndmask_b32_e64 v52, v51, v53, s[40:41]
	v_and_b32_e32 v51, 0x7f800000, v52
	v_cmp_ne_u32_e32 vcc, s57, v51
                                        ; implicit-def: $vgpr51
	s_and_saveexec_b64 s[42:43], vcc
	s_xor_b64 s[42:43], exec, s[42:43]
; %bb.552:                              ;   in Loop: Header=BB4_500 Depth=4
	v_bfe_u32 v51, v52, 16, 1
	v_add3_u32 v51, v52, v51, s46
                                        ; implicit-def: $vgpr52
; %bb.553:                              ;   in Loop: Header=BB4_500 Depth=4
	s_andn2_saveexec_b64 s[42:43], s[42:43]
; %bb.554:                              ;   in Loop: Header=BB4_500 Depth=4
	v_or_b32_e32 v51, 0x10000, v52
	v_cmp_eq_u32_sdwa vcc, v52, v2 src0_sel:WORD_0 src1_sel:DWORD
	v_cndmask_b32_e32 v51, v51, v52, vcc
; %bb.555:                              ;   in Loop: Header=BB4_500 Depth=4
	s_or_b64 exec, exec, s[42:43]
	v_lshlrev_b32_e32 v52, 16, v35
	s_waitcnt vmcnt(2)
	v_lshlrev_b32_e32 v53, 16, v50
	v_max_f32_e32 v53, v53, v53
	v_max_f32_e32 v52, v52, v52
	v_min_f32_e32 v42, v52, v53
	v_max_f32_e32 v52, v52, v53
	v_cndmask_b32_e64 v53, v52, v42, s[40:41]
	v_and_b32_e32 v52, 0x7f800000, v53
	v_cmp_ne_u32_e32 vcc, s57, v52
                                        ; implicit-def: $vgpr52
	s_and_saveexec_b64 s[42:43], vcc
	s_xor_b64 s[42:43], exec, s[42:43]
; %bb.556:                              ;   in Loop: Header=BB4_500 Depth=4
	v_bfe_u32 v52, v53, 16, 1
	v_add3_u32 v52, v53, v52, s46
                                        ; implicit-def: $vgpr53
; %bb.557:                              ;   in Loop: Header=BB4_500 Depth=4
	s_andn2_saveexec_b64 s[42:43], s[42:43]
; %bb.558:                              ;   in Loop: Header=BB4_500 Depth=4
	v_or_b32_e32 v52, 0x10000, v53
	v_cmp_eq_u32_sdwa vcc, v53, v2 src0_sel:WORD_0 src1_sel:DWORD
	v_cndmask_b32_e32 v52, v52, v53, vcc
; %bb.559:                              ;   in Loop: Header=BB4_500 Depth=4
	s_or_b64 exec, exec, s[42:43]
	v_and_b32_e32 v35, 0xffff0000, v35
	v_and_b32_e32 v50, 0xffff0000, v50
	v_max_f32_e32 v50, v50, v50
	v_max_f32_e32 v35, v35, v35
	v_min_f32_e32 v53, v35, v50
	v_max_f32_e32 v35, v35, v50
	v_cndmask_b32_e64 v50, v35, v53, s[40:41]
	v_and_b32_e32 v35, 0x7f800000, v50
	v_cmp_ne_u32_e32 vcc, s57, v35
                                        ; implicit-def: $vgpr35
	s_and_saveexec_b64 s[42:43], vcc
	s_xor_b64 s[42:43], exec, s[42:43]
; %bb.560:                              ;   in Loop: Header=BB4_500 Depth=4
	v_bfe_u32 v35, v50, 16, 1
	v_add3_u32 v35, v50, v35, s46
                                        ; implicit-def: $vgpr50
; %bb.561:                              ;   in Loop: Header=BB4_500 Depth=4
	s_andn2_saveexec_b64 s[42:43], s[42:43]
; %bb.562:                              ;   in Loop: Header=BB4_500 Depth=4
	v_or_b32_e32 v35, 0x10000, v50
	v_cmp_eq_u32_sdwa vcc, v50, v2 src0_sel:WORD_0 src1_sel:DWORD
	v_cndmask_b32_e32 v35, v35, v50, vcc
; %bb.563:                              ;   in Loop: Header=BB4_500 Depth=4
	s_or_b64 exec, exec, s[42:43]
	s_waitcnt vmcnt(0)
	v_lshlrev_b32_e32 v50, 16, v30
	v_lshlrev_b32_e32 v53, 16, v0
	v_max_f32_e32 v53, v53, v53
	v_max_f32_e32 v50, v50, v50
	v_min_f32_e32 v42, v50, v53
	v_max_f32_e32 v50, v50, v53
	v_cndmask_b32_e64 v53, v50, v42, s[40:41]
	v_and_b32_e32 v50, 0x7f800000, v53
	v_cmp_ne_u32_e32 vcc, s57, v50
                                        ; implicit-def: $vgpr50
	s_and_saveexec_b64 s[42:43], vcc
	s_xor_b64 s[42:43], exec, s[42:43]
; %bb.564:                              ;   in Loop: Header=BB4_500 Depth=4
	v_bfe_u32 v50, v53, 16, 1
	v_add3_u32 v50, v53, v50, s46
                                        ; implicit-def: $vgpr53
; %bb.565:                              ;   in Loop: Header=BB4_500 Depth=4
	s_andn2_saveexec_b64 s[42:43], s[42:43]
; %bb.566:                              ;   in Loop: Header=BB4_500 Depth=4
	v_or_b32_e32 v50, 0x10000, v53
	v_cmp_eq_u32_sdwa vcc, v53, v2 src0_sel:WORD_0 src1_sel:DWORD
	v_cndmask_b32_e32 v50, v50, v53, vcc
; %bb.567:                              ;   in Loop: Header=BB4_500 Depth=4
	s_or_b64 exec, exec, s[42:43]
	v_and_b32_e32 v30, 0xffff0000, v30
	v_and_b32_e32 v0, 0xffff0000, v0
	v_max_f32_e32 v0, v0, v0
	v_max_f32_e32 v30, v30, v30
	v_min_f32_e32 v53, v30, v0
	v_max_f32_e32 v0, v30, v0
	v_cndmask_b32_e64 v30, v0, v53, s[40:41]
	v_and_b32_e32 v0, 0x7f800000, v30
	v_cmp_ne_u32_e32 vcc, s57, v0
                                        ; implicit-def: $vgpr0
	s_and_saveexec_b64 s[42:43], vcc
	s_xor_b64 s[42:43], exec, s[42:43]
; %bb.568:                              ;   in Loop: Header=BB4_500 Depth=4
	v_bfe_u32 v0, v30, 16, 1
	v_add3_u32 v0, v30, v0, s46
                                        ; implicit-def: $vgpr30
; %bb.569:                              ;   in Loop: Header=BB4_500 Depth=4
	s_andn2_saveexec_b64 s[42:43], s[42:43]
; %bb.570:                              ;   in Loop: Header=BB4_500 Depth=4
	v_or_b32_e32 v0, 0x10000, v30
	v_cmp_eq_u32_sdwa vcc, v30, v2 src0_sel:WORD_0 src1_sel:DWORD
	v_cndmask_b32_e32 v0, v0, v30, vcc
; %bb.571:                              ;   in Loop: Header=BB4_500 Depth=4
	s_or_b64 exec, exec, s[42:43]
	v_lshrrev_b32_e32 v29, 16, v29
	v_and_or_b32 v58, v31, s47, v29
	v_lshrrev_b32_e32 v29, 16, v52
	v_lshrrev_b32_e32 v30, 16, v34
	v_and_or_b32 v60, v35, s47, v29
	v_lshrrev_b32_e32 v29, 16, v50
	v_and_or_b32 v59, v51, s47, v30
	v_and_or_b32 v61, v0, s47, v29
	buffer_store_dword v59, off, s[0:3], s33 offset:68
	buffer_store_dword v58, off, s[0:3], s33 offset:64
	;; [unrolled: 1-line block ×4, first 2 shown]
	global_store_dwordx4 v[20:21], v[58:61], off glc slc
	v_add_co_u32_e32 v20, vcc, 0x400, v20
	v_sub_u32_e32 v26, v26, v57
	v_addc_co_u32_e32 v21, vcc, 0, v21, vcc
	s_and_saveexec_b64 s[42:43], s[34:35]
	s_cbranch_execz .LBB4_499
; %bb.572:                              ;   in Loop: Header=BB4_500 Depth=4
	v_add_co_u32_e32 v27, vcc, v27, v6
	v_addc_co_u32_e32 v28, vcc, v28, v43, vcc
	v_add_co_u32_e32 v18, vcc, v18, v6
	v_addc_co_u32_e32 v19, vcc, v19, v43, vcc
	;; [unrolled: 2-line block ×3, first 2 shown]
	v_sub_u32_e32 v4, v4, v1
	v_sub_u32_e32 v26, v26, v57
	s_branch .LBB4_499
.LBB4_573:                              ;   in Loop: Header=BB4_303 Depth=3
	s_or_b64 exec, exec, s[94:95]
	s_and_b64 s[40:41], s[30:31], exec
.LBB4_574:                              ;   in Loop: Header=BB4_303 Depth=3
	s_or_b64 exec, exec, s[92:93]
	s_and_saveexec_b64 s[42:43], s[40:41]
	s_cbranch_execz .LBB4_608
; %bb.575:                              ;   in Loop: Header=BB4_303 Depth=3
	s_waitcnt lgkmcnt(0)
	buffer_load_dword v19, off, s[0:3], s33 offset:96
	buffer_load_dword v27, off, s[0:3], s33 offset:112
	;; [unrolled: 1-line block ×8, first 2 shown]
	s_and_b32 s40, 0xffff, s8
	s_cmp_eq_u32 s40, 0
	s_cselect_b64 vcc, -1, 0
	s_waitcnt vmcnt(7)
	v_lshlrev_b32_e32 v4, 16, v19
	s_waitcnt vmcnt(6)
	v_lshlrev_b32_e32 v34, 16, v27
	v_max_f32_e32 v34, v34, v34
	v_max_f32_e32 v4, v4, v4
	v_min_f32_e32 v35, v4, v34
	v_max_f32_e32 v4, v4, v34
	v_cndmask_b32_e32 v34, v4, v35, vcc
	v_and_b32_e32 v4, 0x7f800000, v34
	v_cmp_ne_u32_e64 s[40:41], s57, v4
                                        ; implicit-def: $vgpr4
	s_and_saveexec_b64 s[92:93], s[40:41]
	s_xor_b64 s[40:41], exec, s[92:93]
; %bb.576:                              ;   in Loop: Header=BB4_303 Depth=3
	v_bfe_u32 v4, v34, 16, 1
	v_add3_u32 v4, v34, v4, s46
                                        ; implicit-def: $vgpr34
; %bb.577:                              ;   in Loop: Header=BB4_303 Depth=3
	s_andn2_saveexec_b64 s[92:93], s[40:41]
; %bb.578:                              ;   in Loop: Header=BB4_303 Depth=3
	v_or_b32_e32 v4, 0x10000, v34
	v_cmp_eq_u32_sdwa s[40:41], v34, v2 src0_sel:WORD_0 src1_sel:DWORD
	v_cndmask_b32_e64 v4, v4, v34, s[40:41]
; %bb.579:                              ;   in Loop: Header=BB4_303 Depth=3
	s_or_b64 exec, exec, s[92:93]
	v_and_b32_e32 v19, 0xffff0000, v19
	v_and_b32_e32 v27, 0xffff0000, v27
	v_max_f32_e32 v27, v27, v27
	v_max_f32_e32 v19, v19, v19
	v_min_f32_e32 v34, v19, v27
	v_max_f32_e32 v19, v19, v27
	v_cndmask_b32_e32 v27, v19, v34, vcc
	v_and_b32_e32 v19, 0x7f800000, v27
	v_cmp_ne_u32_e64 s[40:41], s57, v19
                                        ; implicit-def: $vgpr19
	s_and_saveexec_b64 s[92:93], s[40:41]
	s_xor_b64 s[40:41], exec, s[92:93]
; %bb.580:                              ;   in Loop: Header=BB4_303 Depth=3
	v_bfe_u32 v19, v27, 16, 1
	v_add3_u32 v19, v27, v19, s46
                                        ; implicit-def: $vgpr27
; %bb.581:                              ;   in Loop: Header=BB4_303 Depth=3
	s_andn2_saveexec_b64 s[92:93], s[40:41]
; %bb.582:                              ;   in Loop: Header=BB4_303 Depth=3
	v_or_b32_e32 v19, 0x10000, v27
	v_cmp_eq_u32_sdwa s[40:41], v27, v2 src0_sel:WORD_0 src1_sel:DWORD
	v_cndmask_b32_e64 v19, v19, v27, s[40:41]
; %bb.583:                              ;   in Loop: Header=BB4_303 Depth=3
	s_or_b64 exec, exec, s[92:93]
	s_waitcnt vmcnt(5)
	v_lshlrev_b32_e32 v27, 16, v30
	s_waitcnt vmcnt(3)
	v_lshlrev_b32_e32 v34, 16, v31
	v_max_f32_e32 v34, v34, v34
	v_max_f32_e32 v27, v27, v27
	v_min_f32_e32 v35, v27, v34
	v_max_f32_e32 v27, v27, v34
	v_cndmask_b32_e32 v34, v27, v35, vcc
	v_and_b32_e32 v27, 0x7f800000, v34
	v_cmp_ne_u32_e64 s[40:41], s57, v27
                                        ; implicit-def: $vgpr27
	s_and_saveexec_b64 s[92:93], s[40:41]
	s_xor_b64 s[40:41], exec, s[92:93]
; %bb.584:                              ;   in Loop: Header=BB4_303 Depth=3
	v_bfe_u32 v27, v34, 16, 1
	v_add3_u32 v27, v34, v27, s46
                                        ; implicit-def: $vgpr34
; %bb.585:                              ;   in Loop: Header=BB4_303 Depth=3
	s_andn2_saveexec_b64 s[92:93], s[40:41]
; %bb.586:                              ;   in Loop: Header=BB4_303 Depth=3
	v_or_b32_e32 v27, 0x10000, v34
	v_cmp_eq_u32_sdwa s[40:41], v34, v2 src0_sel:WORD_0 src1_sel:DWORD
	v_cndmask_b32_e64 v27, v27, v34, s[40:41]
; %bb.587:                              ;   in Loop: Header=BB4_303 Depth=3
	s_or_b64 exec, exec, s[92:93]
	v_and_b32_e32 v30, 0xffff0000, v30
	v_and_b32_e32 v31, 0xffff0000, v31
	v_max_f32_e32 v31, v31, v31
	v_max_f32_e32 v30, v30, v30
	v_min_f32_e32 v34, v30, v31
	v_max_f32_e32 v30, v30, v31
	v_cndmask_b32_e32 v31, v30, v34, vcc
	v_and_b32_e32 v30, 0x7f800000, v31
	v_cmp_ne_u32_e64 s[40:41], s57, v30
                                        ; implicit-def: $vgpr30
	s_and_saveexec_b64 s[92:93], s[40:41]
	s_xor_b64 s[40:41], exec, s[92:93]
; %bb.588:                              ;   in Loop: Header=BB4_303 Depth=3
	v_bfe_u32 v30, v31, 16, 1
	v_add3_u32 v30, v31, v30, s46
                                        ; implicit-def: $vgpr31
; %bb.589:                              ;   in Loop: Header=BB4_303 Depth=3
	s_andn2_saveexec_b64 s[92:93], s[40:41]
; %bb.590:                              ;   in Loop: Header=BB4_303 Depth=3
	v_or_b32_e32 v30, 0x10000, v31
	v_cmp_eq_u32_sdwa s[40:41], v31, v2 src0_sel:WORD_0 src1_sel:DWORD
	v_cndmask_b32_e64 v30, v30, v31, s[40:41]
; %bb.591:                              ;   in Loop: Header=BB4_303 Depth=3
	s_or_b64 exec, exec, s[92:93]
	v_lshlrev_b32_e32 v31, 16, v28
	s_waitcnt vmcnt(2)
	v_lshlrev_b32_e32 v34, 16, v29
	v_max_f32_e32 v34, v34, v34
	v_max_f32_e32 v31, v31, v31
	v_min_f32_e32 v35, v31, v34
	v_max_f32_e32 v31, v31, v34
	v_cndmask_b32_e32 v34, v31, v35, vcc
	v_and_b32_e32 v31, 0x7f800000, v34
	v_cmp_ne_u32_e64 s[40:41], s57, v31
                                        ; implicit-def: $vgpr31
	s_and_saveexec_b64 s[92:93], s[40:41]
	s_xor_b64 s[40:41], exec, s[92:93]
; %bb.592:                              ;   in Loop: Header=BB4_303 Depth=3
	v_bfe_u32 v31, v34, 16, 1
	v_add3_u32 v31, v34, v31, s46
                                        ; implicit-def: $vgpr34
; %bb.593:                              ;   in Loop: Header=BB4_303 Depth=3
	s_andn2_saveexec_b64 s[92:93], s[40:41]
; %bb.594:                              ;   in Loop: Header=BB4_303 Depth=3
	v_or_b32_e32 v31, 0x10000, v34
	v_cmp_eq_u32_sdwa s[40:41], v34, v2 src0_sel:WORD_0 src1_sel:DWORD
	v_cndmask_b32_e64 v31, v31, v34, s[40:41]
; %bb.595:                              ;   in Loop: Header=BB4_303 Depth=3
	s_or_b64 exec, exec, s[92:93]
	v_and_b32_e32 v28, 0xffff0000, v28
	v_and_b32_e32 v29, 0xffff0000, v29
	v_max_f32_e32 v29, v29, v29
	v_max_f32_e32 v28, v28, v28
	v_min_f32_e32 v34, v28, v29
	v_max_f32_e32 v28, v28, v29
	v_cndmask_b32_e32 v29, v28, v34, vcc
	v_and_b32_e32 v28, 0x7f800000, v29
	v_cmp_ne_u32_e64 s[40:41], s57, v28
                                        ; implicit-def: $vgpr28
	s_and_saveexec_b64 s[92:93], s[40:41]
	s_xor_b64 s[40:41], exec, s[92:93]
; %bb.596:                              ;   in Loop: Header=BB4_303 Depth=3
	v_bfe_u32 v28, v29, 16, 1
	v_add3_u32 v28, v29, v28, s46
                                        ; implicit-def: $vgpr29
; %bb.597:                              ;   in Loop: Header=BB4_303 Depth=3
	s_andn2_saveexec_b64 s[92:93], s[40:41]
; %bb.598:                              ;   in Loop: Header=BB4_303 Depth=3
	v_or_b32_e32 v28, 0x10000, v29
	v_cmp_eq_u32_sdwa s[40:41], v29, v2 src0_sel:WORD_0 src1_sel:DWORD
	v_cndmask_b32_e64 v28, v28, v29, s[40:41]
; %bb.599:                              ;   in Loop: Header=BB4_303 Depth=3
	s_or_b64 exec, exec, s[92:93]
	s_waitcnt vmcnt(0)
	v_lshlrev_b32_e32 v29, 16, v18
	v_lshlrev_b32_e32 v34, 16, v0
	v_max_f32_e32 v34, v34, v34
	v_max_f32_e32 v29, v29, v29
	v_min_f32_e32 v35, v29, v34
	v_max_f32_e32 v29, v29, v34
	v_cndmask_b32_e32 v34, v29, v35, vcc
	v_and_b32_e32 v29, 0x7f800000, v34
	v_cmp_ne_u32_e64 s[40:41], s57, v29
                                        ; implicit-def: $vgpr29
	s_and_saveexec_b64 s[92:93], s[40:41]
	s_xor_b64 s[40:41], exec, s[92:93]
; %bb.600:                              ;   in Loop: Header=BB4_303 Depth=3
	v_bfe_u32 v29, v34, 16, 1
	v_add3_u32 v29, v34, v29, s46
                                        ; implicit-def: $vgpr34
; %bb.601:                              ;   in Loop: Header=BB4_303 Depth=3
	s_andn2_saveexec_b64 s[92:93], s[40:41]
; %bb.602:                              ;   in Loop: Header=BB4_303 Depth=3
	v_or_b32_e32 v29, 0x10000, v34
	v_cmp_eq_u32_sdwa s[40:41], v34, v2 src0_sel:WORD_0 src1_sel:DWORD
	v_cndmask_b32_e64 v29, v29, v34, s[40:41]
; %bb.603:                              ;   in Loop: Header=BB4_303 Depth=3
	s_or_b64 exec, exec, s[92:93]
	v_and_b32_e32 v18, 0xffff0000, v18
	v_and_b32_e32 v0, 0xffff0000, v0
	v_max_f32_e32 v0, v0, v0
	v_max_f32_e32 v18, v18, v18
	v_min_f32_e32 v34, v18, v0
	v_max_f32_e32 v0, v18, v0
	v_cndmask_b32_e32 v18, v0, v34, vcc
	v_and_b32_e32 v0, 0x7f800000, v18
	v_cmp_ne_u32_e32 vcc, s57, v0
                                        ; implicit-def: $vgpr0
	s_and_saveexec_b64 s[40:41], vcc
	s_xor_b64 s[40:41], exec, s[40:41]
; %bb.604:                              ;   in Loop: Header=BB4_303 Depth=3
	v_bfe_u32 v0, v18, 16, 1
	v_add3_u32 v0, v18, v0, s46
                                        ; implicit-def: $vgpr18
; %bb.605:                              ;   in Loop: Header=BB4_303 Depth=3
	s_andn2_saveexec_b64 s[40:41], s[40:41]
; %bb.606:                              ;   in Loop: Header=BB4_303 Depth=3
	v_or_b32_e32 v0, 0x10000, v18
	v_cmp_eq_u32_sdwa vcc, v18, v2 src0_sel:WORD_0 src1_sel:DWORD
	v_cndmask_b32_e32 v0, v0, v18, vcc
; %bb.607:                              ;   in Loop: Header=BB4_303 Depth=3
	s_or_b64 exec, exec, s[40:41]
	v_lshrrev_b32_e32 v4, 16, v4
	v_and_or_b32 v50, v19, s47, v4
	v_lshrrev_b32_e32 v4, 16, v31
	v_lshrrev_b32_e32 v18, 16, v27
	v_and_or_b32 v52, v28, s47, v4
	v_lshrrev_b32_e32 v4, 16, v29
	v_and_or_b32 v51, v30, s47, v18
	v_and_or_b32 v53, v0, s47, v4
	global_store_dwordx4 v[20:21], v[50:53], off glc slc
.LBB4_608:                              ;   in Loop: Header=BB4_303 Depth=3
	s_or_b64 exec, exec, s[42:43]
	v_and_b32_e32 v9, 14, v9
	v_cndmask_b32_e64 v4, v25, v9, s[28:29]
	v_cmp_ne_u32_e32 vcc, 0, v4
	s_mov_b64 s[42:43], s[88:89]
                                        ; implicit-def: $vgpr27
                                        ; implicit-def: $vgpr0
                                        ; implicit-def: $vgpr28
	s_and_saveexec_b64 s[40:41], vcc
	s_cbranch_execz .LBB4_610
; %bb.609:                              ;   in Loop: Header=BB4_303 Depth=3
	v_sub_u32_e32 v0, v25, v9
	v_cndmask_b32_e64 v0, 0, v0, s[28:29]
	v_cmp_lt_i32_e32 vcc, 0, v26
	v_add3_u32 v27, v23, v11, v0
	v_cndmask_b32_e32 v0, 0, v57, vcc
	v_sub_u32_e32 v0, v0, v26
	v_lshl_add_u32 v0, v0, 6, v22
	v_ashrrev_i32_e32 v9, 31, v0
	v_lshrrev_b32_e32 v9, 26, v9
	v_add_u32_e32 v9, v0, v9
	v_and_b32_e32 v9, 0xffffffc0, v9
	v_sub_u32_e32 v28, v0, v9
	s_or_b64 s[42:43], s[88:89], exec
.LBB4_610:                              ;   in Loop: Header=BB4_303 Depth=3
	s_or_b64 exec, exec, s[40:41]
	s_andn2_b64 s[28:29], s[88:89], exec
	s_and_b64 s[40:41], s[42:43], exec
	s_or_b64 s[88:89], s[28:29], s[40:41]
.LBB4_611:                              ;   in Loop: Header=BB4_303 Depth=3
	s_or_b64 exec, exec, s[90:91]
	s_and_saveexec_b64 s[42:43], s[88:89]
	s_cbranch_execz .LBB4_695
.LBB4_612:                              ;   in Loop: Header=BB4_303 Depth=3
	s_waitcnt vmcnt(0)
	v_ashrrev_i32_e32 v9, 31, v0
	v_lshrrev_b32_e32 v9, 26, v9
	v_add_u32_e32 v0, v0, v9
	v_ashrrev_i32_e32 v0, 6, v0
	v_lshlrev_b32_e32 v9, 9, v0
	s_waitcnt vmcnt(0)
	v_lshlrev_b32_e32 v11, 1, v28
	v_add3_u32 v29, v27, v11, v9
	v_ashrrev_i32_e32 v9, 31, v4
	v_lshrrev_b32_e32 v9, 23, v9
	v_add_u32_e32 v9, v4, v9
	v_ashrrev_i32_e32 v9, 9, v9
	v_ashrrev_i32_e32 v30, 31, v29
	s_waitcnt lgkmcnt(0)
	v_add_co_u32_e32 v18, vcc, v16, v29
	v_sub_u32_e32 v11, v9, v0
	v_addc_co_u32_e32 v19, vcc, v17, v30, vcc
	v_cmp_lt_i32_e32 vcc, 0, v11
	v_mov_b32_e32 v21, 0
	s_mov_b64 s[28:29], 0
	v_mov_b32_e32 v25, 0
	v_mov_b32_e32 v22, 0
	;; [unrolled: 1-line block ×7, first 2 shown]
	s_and_saveexec_b64 s[40:41], vcc
	s_cbranch_execz .LBB4_652
; %bb.613:                              ;   in Loop: Header=BB4_303 Depth=3
	s_trap 2
	ds_read_b64 v[22:23], v0
	v_add_co_u32_e32 v20, vcc, v29, v14
	v_addc_co_u32_e32 v21, vcc, v30, v15, vcc
	s_and_b32 s28, s8, 0xff
	s_waitcnt lgkmcnt(0)
	v_add_co_u32_e32 v22, vcc, v22, v29
	s_cmp_eq_u32 s28, 0
	v_addc_co_u32_e32 v23, vcc, v23, v30, vcc
	s_mov_b64 s[92:93], 0
	s_mov_b64 s[90:91], 0
	s_cselect_b64 s[28:29], -1, 0
                                        ; implicit-def: $sgpr88_sgpr89
                                        ; implicit-def: $vgpr61
                                        ; implicit-def: $vgpr53
                                        ; implicit-def: $vgpr50
                                        ; implicit-def: $vgpr31
                                        ; implicit-def: $vgpr25
                                        ; implicit-def: $vgpr26
                                        ; implicit-def: $vgpr29
                                        ; implicit-def: $vgpr30
	s_branch .LBB4_615
.LBB4_614:                              ;   in Loop: Header=BB4_615 Depth=4
	s_or_b64 exec, exec, s[94:95]
	flat_store_short_d16_hi v[18:19], v0 glc slc
	flat_store_short_d16_hi v[18:19], v34 offset:128 glc slc
	flat_store_short_d16_hi v[18:19], v35 offset:256 glc slc
	;; [unrolled: 1-line block ×3, first 2 shown]
	v_add_co_u32_e32 v0, vcc, v20, v54
	v_addc_co_u32_e32 v34, vcc, v21, v55, vcc
	v_add_co_u32_e32 v35, vcc, v22, v54
	v_mov_b32_e32 v42, 0x200
	v_addc_co_u32_e32 v51, vcc, v23, v55, vcc
	v_cndmask_b32_e64 v42, v42, v44, s[92:93]
	v_cndmask_b32_e64 v52, 0, v45, s[92:93]
	v_add_co_u32_e32 v18, vcc, v18, v42
	v_cndmask_b32_e64 v20, v20, v0, s[92:93]
	v_cndmask_b32_e64 v0, 0, v57, s[92:93]
	v_addc_co_u32_e32 v19, vcc, v19, v52, vcc
	v_sub_u32_e32 v11, v11, v0
	v_cmp_gt_i32_e32 vcc, 1, v11
	s_or_b64 s[90:91], vcc, s[90:91]
	s_andn2_b64 s[88:89], s[88:89], exec
	s_and_b64 s[94:95], s[92:93], exec
	v_cndmask_b32_e64 v21, v21, v34, s[92:93]
	v_cndmask_b32_e64 v23, v23, v51, s[92:93]
	;; [unrolled: 1-line block ×3, first 2 shown]
	s_or_b64 s[88:89], s[88:89], s[94:95]
	s_andn2_b64 exec, exec, s[90:91]
	s_cbranch_execz .LBB4_651
.LBB4_615:                              ;   Parent Loop BB4_47 Depth=1
                                        ;     Parent Loop BB4_300 Depth=2
                                        ;       Parent Loop BB4_303 Depth=3
                                        ; =>      This Inner Loop Header: Depth=4
	flat_load_ushort v0, v[20:21] glc slc
	flat_load_ushort v59, v[20:21] offset:128 glc slc
	flat_load_ushort v56, v[20:21] offset:256 glc slc
	;; [unrolled: 1-line block ×3, first 2 shown]
	flat_load_ushort v34, v[22:23] glc slc
	flat_load_ushort v42, v[22:23] offset:128 glc slc
	flat_load_ushort v60, v[22:23] offset:256 glc slc
	;; [unrolled: 1-line block ×3, first 2 shown]
	s_and_saveexec_b64 s[94:95], s[92:93]
	s_cbranch_execz .LBB4_633
; %bb.616:                              ;   in Loop: Header=BB4_615 Depth=4
	v_lshlrev_b32_e32 v35, 16, v61
	v_lshlrev_b32_e32 v58, 16, v25
	v_max_f32_e32 v58, v58, v58
	v_max_f32_e32 v35, v35, v35
	v_min_f32_e32 v61, v35, v58
	v_max_f32_e32 v35, v35, v58
	v_cndmask_b32_e64 v61, v35, v61, s[28:29]
	v_and_b32_e32 v35, 0x7f800000, v61
	v_cmp_ne_u32_e32 vcc, s57, v35
                                        ; implicit-def: $vgpr35
	s_and_saveexec_b64 s[92:93], vcc
	s_xor_b64 s[92:93], exec, s[92:93]
; %bb.617:                              ;   in Loop: Header=BB4_615 Depth=4
	v_bfe_u32 v35, v61, 16, 1
	v_add3_u32 v35, v61, v35, s46
                                        ; implicit-def: $vgpr61
; %bb.618:                              ;   in Loop: Header=BB4_615 Depth=4
	s_andn2_saveexec_b64 s[92:93], s[92:93]
; %bb.619:                              ;   in Loop: Header=BB4_615 Depth=4
	v_or_b32_e32 v35, 0x10000, v61
	v_cmp_eq_u32_sdwa vcc, v61, v2 src0_sel:WORD_0 src1_sel:DWORD
	v_cndmask_b32_e32 v35, v35, v61, vcc
; %bb.620:                              ;   in Loop: Header=BB4_615 Depth=4
	s_or_b64 exec, exec, s[92:93]
	v_lshlrev_b32_e32 v53, 16, v53
	v_lshlrev_b32_e32 v58, 16, v26
	v_max_f32_e32 v58, v58, v58
	v_max_f32_e32 v53, v53, v53
	v_min_f32_e32 v61, v53, v58
	v_max_f32_e32 v53, v53, v58
	v_cndmask_b32_e64 v61, v53, v61, s[28:29]
	v_and_b32_e32 v53, 0x7f800000, v61
	v_cmp_ne_u32_e32 vcc, s57, v53
                                        ; implicit-def: $vgpr53
	s_and_saveexec_b64 s[92:93], vcc
	s_xor_b64 s[92:93], exec, s[92:93]
; %bb.621:                              ;   in Loop: Header=BB4_615 Depth=4
	v_bfe_u32 v53, v61, 16, 1
	v_add3_u32 v53, v61, v53, s46
                                        ; implicit-def: $vgpr61
; %bb.622:                              ;   in Loop: Header=BB4_615 Depth=4
	s_andn2_saveexec_b64 s[92:93], s[92:93]
; %bb.623:                              ;   in Loop: Header=BB4_615 Depth=4
	v_or_b32_e32 v53, 0x10000, v61
	v_cmp_eq_u32_sdwa vcc, v61, v2 src0_sel:WORD_0 src1_sel:DWORD
	v_cndmask_b32_e32 v53, v53, v61, vcc
; %bb.624:                              ;   in Loop: Header=BB4_615 Depth=4
	s_or_b64 exec, exec, s[92:93]
	v_lshlrev_b32_e32 v50, 16, v50
	v_lshlrev_b32_e32 v58, 16, v29
	v_max_f32_e32 v58, v58, v58
	v_max_f32_e32 v50, v50, v50
	v_min_f32_e32 v61, v50, v58
	v_max_f32_e32 v50, v50, v58
	v_cndmask_b32_e64 v61, v50, v61, s[28:29]
	v_and_b32_e32 v50, 0x7f800000, v61
	v_cmp_ne_u32_e32 vcc, s57, v50
                                        ; implicit-def: $vgpr50
	s_and_saveexec_b64 s[92:93], vcc
	s_xor_b64 s[92:93], exec, s[92:93]
; %bb.625:                              ;   in Loop: Header=BB4_615 Depth=4
	v_bfe_u32 v50, v61, 16, 1
	v_add3_u32 v50, v61, v50, s46
                                        ; implicit-def: $vgpr61
; %bb.626:                              ;   in Loop: Header=BB4_615 Depth=4
	s_andn2_saveexec_b64 s[92:93], s[92:93]
; %bb.627:                              ;   in Loop: Header=BB4_615 Depth=4
	v_or_b32_e32 v50, 0x10000, v61
	v_cmp_eq_u32_sdwa vcc, v61, v2 src0_sel:WORD_0 src1_sel:DWORD
	v_cndmask_b32_e32 v50, v50, v61, vcc
; %bb.628:                              ;   in Loop: Header=BB4_615 Depth=4
	s_or_b64 exec, exec, s[92:93]
	v_lshlrev_b32_e32 v31, 16, v31
	v_lshlrev_b32_e32 v58, 16, v30
	v_max_f32_e32 v58, v58, v58
	v_max_f32_e32 v31, v31, v31
	v_min_f32_e32 v61, v31, v58
	v_max_f32_e32 v31, v31, v58
	v_cndmask_b32_e64 v61, v31, v61, s[28:29]
	v_and_b32_e32 v31, 0x7f800000, v61
	v_cmp_ne_u32_e32 vcc, s57, v31
                                        ; implicit-def: $vgpr31
	s_and_saveexec_b64 s[92:93], vcc
	s_xor_b64 s[92:93], exec, s[92:93]
; %bb.629:                              ;   in Loop: Header=BB4_615 Depth=4
	v_bfe_u32 v31, v61, 16, 1
	v_add3_u32 v31, v61, v31, s46
                                        ; implicit-def: $vgpr61
; %bb.630:                              ;   in Loop: Header=BB4_615 Depth=4
	s_andn2_saveexec_b64 s[92:93], s[92:93]
; %bb.631:                              ;   in Loop: Header=BB4_615 Depth=4
	v_or_b32_e32 v31, 0x10000, v61
	v_cmp_eq_u32_sdwa vcc, v61, v2 src0_sel:WORD_0 src1_sel:DWORD
	v_cndmask_b32_e32 v31, v31, v61, vcc
; %bb.632:                              ;   in Loop: Header=BB4_615 Depth=4
	s_or_b64 exec, exec, s[92:93]
	v_lshrrev_b32_e32 v61, 16, v35
	v_lshrrev_b32_e32 v50, 16, v50
	v_lshrrev_b32_e32 v53, 16, v53
	v_lshrrev_b32_e32 v31, 16, v31
	flat_store_short v[18:19], v61 glc slc
	flat_store_short v[18:19], v53 offset:128 glc slc
	flat_store_short v[18:19], v50 offset:256 glc slc
	;; [unrolled: 1-line block ×3, first 2 shown]
	v_add_co_u32_e32 v18, vcc, v18, v44
	v_addc_co_u32_e32 v19, vcc, v19, v45, vcc
.LBB4_633:                              ;   in Loop: Header=BB4_615 Depth=4
	s_or_b64 exec, exec, s[94:95]
	v_add_co_u32_e32 v20, vcc, v20, v44
	v_addc_co_u32_e32 v21, vcc, v21, v45, vcc
	v_add_co_u32_e32 v22, vcc, v22, v44
	v_sub_u32_e32 v11, v11, v57
	v_addc_co_u32_e32 v23, vcc, v23, v45, vcc
	v_cmp_lt_i32_e64 s[92:93], 0, v11
	s_and_saveexec_b64 s[94:95], s[92:93]
	s_cbranch_execz .LBB4_635
; %bb.634:                              ;   in Loop: Header=BB4_615 Depth=4
	flat_load_ushort v61, v[20:21] glc slc
	flat_load_ushort v53, v[20:21] offset:128 glc slc
	flat_load_ushort v50, v[20:21] offset:256 glc slc
	;; [unrolled: 1-line block ×3, first 2 shown]
	flat_load_ushort v25, v[22:23] glc slc
	flat_load_ushort v26, v[22:23] offset:128 glc slc
	flat_load_ushort v29, v[22:23] offset:256 glc slc
	;; [unrolled: 1-line block ×3, first 2 shown]
	v_add_co_u32_e32 v20, vcc, 0x200, v20
	v_addc_co_u32_e32 v21, vcc, 0, v21, vcc
	v_add_co_u32_e32 v22, vcc, 0x200, v22
	v_addc_co_u32_e32 v23, vcc, 0, v23, vcc
.LBB4_635:                              ;   in Loop: Header=BB4_615 Depth=4
	s_or_b64 exec, exec, s[94:95]
	s_waitcnt vmcnt(0) lgkmcnt(0)
	v_lshlrev_b32_e32 v0, 16, v0
	v_lshlrev_b32_e32 v34, 16, v34
	v_max_f32_e32 v34, v34, v34
	v_max_f32_e32 v0, v0, v0
	v_min_f32_e32 v35, v0, v34
	v_max_f32_e32 v0, v0, v34
	v_cndmask_b32_e64 v34, v0, v35, s[28:29]
	v_and_b32_e32 v0, 0x7f800000, v34
	v_cmp_ne_u32_e32 vcc, s57, v0
                                        ; implicit-def: $vgpr0
	s_and_saveexec_b64 s[94:95], vcc
	s_xor_b64 s[94:95], exec, s[94:95]
; %bb.636:                              ;   in Loop: Header=BB4_615 Depth=4
	v_bfe_u32 v0, v34, 16, 1
	v_add3_u32 v0, v34, v0, s46
                                        ; implicit-def: $vgpr34
; %bb.637:                              ;   in Loop: Header=BB4_615 Depth=4
	s_andn2_saveexec_b64 s[94:95], s[94:95]
; %bb.638:                              ;   in Loop: Header=BB4_615 Depth=4
	v_or_b32_e32 v0, 0x10000, v34
	v_cmp_eq_u32_sdwa vcc, v34, v2 src0_sel:WORD_0 src1_sel:DWORD
	v_cndmask_b32_e32 v0, v0, v34, vcc
; %bb.639:                              ;   in Loop: Header=BB4_615 Depth=4
	s_or_b64 exec, exec, s[94:95]
	v_lshlrev_b32_e32 v34, 16, v59
	v_lshlrev_b32_e32 v35, 16, v42
	v_max_f32_e32 v35, v35, v35
	v_max_f32_e32 v34, v34, v34
	v_min_f32_e32 v42, v34, v35
	v_max_f32_e32 v34, v34, v35
	v_cndmask_b32_e64 v35, v34, v42, s[28:29]
	v_and_b32_e32 v34, 0x7f800000, v35
	v_cmp_ne_u32_e32 vcc, s57, v34
                                        ; implicit-def: $vgpr34
	s_and_saveexec_b64 s[94:95], vcc
	s_xor_b64 s[94:95], exec, s[94:95]
; %bb.640:                              ;   in Loop: Header=BB4_615 Depth=4
	v_bfe_u32 v34, v35, 16, 1
	v_add3_u32 v34, v35, v34, s46
                                        ; implicit-def: $vgpr35
; %bb.641:                              ;   in Loop: Header=BB4_615 Depth=4
	s_andn2_saveexec_b64 s[94:95], s[94:95]
; %bb.642:                              ;   in Loop: Header=BB4_615 Depth=4
	v_or_b32_e32 v34, 0x10000, v35
	v_cmp_eq_u32_sdwa vcc, v35, v2 src0_sel:WORD_0 src1_sel:DWORD
	v_cndmask_b32_e32 v34, v34, v35, vcc
; %bb.643:                              ;   in Loop: Header=BB4_615 Depth=4
	s_or_b64 exec, exec, s[94:95]
	v_lshlrev_b32_e32 v35, 16, v56
	v_lshlrev_b32_e32 v42, 16, v60
	v_max_f32_e32 v42, v42, v42
	v_max_f32_e32 v35, v35, v35
	v_min_f32_e32 v56, v35, v42
	v_max_f32_e32 v35, v35, v42
	v_cndmask_b32_e64 v42, v35, v56, s[28:29]
	v_and_b32_e32 v35, 0x7f800000, v42
	v_cmp_ne_u32_e32 vcc, s57, v35
                                        ; implicit-def: $vgpr35
	s_and_saveexec_b64 s[94:95], vcc
	s_xor_b64 s[94:95], exec, s[94:95]
; %bb.644:                              ;   in Loop: Header=BB4_615 Depth=4
	v_bfe_u32 v35, v42, 16, 1
	v_add3_u32 v35, v42, v35, s46
                                        ; implicit-def: $vgpr42
; %bb.645:                              ;   in Loop: Header=BB4_615 Depth=4
	s_andn2_saveexec_b64 s[94:95], s[94:95]
; %bb.646:                              ;   in Loop: Header=BB4_615 Depth=4
	v_or_b32_e32 v35, 0x10000, v42
	v_cmp_eq_u32_sdwa vcc, v42, v2 src0_sel:WORD_0 src1_sel:DWORD
	v_cndmask_b32_e32 v35, v35, v42, vcc
; %bb.647:                              ;   in Loop: Header=BB4_615 Depth=4
	s_or_b64 exec, exec, s[94:95]
	v_lshlrev_b32_e32 v51, 16, v51
	v_lshlrev_b32_e32 v52, 16, v52
	v_max_f32_e32 v52, v52, v52
	v_max_f32_e32 v51, v51, v51
	v_min_f32_e32 v42, v51, v52
	v_max_f32_e32 v51, v51, v52
	v_cndmask_b32_e64 v52, v51, v42, s[28:29]
	v_and_b32_e32 v51, 0x7f800000, v52
	v_cmp_ne_u32_e32 vcc, s57, v51
                                        ; implicit-def: $vgpr51
	s_and_saveexec_b64 s[94:95], vcc
	s_xor_b64 s[94:95], exec, s[94:95]
; %bb.648:                              ;   in Loop: Header=BB4_615 Depth=4
	v_bfe_u32 v51, v52, 16, 1
	v_add3_u32 v51, v52, v51, s46
                                        ; implicit-def: $vgpr52
; %bb.649:                              ;   in Loop: Header=BB4_615 Depth=4
	s_andn2_saveexec_b64 s[94:95], s[94:95]
	s_cbranch_execz .LBB4_614
; %bb.650:                              ;   in Loop: Header=BB4_615 Depth=4
	v_or_b32_e32 v51, 0x10000, v52
	v_cmp_eq_u32_sdwa vcc, v52, v2 src0_sel:WORD_0 src1_sel:DWORD
	v_cndmask_b32_e32 v51, v51, v52, vcc
	s_branch .LBB4_614
.LBB4_651:                              ;   in Loop: Header=BB4_303 Depth=3
	s_or_b64 exec, exec, s[90:91]
	v_lshlrev_b32_e32 v21, 16, v61
	v_lshlrev_b32_e32 v34, 16, v25
	;; [unrolled: 1-line block ×8, first 2 shown]
	s_and_b64 s[28:29], s[88:89], exec
.LBB4_652:                              ;   in Loop: Header=BB4_303 Depth=3
	s_or_b64 exec, exec, s[40:41]
	s_and_saveexec_b64 s[40:41], s[28:29]
	s_cbranch_execz .LBB4_670
; %bb.653:                              ;   in Loop: Header=BB4_303 Depth=3
	s_and_b32 s28, s8, 0xff
	s_cmp_eq_u32 s28, 0
	v_max_f32_e32 v29, v34, v34
	v_max_f32_e32 v21, v21, v21
	v_min_f32_e32 v30, v21, v29
	v_max_f32_e32 v21, v21, v29
	s_cselect_b64 vcc, -1, 0
	v_cndmask_b32_e32 v29, v21, v30, vcc
	v_and_b32_e32 v21, 0x7f800000, v29
	v_cmp_ne_u32_e64 s[28:29], s57, v21
                                        ; implicit-def: $vgpr21
	s_and_saveexec_b64 s[88:89], s[28:29]
	s_xor_b64 s[28:29], exec, s[88:89]
; %bb.654:                              ;   in Loop: Header=BB4_303 Depth=3
	v_bfe_u32 v21, v29, 16, 1
	v_add3_u32 v21, v29, v21, s46
                                        ; implicit-def: $vgpr29
; %bb.655:                              ;   in Loop: Header=BB4_303 Depth=3
	s_andn2_saveexec_b64 s[88:89], s[28:29]
; %bb.656:                              ;   in Loop: Header=BB4_303 Depth=3
	v_or_b32_e32 v21, 0x10000, v29
	v_cmp_eq_u32_sdwa s[28:29], v29, v2 src0_sel:WORD_0 src1_sel:DWORD
	v_cndmask_b32_e64 v21, v21, v29, s[28:29]
; %bb.657:                              ;   in Loop: Header=BB4_303 Depth=3
	s_or_b64 exec, exec, s[88:89]
	v_max_f32_e32 v26, v26, v26
	v_max_f32_e32 v25, v25, v25
	v_min_f32_e32 v29, v25, v26
	v_max_f32_e32 v25, v25, v26
	v_cndmask_b32_e32 v26, v25, v29, vcc
	v_and_b32_e32 v25, 0x7f800000, v26
	v_cmp_ne_u32_e64 s[28:29], s57, v25
                                        ; implicit-def: $vgpr25
	s_and_saveexec_b64 s[88:89], s[28:29]
	s_xor_b64 s[28:29], exec, s[88:89]
; %bb.658:                              ;   in Loop: Header=BB4_303 Depth=3
	v_bfe_u32 v25, v26, 16, 1
	v_add3_u32 v25, v26, v25, s46
                                        ; implicit-def: $vgpr26
; %bb.659:                              ;   in Loop: Header=BB4_303 Depth=3
	s_andn2_saveexec_b64 s[88:89], s[28:29]
; %bb.660:                              ;   in Loop: Header=BB4_303 Depth=3
	v_or_b32_e32 v25, 0x10000, v26
	v_cmp_eq_u32_sdwa s[28:29], v26, v2 src0_sel:WORD_0 src1_sel:DWORD
	v_cndmask_b32_e64 v25, v25, v26, s[28:29]
; %bb.661:                              ;   in Loop: Header=BB4_303 Depth=3
	s_or_b64 exec, exec, s[88:89]
	v_max_f32_e32 v23, v23, v23
	v_max_f32_e32 v22, v22, v22
	v_min_f32_e32 v26, v22, v23
	v_max_f32_e32 v22, v22, v23
	v_cndmask_b32_e32 v23, v22, v26, vcc
	v_and_b32_e32 v22, 0x7f800000, v23
	v_cmp_ne_u32_e64 s[28:29], s57, v22
                                        ; implicit-def: $vgpr22
	s_and_saveexec_b64 s[88:89], s[28:29]
	s_xor_b64 s[28:29], exec, s[88:89]
; %bb.662:                              ;   in Loop: Header=BB4_303 Depth=3
	v_bfe_u32 v22, v23, 16, 1
	v_add3_u32 v22, v23, v22, s46
                                        ; implicit-def: $vgpr23
; %bb.663:                              ;   in Loop: Header=BB4_303 Depth=3
	s_andn2_saveexec_b64 s[88:89], s[28:29]
; %bb.664:                              ;   in Loop: Header=BB4_303 Depth=3
	v_or_b32_e32 v22, 0x10000, v23
	v_cmp_eq_u32_sdwa s[28:29], v23, v2 src0_sel:WORD_0 src1_sel:DWORD
	v_cndmask_b32_e64 v22, v22, v23, s[28:29]
; %bb.665:                              ;   in Loop: Header=BB4_303 Depth=3
	s_or_b64 exec, exec, s[88:89]
	v_max_f32_e32 v20, v20, v20
	v_max_f32_e32 v0, v0, v0
	v_min_f32_e32 v23, v0, v20
	v_max_f32_e32 v0, v0, v20
	v_cndmask_b32_e32 v20, v0, v23, vcc
	v_and_b32_e32 v0, 0x7f800000, v20
	v_cmp_ne_u32_e32 vcc, s57, v0
                                        ; implicit-def: $vgpr0
	s_and_saveexec_b64 s[28:29], vcc
	s_xor_b64 s[28:29], exec, s[28:29]
; %bb.666:                              ;   in Loop: Header=BB4_303 Depth=3
	v_bfe_u32 v0, v20, 16, 1
	v_add3_u32 v0, v20, v0, s46
                                        ; implicit-def: $vgpr20
; %bb.667:                              ;   in Loop: Header=BB4_303 Depth=3
	s_andn2_saveexec_b64 s[28:29], s[28:29]
; %bb.668:                              ;   in Loop: Header=BB4_303 Depth=3
	v_or_b32_e32 v0, 0x10000, v20
	v_cmp_eq_u32_sdwa vcc, v20, v2 src0_sel:WORD_0 src1_sel:DWORD
	v_cndmask_b32_e32 v0, v0, v20, vcc
; %bb.669:                              ;   in Loop: Header=BB4_303 Depth=3
	s_or_b64 exec, exec, s[28:29]
	flat_store_short_d16_hi v[18:19], v21 glc slc
	flat_store_short_d16_hi v[18:19], v25 offset:128 glc slc
	flat_store_short_d16_hi v[18:19], v22 offset:256 glc slc
	;; [unrolled: 1-line block ×3, first 2 shown]
.LBB4_670:                              ;   in Loop: Header=BB4_303 Depth=3
	s_or_b64 exec, exec, s[40:41]
	v_lshlrev_b32_e32 v0, 9, v9
	v_cmp_ne_u32_e32 vcc, v4, v0
	s_and_b64 exec, exec, vcc
	s_cbranch_execz .LBB4_695
; %bb.671:                              ;   in Loop: Header=BB4_303 Depth=3
	v_lshlrev_b32_e32 v9, 6, v11
	v_sub_u32_e32 v9, v28, v9
	v_ashrrev_i32_e32 v11, 31, v9
	v_lshrrev_b32_e32 v11, 26, v11
	v_add_u32_e32 v11, v9, v11
	v_and_b32_e32 v18, 0x7fffffc0, v11
	v_sub_u32_e32 v9, v9, v18
	v_lshlrev_b32_e32 v11, 1, v11
	v_and_b32_e32 v11, 0xffffff80, v11
	v_lshlrev_b32_e32 v9, 1, v9
	v_add3_u32 v9, v11, v9, v0
	v_sub_u32_e32 v0, v4, v9
	v_cmp_lt_i32_e32 vcc, 1, v0
	s_and_b64 exec, exec, vcc
	s_cbranch_execz .LBB4_695
; %bb.672:                              ;   in Loop: Header=BB4_303 Depth=3
	s_trap 2
	ds_read_b64 v[18:19], v0
	v_add_u32_e32 v4, v9, v27
	v_ashrrev_i32_e32 v20, 31, v4
	v_add_co_u32_e32 v16, vcc, v16, v4
	v_addc_co_u32_e32 v17, vcc, v17, v20, vcc
	v_add_co_u32_e32 v14, vcc, v4, v14
	v_addc_co_u32_e32 v11, vcc, v20, v15, vcc
	s_and_b32 s8, s8, 0xff
	s_waitcnt lgkmcnt(0)
	v_add_co_u32_e32 v9, vcc, v18, v4
	s_cmp_eq_u32 s8, 0
	v_addc_co_u32_e32 v4, vcc, v19, v20, vcc
	s_mov_b64 s[92:93], 0
	s_mov_b64 s[88:89], 0
	s_cselect_b64 s[28:29], -1, 0
                                        ; implicit-def: $sgpr90_sgpr91
	s_branch .LBB4_674
.LBB4_673:                              ;   in Loop: Header=BB4_674 Depth=4
	s_or_b64 exec, exec, s[40:41]
	buffer_load_dword v22, off, s[0:3], s33 offset:128 ; 4-byte Folded Reload
	v_lshrrev_b32_e32 v15, 16, v18
	buffer_store_short v15, off, s[0:3], s33 offset:64
	flat_store_short v[16:17], v15 glc slc
	v_add_co_u32_e32 v15, vcc, v14, v40
	v_addc_co_u32_e32 v18, vcc, v11, v41, vcc
	v_add_co_u32_e32 v19, vcc, v9, v40
	v_mov_b32_e32 v23, 0x80
	v_addc_co_u32_e32 v20, vcc, v4, v41, vcc
	v_cndmask_b32_e64 v14, v14, v15, s[92:93]
	v_lshlrev_b32_e32 v15, 7, v57
	v_cndmask_b32_e64 v21, 0, v7, s[92:93]
	v_cndmask_b32_e64 v15, 0, v15, s[92:93]
	v_sub_u32_e32 v0, v0, v15
	v_cndmask_b32_e64 v4, v4, v20, s[92:93]
	v_cndmask_b32_e64 v9, v9, v19, s[92:93]
	;; [unrolled: 1-line block ×3, first 2 shown]
	s_waitcnt vmcnt(0)
	v_cndmask_b32_e64 v22, v23, v22, s[92:93]
	v_add_co_u32_e32 v16, vcc, v16, v22
	v_addc_co_u32_e32 v17, vcc, v17, v21, vcc
	v_cmp_gt_i32_e32 vcc, 2, v0
	s_or_b64 s[88:89], vcc, s[88:89]
	s_andn2_b64 s[40:41], s[90:91], exec
	s_and_b64 s[90:91], s[92:93], exec
	s_or_b64 s[90:91], s[40:41], s[90:91]
	s_andn2_b64 exec, exec, s[88:89]
	s_cbranch_execz .LBB4_689
.LBB4_674:                              ;   Parent Loop BB4_47 Depth=1
                                        ;     Parent Loop BB4_300 Depth=2
                                        ;       Parent Loop BB4_303 Depth=3
                                        ; =>      This Loop Header: Depth=4
                                        ;           Child Loop BB4_675 Depth 5
                                        ;           Child Loop BB4_684 Depth 5
	s_lshr_b32 s8, s33, 6
	s_add_i32 s8, s8, 64
	s_mov_b64 s[94:95], -1
	s_mov_b64 s[30:31], 0
.LBB4_675:                              ;   Parent Loop BB4_47 Depth=1
                                        ;     Parent Loop BB4_300 Depth=2
                                        ;       Parent Loop BB4_303 Depth=3
                                        ;         Parent Loop BB4_674 Depth=4
                                        ; =>        This Inner Loop Header: Depth=5
	s_cmp_eq_u32 s30, 1
	s_cselect_b64 s[40:41], -1, 0
	v_cndmask_b32_e64 v19, v11, v4, s[40:41]
	v_cndmask_b32_e64 v18, v14, v9, s[40:41]
	flat_load_ushort v15, v[18:19] glc slc
	v_mov_b32_e32 v20, s8
	s_cmp_eq_u32 s30, 0
	s_mov_b64 s[30:31], 1
	s_waitcnt vmcnt(0) lgkmcnt(0)
	buffer_store_short v15, v20, s[0:3], 0 offen
	v_add_co_u32_e32 v15, vcc, 0x80, v18
	v_addc_co_u32_e32 v18, vcc, 0, v19, vcc
	s_cselect_b64 vcc, -1, 0
	s_lshr_b32 s8, s33, 6
	s_addk_i32 s8, 0x60
	v_cndmask_b32_e64 v4, v4, v18, s[40:41]
	v_cndmask_b32_e64 v9, v9, v15, s[40:41]
	v_cndmask_b32_e32 v11, v11, v18, vcc
	v_cndmask_b32_e32 v14, v14, v15, vcc
	s_and_b64 vcc, exec, s[94:95]
	s_mov_b64 s[94:95], 0
	s_cbranch_vccnz .LBB4_675
; %bb.676:                              ;   in Loop: Header=BB4_674 Depth=4
	s_and_saveexec_b64 s[40:41], s[92:93]
	s_cbranch_execz .LBB4_682
; %bb.677:                              ;   in Loop: Header=BB4_674 Depth=4
	buffer_load_ushort v15, off, s[0:3], s33 offset:56
	buffer_load_ushort v18, off, s[0:3], s33 offset:58
	s_waitcnt vmcnt(1)
	v_lshlrev_b32_e32 v15, 16, v15
	s_waitcnt vmcnt(0)
	v_lshlrev_b32_e32 v18, 16, v18
	v_max_f32_e32 v18, v18, v18
	v_max_f32_e32 v15, v15, v15
	v_min_f32_e32 v19, v15, v18
	v_max_f32_e32 v15, v15, v18
	v_cndmask_b32_e64 v15, v15, v19, s[28:29]
	v_and_b32_e32 v18, 0x7f800000, v15
	v_cmp_ne_u32_e32 vcc, s57, v18
                                        ; implicit-def: $vgpr18
	s_and_saveexec_b64 s[92:93], vcc
	s_xor_b64 s[92:93], exec, s[92:93]
; %bb.678:                              ;   in Loop: Header=BB4_674 Depth=4
	v_bfe_u32 v18, v15, 16, 1
	v_add3_u32 v18, v15, v18, s46
                                        ; implicit-def: $vgpr15
; %bb.679:                              ;   in Loop: Header=BB4_674 Depth=4
	s_andn2_saveexec_b64 s[92:93], s[92:93]
; %bb.680:                              ;   in Loop: Header=BB4_674 Depth=4
	v_or_b32_e32 v18, 0x10000, v15
	v_cmp_eq_u32_sdwa vcc, v15, v2 src0_sel:WORD_0 src1_sel:DWORD
	v_cndmask_b32_e32 v18, v18, v15, vcc
; %bb.681:                              ;   in Loop: Header=BB4_674 Depth=4
	s_or_b64 exec, exec, s[92:93]
	v_lshrrev_b32_e32 v15, 16, v18
	buffer_store_short v15, off, s[0:3], s33 offset:56
	flat_store_short v[16:17], v15 glc slc
	buffer_load_dword v15, off, s[0:3], s33 offset:128 ; 4-byte Folded Reload
	s_waitcnt vmcnt(0)
	v_add_co_u32_e32 v16, vcc, v16, v15
	v_addc_co_u32_e32 v17, vcc, v17, v7, vcc
.LBB4_682:                              ;   in Loop: Header=BB4_674 Depth=4
	s_or_b64 exec, exec, s[40:41]
	v_add_co_u32_e32 v14, vcc, v14, v40
	v_addc_co_u32_e32 v11, vcc, v11, v41, vcc
	v_lshlrev_b32_e32 v15, 7, v57
	v_add_co_u32_e32 v9, vcc, v9, v40
	v_sub_u32_e32 v0, v0, v15
	v_addc_co_u32_e32 v4, vcc, v4, v41, vcc
	v_cmp_lt_i32_e64 s[92:93], 1, v0
	s_and_saveexec_b64 s[94:95], s[92:93]
	s_cbranch_execz .LBB4_685
; %bb.683:                              ;   in Loop: Header=BB4_674 Depth=4
	s_lshr_b32 s8, s33, 6
	s_add_i32 s8, s8, 56
	s_mov_b64 s[34:35], 0
	s_mov_b64 s[30:31], -1
.LBB4_684:                              ;   Parent Loop BB4_47 Depth=1
                                        ;     Parent Loop BB4_300 Depth=2
                                        ;       Parent Loop BB4_303 Depth=3
                                        ;         Parent Loop BB4_674 Depth=4
                                        ; =>        This Inner Loop Header: Depth=5
	s_cmp_eq_u32 s34, 1
	s_cselect_b64 s[40:41], -1, 0
	v_cndmask_b32_e64 v19, v11, v4, s[40:41]
	v_cndmask_b32_e64 v18, v14, v9, s[40:41]
	flat_load_ushort v15, v[18:19] glc slc
	v_mov_b32_e32 v20, s8
	s_cmp_eq_u32 s34, 0
	s_mov_b64 s[34:35], 1
	s_waitcnt vmcnt(0) lgkmcnt(0)
	buffer_store_short v15, v20, s[0:3], 0 offen
	v_add_co_u32_e32 v15, vcc, 0x80, v18
	v_addc_co_u32_e32 v18, vcc, 0, v19, vcc
	s_cselect_b64 vcc, -1, 0
	s_lshr_b32 s8, s33, 6
	s_add_i32 s8, s8, 58
	v_cndmask_b32_e32 v11, v11, v18, vcc
	v_cndmask_b32_e32 v14, v14, v15, vcc
	v_cndmask_b32_e64 v4, v4, v18, s[40:41]
	v_cndmask_b32_e64 v9, v9, v15, s[40:41]
	s_and_b64 vcc, exec, s[30:31]
	s_mov_b64 s[30:31], 0
	s_cbranch_vccnz .LBB4_684
.LBB4_685:                              ;   in Loop: Header=BB4_674 Depth=4
	s_or_b64 exec, exec, s[94:95]
	buffer_load_ushort v15, off, s[0:3], s33 offset:64
	buffer_load_ushort v18, off, s[0:3], s33 offset:96
	s_waitcnt vmcnt(0)
	v_lshlrev_b32_e32 v15, 16, v15
	v_lshlrev_b32_e32 v18, 16, v18
	v_max_f32_e32 v18, v18, v18
	v_max_f32_e32 v15, v15, v15
	v_min_f32_e32 v19, v15, v18
	v_max_f32_e32 v15, v15, v18
	v_cndmask_b32_e64 v15, v15, v19, s[28:29]
	v_and_b32_e32 v18, 0x7f800000, v15
	v_cmp_ne_u32_e32 vcc, s57, v18
                                        ; implicit-def: $vgpr18
	s_and_saveexec_b64 s[40:41], vcc
	s_xor_b64 s[40:41], exec, s[40:41]
; %bb.686:                              ;   in Loop: Header=BB4_674 Depth=4
	v_bfe_u32 v18, v15, 16, 1
	v_add3_u32 v18, v15, v18, s46
                                        ; implicit-def: $vgpr15
; %bb.687:                              ;   in Loop: Header=BB4_674 Depth=4
	s_andn2_saveexec_b64 s[40:41], s[40:41]
	s_cbranch_execz .LBB4_673
; %bb.688:                              ;   in Loop: Header=BB4_674 Depth=4
	v_or_b32_e32 v18, 0x10000, v15
	v_cmp_eq_u32_sdwa vcc, v15, v2 src0_sel:WORD_0 src1_sel:DWORD
	v_cndmask_b32_e32 v18, v18, v15, vcc
	s_branch .LBB4_673
.LBB4_689:                              ;   in Loop: Header=BB4_303 Depth=3
	s_or_b64 exec, exec, s[88:89]
	s_and_b64 exec, exec, s[90:91]
	s_cbranch_execz .LBB4_695
; %bb.690:                              ;   in Loop: Header=BB4_303 Depth=3
	buffer_load_ushort v0, off, s[0:3], s33 offset:56
	buffer_load_ushort v4, off, s[0:3], s33 offset:58
	s_waitcnt vmcnt(0)
	v_lshlrev_b32_e32 v0, 16, v0
	v_lshlrev_b32_e32 v4, 16, v4
	v_max_f32_e32 v4, v4, v4
	v_max_f32_e32 v0, v0, v0
	v_min_f32_e32 v9, v0, v4
	v_max_f32_e32 v0, v0, v4
	v_cndmask_b32_e64 v0, v0, v9, s[28:29]
	v_and_b32_e32 v4, 0x7f800000, v0
	v_cmp_ne_u32_e32 vcc, s57, v4
                                        ; implicit-def: $vgpr4
	s_and_saveexec_b64 s[28:29], vcc
	s_xor_b64 s[28:29], exec, s[28:29]
; %bb.691:                              ;   in Loop: Header=BB4_303 Depth=3
	v_bfe_u32 v4, v0, 16, 1
	v_add3_u32 v4, v0, v4, s46
                                        ; implicit-def: $vgpr0
; %bb.692:                              ;   in Loop: Header=BB4_303 Depth=3
	s_andn2_saveexec_b64 s[28:29], s[28:29]
; %bb.693:                              ;   in Loop: Header=BB4_303 Depth=3
	v_or_b32_e32 v4, 0x10000, v0
	v_cmp_eq_u32_sdwa vcc, v0, v2 src0_sel:WORD_0 src1_sel:DWORD
	v_cndmask_b32_e32 v4, v4, v0, vcc
; %bb.694:                              ;   in Loop: Header=BB4_303 Depth=3
	s_or_b64 exec, exec, s[28:29]
	flat_store_short_d16_hi v[16:17], v4 glc slc
.LBB4_695:                              ;   in Loop: Header=BB4_303 Depth=3
	s_or_b64 exec, exec, s[42:43]
	v_cmp_lt_i32_e64 s[28:29], 0, v3
	s_and_saveexec_b64 s[40:41], s[10:11]
	s_cbranch_execz .LBB4_378
.LBB4_696:                              ;   in Loop: Header=BB4_303 Depth=3
	s_and_saveexec_b64 s[42:43], s[58:59]
	s_xor_b64 s[42:43], exec, s[42:43]
	s_cbranch_execz .LBB4_711
; %bb.697:                              ;   in Loop: Header=BB4_303 Depth=3
	s_and_saveexec_b64 s[88:89], s[16:17]
	s_cbranch_execz .LBB4_710
; %bb.698:                              ;   in Loop: Header=BB4_303 Depth=3
	s_mov_b64 s[92:93], exec
	s_waitcnt vmcnt(0)
	v_mbcnt_lo_u32_b32 v0, s92, 0
	v_mbcnt_hi_u32_b32 v0, s93, v0
	v_cmp_eq_u32_e32 vcc, 0, v0
	s_waitcnt lgkmcnt(0)
	buffer_wbinvl1_vol
	s_and_saveexec_b64 s[90:91], vcc
	s_cbranch_execz .LBB4_700
; %bb.699:                              ;   in Loop: Header=BB4_303 Depth=3
	s_bcnt1_i32_b64 s8, s[92:93]
	v_mov_b32_e32 v3, s8
	v_mov_b32_e32 v4, v2
	ds_add_u64 v0, v[3:4]
	s_trap 2
.LBB4_700:                              ;   in Loop: Header=BB4_303 Depth=3
	s_or_b64 exec, exec, s[90:91]
	s_trap 2
	ds_read_b64 v[3:4], v0
	s_waitcnt lgkmcnt(0)
	v_add_co_u32_e32 v48, vcc, v48, v57
	v_addc_co_u32_e32 v49, vcc, 0, v49, vcc
	v_cmp_lt_u64_e32 vcc, v[3:4], v[48:49]
	s_and_saveexec_b64 s[90:91], vcc
	s_cbranch_execz .LBB4_709
; %bb.701:                              ;   in Loop: Header=BB4_303 Depth=3
	s_mov_b32 s8, 0
	s_mov_b64 s[92:93], 0
                                        ; implicit-def: $sgpr94_sgpr95
                                        ; implicit-def: $sgpr30_sgpr31
	s_branch .LBB4_703
.LBB4_702:                              ;   in Loop: Header=BB4_703 Depth=4
	s_or_b64 exec, exec, s[36:37]
	s_and_b64 vcc, exec, vcc
	s_or_b64 s[92:93], vcc, s[92:93]
	s_andn2_b64 s[94:95], s[94:95], exec
	s_and_b64 vcc, s[30:31], exec
	s_or_b64 s[94:95], s[94:95], vcc
	s_andn2_b64 exec, exec, s[92:93]
	s_cbranch_execz .LBB4_707
.LBB4_703:                              ;   Parent Loop BB4_47 Depth=1
                                        ;     Parent Loop BB4_300 Depth=2
                                        ;       Parent Loop BB4_303 Depth=3
                                        ; =>      This Inner Loop Header: Depth=4
	s_add_i32 s8, s8, 1
	s_cmpk_lg_i32 s8, 0x2710
	s_cselect_b64 s[34:35], -1, 0
	s_and_b64 vcc, exec, s[34:35]
	s_cbranch_vccz .LBB4_705
; %bb.704:                              ;   in Loop: Header=BB4_703 Depth=4
	s_mov_b64 vcc, -1
	s_or_b64 s[30:31], s[30:31], exec
	s_and_saveexec_b64 s[36:37], s[34:35]
	s_cbranch_execz .LBB4_702
	s_branch .LBB4_706
.LBB4_705:                              ;   in Loop: Header=BB4_703 Depth=4
	s_trap 2
	ds_read_b64 v[3:4], v0
	s_andn2_b64 s[34:35], s[34:35], exec
	s_mov_b32 s8, 0
	s_waitcnt lgkmcnt(0)
	flat_load_dword v0, v[3:4] glc
	s_waitcnt vmcnt(0) lgkmcnt(0)
	buffer_wbinvl1_vol
	v_cmp_eq_u32_e32 vcc, 0, v0
	s_and_b64 vcc, vcc, exec
	s_or_b64 s[34:35], s[34:35], vcc
	s_mov_b64 vcc, -1
	s_or_b64 s[30:31], s[30:31], exec
	s_and_saveexec_b64 s[36:37], s[34:35]
	s_cbranch_execz .LBB4_702
.LBB4_706:                              ;   in Loop: Header=BB4_703 Depth=4
	s_sleep 1
	s_trap 2
	ds_read_b64 v[3:4], v0
	s_waitcnt lgkmcnt(0)
	s_andn2_b64 s[30:31], s[30:31], exec
	v_cmp_ge_u64_e32 vcc, v[3:4], v[48:49]
	s_orn2_b64 vcc, vcc, exec
	s_branch .LBB4_702
.LBB4_707:                              ;   in Loop: Header=BB4_303 Depth=3
	s_or_b64 exec, exec, s[92:93]
	s_and_saveexec_b64 s[92:93], s[94:95]
	s_xor_b64 s[92:93], exec, s[92:93]
	s_cbranch_execz .LBB4_709
; %bb.708:                              ;   in Loop: Header=BB4_303 Depth=3
	v_mov_b32_e32 v0, 1
	ds_write_b32 v0, v0
	s_trap 2
.LBB4_709:                              ;   in Loop: Header=BB4_303 Depth=3
	s_or_b64 exec, exec, s[90:91]
	;;#ASMSTART
	s_wakeup
	;;#ASMEND
.LBB4_710:                              ;   in Loop: Header=BB4_303 Depth=3
	s_or_b64 exec, exec, s[88:89]
.LBB4_711:                              ;   in Loop: Header=BB4_303 Depth=3
	s_andn2_saveexec_b64 s[42:43], s[42:43]
	s_cbranch_execz .LBB4_713
; %bb.712:                              ;   in Loop: Header=BB4_303 Depth=3
	s_waitcnt vmcnt(0) lgkmcnt(0)
	buffer_wbinvl1_vol
	s_barrier
.LBB4_713:                              ;   in Loop: Header=BB4_303 Depth=3
	s_or_b64 exec, exec, s[42:43]
	s_or_b64 exec, exec, s[40:41]
                                        ; implicit-def: $vgpr0
	s_and_saveexec_b64 s[40:41], s[24:25]
	s_xor_b64 s[40:41], exec, s[40:41]
	s_cbranch_execnz .LBB4_379
.LBB4_714:                              ;   in Loop: Header=BB4_303 Depth=3
	s_andn2_saveexec_b64 s[28:29], s[40:41]
	s_cbranch_execz .LBB4_733
.LBB4_715:                              ;   in Loop: Header=BB4_303 Depth=3
	s_and_saveexec_b64 s[40:41], s[58:59]
	s_xor_b64 s[40:41], exec, s[40:41]
	s_cbranch_execz .LBB4_730
; %bb.716:                              ;   in Loop: Header=BB4_303 Depth=3
	s_and_saveexec_b64 s[42:43], s[16:17]
	s_cbranch_execz .LBB4_729
; %bb.717:                              ;   in Loop: Header=BB4_303 Depth=3
	s_mov_b64 s[90:91], exec
	s_waitcnt vmcnt(0)
	v_mbcnt_lo_u32_b32 v0, s90, 0
	v_mbcnt_hi_u32_b32 v0, s91, v0
	v_cmp_eq_u32_e32 vcc, 0, v0
	;;#ASMSTART
	s_waitcnt lgkmcnt(0) vmcnt(0)
	;;#ASMEND
	s_and_saveexec_b64 s[88:89], vcc
	s_cbranch_execz .LBB4_719
; %bb.718:                              ;   in Loop: Header=BB4_303 Depth=3
	s_bcnt1_i32_b64 s8, s[90:91]
	v_mov_b32_e32 v3, s8
	v_mov_b32_e32 v4, v2
	s_waitcnt lgkmcnt(0)
	ds_add_u64 v0, v[3:4]
	s_trap 2
.LBB4_719:                              ;   in Loop: Header=BB4_303 Depth=3
	s_or_b64 exec, exec, s[88:89]
	s_trap 2
	ds_read_b64 v[3:4], v0
	s_waitcnt lgkmcnt(0)
	v_add_co_u32_e32 v48, vcc, v48, v57
	v_addc_co_u32_e32 v49, vcc, 0, v49, vcc
	v_cmp_lt_u64_e32 vcc, v[3:4], v[48:49]
	s_and_saveexec_b64 s[88:89], vcc
	s_cbranch_execz .LBB4_728
; %bb.720:                              ;   in Loop: Header=BB4_303 Depth=3
	s_mov_b32 s8, 0
	s_mov_b64 s[90:91], 0
                                        ; implicit-def: $sgpr92_sgpr93
                                        ; implicit-def: $sgpr94_sgpr95
	s_branch .LBB4_722
.LBB4_721:                              ;   in Loop: Header=BB4_722 Depth=4
	s_or_b64 exec, exec, s[34:35]
	s_and_b64 vcc, exec, vcc
	s_or_b64 s[90:91], vcc, s[90:91]
	s_andn2_b64 s[92:93], s[92:93], exec
	s_and_b64 vcc, s[94:95], exec
	s_or_b64 s[92:93], s[92:93], vcc
	s_andn2_b64 exec, exec, s[90:91]
	s_cbranch_execz .LBB4_726
.LBB4_722:                              ;   Parent Loop BB4_47 Depth=1
                                        ;     Parent Loop BB4_300 Depth=2
                                        ;       Parent Loop BB4_303 Depth=3
                                        ; =>      This Inner Loop Header: Depth=4
	s_add_i32 s8, s8, 1
	s_cmpk_lg_i32 s8, 0x2710
	s_cselect_b64 s[30:31], -1, 0
	s_and_b64 vcc, exec, s[30:31]
	s_cbranch_vccz .LBB4_724
; %bb.723:                              ;   in Loop: Header=BB4_722 Depth=4
	s_mov_b64 vcc, -1
	s_or_b64 s[94:95], s[94:95], exec
	s_and_saveexec_b64 s[34:35], s[30:31]
	s_cbranch_execz .LBB4_721
	s_branch .LBB4_725
.LBB4_724:                              ;   in Loop: Header=BB4_722 Depth=4
	s_trap 2
	ds_read_b64 v[3:4], v0
	s_andn2_b64 s[30:31], s[30:31], exec
	s_mov_b32 s8, 0
	s_waitcnt lgkmcnt(0)
	flat_load_dword v0, v[3:4] glc
	s_waitcnt vmcnt(0) lgkmcnt(0)
	buffer_wbinvl1_vol
	v_cmp_eq_u32_e32 vcc, 0, v0
	s_and_b64 vcc, vcc, exec
	s_or_b64 s[30:31], s[30:31], vcc
	s_mov_b64 vcc, -1
	s_or_b64 s[94:95], s[94:95], exec
	s_and_saveexec_b64 s[34:35], s[30:31]
	s_cbranch_execz .LBB4_721
.LBB4_725:                              ;   in Loop: Header=BB4_722 Depth=4
	s_sleep 1
	s_trap 2
	ds_read_b64 v[3:4], v0
	s_waitcnt lgkmcnt(0)
	s_andn2_b64 s[94:95], s[94:95], exec
	v_cmp_ge_u64_e32 vcc, v[3:4], v[48:49]
	s_orn2_b64 vcc, vcc, exec
	s_branch .LBB4_721
.LBB4_726:                              ;   in Loop: Header=BB4_303 Depth=3
	s_or_b64 exec, exec, s[90:91]
	s_and_saveexec_b64 s[90:91], s[92:93]
	s_xor_b64 s[90:91], exec, s[90:91]
	s_cbranch_execz .LBB4_728
; %bb.727:                              ;   in Loop: Header=BB4_303 Depth=3
	v_mov_b32_e32 v0, 1
	ds_write_b32 v0, v0
	s_trap 2
.LBB4_728:                              ;   in Loop: Header=BB4_303 Depth=3
	s_or_b64 exec, exec, s[88:89]
	;;#ASMSTART
	s_wakeup
	;;#ASMEND
.LBB4_729:                              ;   in Loop: Header=BB4_303 Depth=3
	s_or_b64 exec, exec, s[42:43]
.LBB4_730:                              ;   in Loop: Header=BB4_303 Depth=3
	s_andn2_saveexec_b64 s[40:41], s[40:41]
	s_cbranch_execz .LBB4_732
; %bb.731:                              ;   in Loop: Header=BB4_303 Depth=3
	;;#ASMSTART
	s_waitcnt lgkmcnt(0) vmcnt(0)
	;;#ASMEND
	s_waitcnt vmcnt(0) lgkmcnt(0)
	s_barrier
.LBB4_732:                              ;   in Loop: Header=BB4_303 Depth=3
	s_or_b64 exec, exec, s[40:41]
	s_waitcnt vmcnt(0)
	v_and_b32_e32 v0, 16, v5
.LBB4_733:                              ;   in Loop: Header=BB4_303 Depth=3
	s_or_b64 exec, exec, s[28:29]
	s_waitcnt vmcnt(0)
	v_cmp_ne_u32_e32 vcc, 0, v0
	s_xor_b64 s[28:29], s[12:13], -1
	s_and_b64 s[40:41], vcc, s[28:29]
	s_and_saveexec_b64 s[28:29], s[40:41]
	s_cbranch_execz .LBB4_735
; %bb.734:                              ;   in Loop: Header=BB4_303 Depth=3
	buffer_load_dword v3, off, s[0:3], s33 offset:164 ; 4-byte Folded Reload
	buffer_load_dword v4, off, s[0:3], s33 offset:168 ; 4-byte Folded Reload
	v_mov_b32_e32 v0, 1
	s_waitcnt vmcnt(0)
	flat_store_dword v[3:4], v0
.LBB4_735:                              ;   in Loop: Header=BB4_303 Depth=3
	s_or_b64 exec, exec, s[28:29]
	v_and_b32_e32 v0, 48, v5
	v_cmp_ne_u32_e32 vcc, 0, v0
	s_and_saveexec_b64 s[28:29], vcc
	s_cbranch_execz .LBB4_302
; %bb.736:                              ;   in Loop: Header=BB4_303 Depth=3
	v_add_co_u32_e32 v46, vcc, 2, v46
	v_addc_co_u32_e32 v47, vcc, 0, v47, vcc
	flat_store_dwordx2 v[32:33], v[46:47]
	s_branch .LBB4_302
.LBB4_737:                              ;   in Loop: Header=BB4_300 Depth=2
	s_or_b64 exec, exec, s[76:77]
.LBB4_738:                              ;   in Loop: Header=BB4_300 Depth=2
	s_or_b64 exec, exec, s[44:45]
	v_cmp_gt_i32_e32 vcc, 2, v0
	s_and_saveexec_b64 s[40:41], vcc
	s_cbranch_execz .LBB4_299
; %bb.739:                              ;   in Loop: Header=BB4_300 Depth=2
	v_cmp_eq_u32_e64 s[44:45], 0, v0
	s_mov_b64 s[42:43], 0
	s_branch .LBB4_741
.LBB4_740:                              ;   in Loop: Header=BB4_741 Depth=3
	s_or_b64 exec, exec, s[28:29]
	v_add_u32_e32 v10, v8, v10
	s_mov_b64 s[44:45], 0
	s_andn2_b64 exec, exec, s[42:43]
	s_cbranch_execz .LBB4_298
.LBB4_741:                              ;   Parent Loop BB4_47 Depth=1
                                        ;     Parent Loop BB4_300 Depth=2
                                        ; =>    This Loop Header: Depth=3
                                        ;         Child Loop BB4_747 Depth 4
                                        ;         Child Loop BB4_775 Depth 4
	;; [unrolled: 1-line block ×3, first 2 shown]
	v_sub_u32_e32 v0, v24, v10
	v_min_i32_e32 v8, v8, v0
	v_and_b32_e32 v0, 12, v5
	v_cmp_ne_u32_e32 vcc, 0, v0
	s_and_saveexec_b64 s[76:77], vcc
	s_cbranch_execz .LBB4_767
; %bb.742:                              ;   in Loop: Header=BB4_741 Depth=3
	v_and_b32_e32 v0, 8, v5
	s_waitcnt lgkmcnt(0)
	v_add_co_u32_e32 v3, vcc, v38, v0
	v_addc_co_u32_e32 v4, vcc, 0, v39, vcc
	v_add_co_u32_e32 v11, vcc, 2, v46
	v_addc_co_u32_e32 v12, vcc, 0, v47, vcc
	v_cmp_lt_u64_e32 vcc, v[3:4], v[11:12]
	s_and_saveexec_b64 s[78:79], vcc
	s_cbranch_execz .LBB4_754
; %bb.743:                              ;   in Loop: Header=BB4_741 Depth=3
	v_and_b32_e32 v3, 64, v5
	s_mov_b32 s8, 0
	v_cmp_eq_u32_e32 vcc, 0, v3
	s_mov_b64 s[88:89], 0
                                        ; implicit-def: $sgpr90_sgpr91
                                        ; implicit-def: $sgpr92_sgpr93
                                        ; implicit-def: $sgpr94_sgpr95
	s_branch .LBB4_747
.LBB4_744:                              ;   in Loop: Header=BB4_747 Depth=4
	s_waitcnt vmcnt(0) lgkmcnt(0)
	v_add_co_u32_e64 v13, s[28:29], v38, v0
	v_addc_co_u32_e64 v14, s[28:29], 0, v39, s[28:29]
	v_cmp_ge_u64_e64 s[28:29], v[13:14], v[11:12]
	s_or_b64 s[36:37], s[36:37], exec
	s_orn2_b64 s[34:35], s[28:29], exec
.LBB4_745:                              ;   in Loop: Header=BB4_747 Depth=4
	s_or_b64 exec, exec, s[48:49]
	s_andn2_b64 s[28:29], s[94:95], exec
	s_and_b64 s[94:95], s[36:37], exec
	s_or_b64 s[94:95], s[28:29], s[94:95]
	s_andn2_b64 s[28:29], s[92:93], exec
	s_and_b64 s[92:93], s[34:35], exec
	s_or_b64 s[92:93], s[28:29], s[92:93]
.LBB4_746:                              ;   in Loop: Header=BB4_747 Depth=4
	s_or_b64 exec, exec, s[30:31]
	s_and_b64 s[28:29], exec, s[92:93]
	s_or_b64 s[88:89], s[28:29], s[88:89]
	s_andn2_b64 s[28:29], s[90:91], exec
	s_and_b64 s[90:91], s[94:95], exec
	s_or_b64 s[90:91], s[28:29], s[90:91]
	s_andn2_b64 exec, exec, s[88:89]
	s_cbranch_execz .LBB4_751
.LBB4_747:                              ;   Parent Loop BB4_47 Depth=1
                                        ;     Parent Loop BB4_300 Depth=2
                                        ;       Parent Loop BB4_741 Depth=3
                                        ; =>      This Inner Loop Header: Depth=4
	s_sleep 1
	s_waitcnt vmcnt(0) lgkmcnt(0)
	flat_load_dwordx2 v[38:39], v[32:33] glc
	s_or_b64 s[94:95], s[94:95], exec
	s_or_b64 s[92:93], s[92:93], exec
                                        ; implicit-def: $vgpr3
	s_and_saveexec_b64 s[30:31], vcc
	s_cbranch_execz .LBB4_746
; %bb.748:                              ;   in Loop: Header=BB4_747 Depth=4
	s_cmpk_lt_i32 s8, 0x270f
	s_cselect_b64 s[38:39], -1, 0
	s_cmpk_gt_i32 s8, 0x270e
	s_mov_b64 s[34:35], -1
	s_cbranch_scc0 .LBB4_750
; %bb.749:                              ;   in Loop: Header=BB4_747 Depth=4
	s_trap 2
	ds_read_b64 v[3:4], v0
	s_andn2_b64 s[38:39], s[38:39], exec
	s_mov_b32 s8, 0
	s_mov_b64 s[36:37], 0
	s_waitcnt vmcnt(0) lgkmcnt(0)
	flat_load_dword v3, v[3:4] glc
	s_waitcnt vmcnt(0) lgkmcnt(0)
	buffer_wbinvl1_vol
	v_cmp_eq_u32_e64 s[28:29], 0, v3
	s_and_b64 s[28:29], s[28:29], exec
	s_or_b64 s[38:39], s[38:39], s[28:29]
	s_and_saveexec_b64 s[48:49], s[38:39]
	s_cbranch_execz .LBB4_745
	s_branch .LBB4_744
.LBB4_750:                              ;   in Loop: Header=BB4_747 Depth=4
	s_add_i32 s8, s8, 1
	s_mov_b64 s[36:37], -1
                                        ; implicit-def: $vgpr3
	s_and_saveexec_b64 s[48:49], s[38:39]
	s_cbranch_execz .LBB4_745
	s_branch .LBB4_744
.LBB4_751:                              ;   in Loop: Header=BB4_741 Depth=3
	s_or_b64 exec, exec, s[88:89]
	s_xor_b64 s[28:29], s[90:91], -1
	s_and_saveexec_b64 s[88:89], s[28:29]
	s_xor_b64 s[28:29], exec, s[88:89]
	s_cbranch_execz .LBB4_753
; %bb.752:                              ;   in Loop: Header=BB4_741 Depth=3
	v_or_b32_e32 v5, 64, v5
	s_waitcnt lgkmcnt(0)
	ds_write_b32 v0, v3
	s_trap 2
.LBB4_753:                              ;   in Loop: Header=BB4_741 Depth=3
	s_or_b64 exec, exec, s[28:29]
.LBB4_754:                              ;   in Loop: Header=BB4_741 Depth=3
	s_or_b64 exec, exec, s[78:79]
	v_and_b32_e32 v3, 0x108, v5
	v_cmp_ne_u32_e32 vcc, s56, v3
	;;#ASMSTART
	s_wakeup
	;;#ASMEND
                                        ; implicit-def: $vgpr13_vgpr14
	s_and_saveexec_b64 s[28:29], vcc
	s_xor_b64 s[28:29], exec, s[28:29]
; %bb.755:                              ;   in Loop: Header=BB4_741 Depth=3
	v_and_b32_e32 v13, 7, v46
	v_mov_b32_e32 v14, v2
                                        ; implicit-def: $vgpr46_vgpr47
; %bb.756:                              ;   in Loop: Header=BB4_741 Depth=3
	s_andn2_saveexec_b64 s[28:29], s[28:29]
	s_cbranch_execz .LBB4_758
; %bb.757:                              ;   in Loop: Header=BB4_741 Depth=3
	buffer_load_dword v14, off, s[0:3], s33 offset:148 ; 4-byte Folded Reload
	buffer_load_dword v15, off, s[0:3], s33 offset:152 ; 4-byte Folded Reload
	;; [unrolled: 1-line block ×4, first 2 shown]
	v_and_b32_e32 v13, 7, v46
	v_ashrrev_i32_e32 v9, 31, v8
	s_waitcnt vmcnt(0)
	v_mad_u64_u32 v[3:4], s[78:79], v13, 24, v[14:15]
	v_lshlrev_b64 v[15:16], 1, v[8:9]
	v_mov_b32_e32 v14, v2
	flat_store_dwordx2 v[3:4], v[15:16] offset:8
.LBB4_758:                              ;   in Loop: Header=BB4_741 Depth=3
	s_or_b64 exec, exec, s[28:29]
	v_and_b32_e32 v3, 0x100, v5
	v_cmp_ne_u32_e32 vcc, 0, v3
	s_mov_b64 s[28:29], -1
                                        ; implicit-def: $vgpr3_vgpr4
	s_and_saveexec_b64 s[78:79], vcc
	s_cbranch_execz .LBB4_762
; %bb.759:                              ;   in Loop: Header=BB4_741 Depth=3
	buffer_load_dword v15, off, s[0:3], s33 offset:148 ; 4-byte Folded Reload
	buffer_load_dword v16, off, s[0:3], s33 offset:152 ; 4-byte Folded Reload
	;; [unrolled: 1-line block ×4, first 2 shown]
	s_waitcnt vmcnt(0)
	v_mad_u64_u32 v[15:16], s[28:29], v13, 24, v[15:16]
	v_mov_b32_e32 v3, v16
	v_mad_u64_u32 v[3:4], s[28:29], v14, 24, v[3:4]
	v_mov_b32_e32 v16, v3
	flat_load_dword v3, v[15:16]
	s_waitcnt vmcnt(0) lgkmcnt(0)
	v_cmp_ne_u32_e32 vcc, 1, v3
	v_cmp_eq_u32_e64 s[28:29], 1, v3
                                        ; implicit-def: $vgpr3_vgpr4
	s_and_saveexec_b64 s[88:89], s[28:29]
	s_cbranch_execz .LBB4_761
; %bb.760:                              ;   in Loop: Header=BB4_741 Depth=3
	flat_load_dword v3, v[15:16] offset:4 glc
	s_waitcnt vmcnt(0) lgkmcnt(0)
	v_ashrrev_i32_e32 v4, 31, v3
	v_lshrrev_b64 v[3:4], 1, v[3:4]
.LBB4_761:                              ;   in Loop: Header=BB4_741 Depth=3
	s_or_b64 exec, exec, s[88:89]
	s_orn2_b64 s[28:29], vcc, exec
.LBB4_762:                              ;   in Loop: Header=BB4_741 Depth=3
	s_or_b64 exec, exec, s[78:79]
	s_and_saveexec_b64 s[78:79], s[28:29]
	s_cbranch_execz .LBB4_764
; %bb.763:                              ;   in Loop: Header=BB4_741 Depth=3
	buffer_load_dword v3, off, s[0:3], s33 offset:172 ; 4-byte Folded Reload
	buffer_load_dword v4, off, s[0:3], s33 offset:176 ; 4-byte Folded Reload
	s_waitcnt vmcnt(0)
	v_mul_lo_u32 v9, v14, v3
	v_mul_lo_u32 v14, v13, v4
	v_mad_u64_u32 v[3:4], s[28:29], v13, v3, 0
	v_add3_u32 v4, v4, v14, v9
.LBB4_764:                              ;   in Loop: Header=BB4_741 Depth=3
	s_or_b64 exec, exec, s[78:79]
	buffer_load_dword v13, off, s[0:3], s33 offset:140 ; 4-byte Folded Reload
	buffer_load_dword v14, off, s[0:3], s33 offset:144 ; 4-byte Folded Reload
	v_lshlrev_b64 v[3:4], 1, v[3:4]
	v_cmp_eq_u32_e32 vcc, 0, v0
	v_mov_b32_e32 v0, 0xc8
	v_mov_b32_e32 v9, 0x90
	v_cndmask_b32_e32 v0, v0, v9, vcc
	v_add_u32_e32 v0, v0, v0
	s_waitcnt vmcnt(0)
	v_add_co_u32_e32 v3, vcc, v13, v3
	v_addc_co_u32_e32 v4, vcc, v14, v4, vcc
	ds_write_b64 v0, v[3:4] offset:584
	v_and_b32_e32 v0, 0x2000, v5
	v_cmp_ne_u32_e32 vcc, 0, v0
	s_and_saveexec_b64 s[28:29], vcc
	s_cbranch_execz .LBB4_766
; %bb.765:                              ;   in Loop: Header=BB4_741 Depth=3
	ds_read_b64 v[3:4], v0 offset:872
	s_waitcnt lgkmcnt(0)
	v_add_co_u32_e32 v3, vcc, 1, v3
	v_addc_co_u32_e32 v4, vcc, 0, v4, vcc
	ds_write_b64 v0, v[3:4] offset:872
.LBB4_766:                              ;   in Loop: Header=BB4_741 Depth=3
	s_or_b64 exec, exec, s[28:29]
	v_mov_b32_e32 v47, v12
	v_mov_b32_e32 v46, v11
.LBB4_767:                              ;   in Loop: Header=BB4_741 Depth=3
	s_or_b64 exec, exec, s[76:77]
	s_xor_b64 s[28:29], s[44:45], -1
	s_and_b64 s[28:29], exec, s[28:29]
	s_or_b64 s[42:43], s[28:29], s[42:43]
	s_and_saveexec_b64 s[28:29], s[10:11]
	s_cbranch_execz .LBB4_786
; %bb.768:                              ;   in Loop: Header=BB4_741 Depth=3
	s_and_saveexec_b64 s[44:45], s[58:59]
	s_xor_b64 s[44:45], exec, s[44:45]
	s_cbranch_execz .LBB4_783
; %bb.769:                              ;   in Loop: Header=BB4_741 Depth=3
	s_and_saveexec_b64 s[76:77], s[16:17]
	s_cbranch_execz .LBB4_782
; %bb.770:                              ;   in Loop: Header=BB4_741 Depth=3
	s_mov_b64 s[88:89], exec
	v_mbcnt_lo_u32_b32 v0, s88, 0
	v_mbcnt_hi_u32_b32 v0, s89, v0
	v_cmp_eq_u32_e32 vcc, 0, v0
	s_waitcnt vmcnt(0) lgkmcnt(0)
	buffer_wbinvl1_vol
	s_and_saveexec_b64 s[78:79], vcc
	s_cbranch_execz .LBB4_772
; %bb.771:                              ;   in Loop: Header=BB4_741 Depth=3
	s_bcnt1_i32_b64 s8, s[88:89]
	v_mov_b32_e32 v3, s8
	v_mov_b32_e32 v4, v2
	ds_add_u64 v0, v[3:4]
	s_trap 2
.LBB4_772:                              ;   in Loop: Header=BB4_741 Depth=3
	s_or_b64 exec, exec, s[78:79]
	s_trap 2
	ds_read_b64 v[3:4], v0
	s_waitcnt lgkmcnt(0)
	v_add_co_u32_e32 v48, vcc, v48, v57
	v_addc_co_u32_e32 v49, vcc, 0, v49, vcc
	v_cmp_lt_u64_e32 vcc, v[3:4], v[48:49]
	s_and_saveexec_b64 s[78:79], vcc
	s_cbranch_execz .LBB4_781
; %bb.773:                              ;   in Loop: Header=BB4_741 Depth=3
	s_mov_b32 s8, 0
	s_mov_b64 s[88:89], 0
                                        ; implicit-def: $sgpr90_sgpr91
                                        ; implicit-def: $sgpr92_sgpr93
	s_branch .LBB4_775
.LBB4_774:                              ;   in Loop: Header=BB4_775 Depth=4
	s_or_b64 exec, exec, s[30:31]
	s_and_b64 s[94:95], exec, vcc
	s_or_b64 s[88:89], s[94:95], s[88:89]
	s_andn2_b64 s[90:91], s[90:91], exec
	s_and_b64 s[94:95], s[92:93], exec
	s_or_b64 s[90:91], s[90:91], s[94:95]
	s_andn2_b64 exec, exec, s[88:89]
	s_cbranch_execz .LBB4_779
.LBB4_775:                              ;   Parent Loop BB4_47 Depth=1
                                        ;     Parent Loop BB4_300 Depth=2
                                        ;       Parent Loop BB4_741 Depth=3
                                        ; =>      This Inner Loop Header: Depth=4
	s_add_i32 s8, s8, 1
	s_cmpk_lg_i32 s8, 0x2710
	s_cselect_b64 s[94:95], -1, 0
	s_and_b64 vcc, exec, s[94:95]
	s_cbranch_vccz .LBB4_777
; %bb.776:                              ;   in Loop: Header=BB4_775 Depth=4
	s_mov_b64 vcc, -1
	s_or_b64 s[92:93], s[92:93], exec
	s_and_saveexec_b64 s[30:31], s[94:95]
	s_cbranch_execz .LBB4_774
	s_branch .LBB4_778
.LBB4_777:                              ;   in Loop: Header=BB4_775 Depth=4
	s_trap 2
	ds_read_b64 v[3:4], v0
	s_andn2_b64 s[94:95], s[94:95], exec
	s_mov_b32 s8, 0
	s_waitcnt lgkmcnt(0)
	flat_load_dword v0, v[3:4] glc
	s_waitcnt vmcnt(0) lgkmcnt(0)
	buffer_wbinvl1_vol
	v_cmp_eq_u32_e32 vcc, 0, v0
	s_and_b64 vcc, vcc, exec
	s_or_b64 s[94:95], s[94:95], vcc
	s_mov_b64 vcc, -1
	s_or_b64 s[92:93], s[92:93], exec
	s_and_saveexec_b64 s[30:31], s[94:95]
	s_cbranch_execz .LBB4_774
.LBB4_778:                              ;   in Loop: Header=BB4_775 Depth=4
	s_sleep 1
	s_trap 2
	ds_read_b64 v[3:4], v0
	s_waitcnt lgkmcnt(0)
	s_andn2_b64 s[92:93], s[92:93], exec
	v_cmp_ge_u64_e32 vcc, v[3:4], v[48:49]
	s_orn2_b64 vcc, vcc, exec
	s_branch .LBB4_774
.LBB4_779:                              ;   in Loop: Header=BB4_741 Depth=3
	s_or_b64 exec, exec, s[88:89]
	s_and_saveexec_b64 s[88:89], s[90:91]
	s_xor_b64 s[88:89], exec, s[88:89]
	s_cbranch_execz .LBB4_781
; %bb.780:                              ;   in Loop: Header=BB4_741 Depth=3
	v_mov_b32_e32 v0, 1
	ds_write_b32 v0, v0
	s_trap 2
.LBB4_781:                              ;   in Loop: Header=BB4_741 Depth=3
	s_or_b64 exec, exec, s[78:79]
	;;#ASMSTART
	s_wakeup
	;;#ASMEND
.LBB4_782:                              ;   in Loop: Header=BB4_741 Depth=3
	s_or_b64 exec, exec, s[76:77]
.LBB4_783:                              ;   in Loop: Header=BB4_741 Depth=3
	s_andn2_saveexec_b64 s[44:45], s[44:45]
	s_cbranch_execz .LBB4_785
; %bb.784:                              ;   in Loop: Header=BB4_741 Depth=3
	s_waitcnt vmcnt(0) lgkmcnt(0)
	buffer_wbinvl1_vol
	s_barrier
.LBB4_785:                              ;   in Loop: Header=BB4_741 Depth=3
	s_or_b64 exec, exec, s[44:45]
.LBB4_786:                              ;   in Loop: Header=BB4_741 Depth=3
	s_or_b64 exec, exec, s[28:29]
                                        ; implicit-def: $vgpr0
	s_and_saveexec_b64 s[28:29], s[72:73]
	s_xor_b64 s[28:29], exec, s[28:29]
	s_cbranch_execz .LBB4_798
; %bb.787:                              ;   in Loop: Header=BB4_741 Depth=3
	s_and_saveexec_b64 s[44:45], s[58:59]
	s_xor_b64 s[44:45], exec, s[44:45]
	s_cbranch_execz .LBB4_803
; %bb.788:                              ;   in Loop: Header=BB4_741 Depth=3
	s_and_saveexec_b64 s[76:77], s[16:17]
	s_cbranch_execz .LBB4_802
; %bb.789:                              ;   in Loop: Header=BB4_741 Depth=3
	s_mov_b64 s[88:89], exec
	v_mbcnt_lo_u32_b32 v0, s88, 0
	v_mbcnt_hi_u32_b32 v0, s89, v0
	v_cmp_eq_u32_e32 vcc, 0, v0
	;;#ASMSTART
	s_waitcnt lgkmcnt(0) vmcnt(0)
	;;#ASMEND
	s_and_saveexec_b64 s[78:79], vcc
	s_cbranch_execz .LBB4_791
; %bb.790:                              ;   in Loop: Header=BB4_741 Depth=3
	s_bcnt1_i32_b64 s8, s[88:89]
	v_mov_b32_e32 v3, s8
	v_mov_b32_e32 v4, v2
	s_waitcnt lgkmcnt(0)
	ds_add_u64 v0, v[3:4]
	s_trap 2
.LBB4_791:                              ;   in Loop: Header=BB4_741 Depth=3
	s_or_b64 exec, exec, s[78:79]
	s_trap 2
	ds_read_b64 v[3:4], v0
	s_waitcnt lgkmcnt(0)
	v_add_co_u32_e32 v48, vcc, v48, v57
	v_addc_co_u32_e32 v49, vcc, 0, v49, vcc
	v_cmp_lt_u64_e32 vcc, v[3:4], v[48:49]
	s_and_saveexec_b64 s[78:79], vcc
	s_cbranch_execz .LBB4_801
; %bb.792:                              ;   in Loop: Header=BB4_741 Depth=3
	s_mov_b32 s8, 0
	s_mov_b64 s[88:89], 0
                                        ; implicit-def: $sgpr90_sgpr91
                                        ; implicit-def: $sgpr92_sgpr93
	s_branch .LBB4_794
.LBB4_793:                              ;   in Loop: Header=BB4_794 Depth=4
	s_or_b64 exec, exec, s[30:31]
	s_and_b64 s[94:95], exec, vcc
	s_or_b64 s[88:89], s[94:95], s[88:89]
	s_andn2_b64 s[90:91], s[90:91], exec
	s_and_b64 s[94:95], s[92:93], exec
	s_or_b64 s[90:91], s[90:91], s[94:95]
	s_andn2_b64 exec, exec, s[88:89]
	s_cbranch_execz .LBB4_799
.LBB4_794:                              ;   Parent Loop BB4_47 Depth=1
                                        ;     Parent Loop BB4_300 Depth=2
                                        ;       Parent Loop BB4_741 Depth=3
                                        ; =>      This Inner Loop Header: Depth=4
	s_add_i32 s8, s8, 1
	s_cmpk_lg_i32 s8, 0x2710
	s_cselect_b64 s[94:95], -1, 0
	s_and_b64 vcc, exec, s[94:95]
	s_cbranch_vccz .LBB4_796
; %bb.795:                              ;   in Loop: Header=BB4_794 Depth=4
	s_mov_b64 vcc, -1
	s_or_b64 s[92:93], s[92:93], exec
	s_and_saveexec_b64 s[30:31], s[94:95]
	s_cbranch_execz .LBB4_793
	s_branch .LBB4_797
.LBB4_796:                              ;   in Loop: Header=BB4_794 Depth=4
	s_trap 2
	ds_read_b64 v[3:4], v0
	s_andn2_b64 s[94:95], s[94:95], exec
	s_mov_b32 s8, 0
	s_waitcnt vmcnt(0) lgkmcnt(0)
	flat_load_dword v0, v[3:4] glc
	s_waitcnt vmcnt(0) lgkmcnt(0)
	buffer_wbinvl1_vol
	v_cmp_eq_u32_e32 vcc, 0, v0
	s_and_b64 vcc, vcc, exec
	s_or_b64 s[94:95], s[94:95], vcc
	s_mov_b64 vcc, -1
	s_or_b64 s[92:93], s[92:93], exec
	s_and_saveexec_b64 s[30:31], s[94:95]
	s_cbranch_execz .LBB4_793
.LBB4_797:                              ;   in Loop: Header=BB4_794 Depth=4
	s_sleep 1
	s_trap 2
	ds_read_b64 v[3:4], v0
	s_waitcnt lgkmcnt(0)
	s_andn2_b64 s[92:93], s[92:93], exec
	v_cmp_ge_u64_e32 vcc, v[3:4], v[48:49]
	s_orn2_b64 vcc, vcc, exec
	s_branch .LBB4_793
.LBB4_798:                              ;   in Loop: Header=BB4_741 Depth=3
	s_andn2_saveexec_b64 s[28:29], s[28:29]
	s_cbranch_execnz .LBB4_806
	s_branch .LBB4_809
.LBB4_799:                              ;   in Loop: Header=BB4_741 Depth=3
	s_or_b64 exec, exec, s[88:89]
	s_and_saveexec_b64 s[88:89], s[90:91]
	s_xor_b64 s[88:89], exec, s[88:89]
	s_cbranch_execz .LBB4_801
; %bb.800:                              ;   in Loop: Header=BB4_741 Depth=3
	v_mov_b32_e32 v0, 1
	ds_write_b32 v0, v0
	s_trap 2
.LBB4_801:                              ;   in Loop: Header=BB4_741 Depth=3
	s_or_b64 exec, exec, s[78:79]
	;;#ASMSTART
	s_wakeup
	;;#ASMEND
.LBB4_802:                              ;   in Loop: Header=BB4_741 Depth=3
	s_or_b64 exec, exec, s[76:77]
.LBB4_803:                              ;   in Loop: Header=BB4_741 Depth=3
	s_andn2_saveexec_b64 s[44:45], s[44:45]
	s_cbranch_execz .LBB4_805
; %bb.804:                              ;   in Loop: Header=BB4_741 Depth=3
	;;#ASMSTART
	s_waitcnt lgkmcnt(0) vmcnt(0)
	;;#ASMEND
	s_waitcnt vmcnt(0) lgkmcnt(0)
	s_barrier
.LBB4_805:                              ;   in Loop: Header=BB4_741 Depth=3
	s_or_b64 exec, exec, s[44:45]
	v_and_b32_e32 v0, 16, v5
	s_andn2_saveexec_b64 s[28:29], s[28:29]
	s_cbranch_execz .LBB4_809
.LBB4_806:                              ;   in Loop: Header=BB4_741 Depth=3
	s_trap 2
	ds_read_b32 v0, v0
	v_cmp_lt_i32_e32 vcc, 0, v8
	v_and_b32_e32 v3, 16, v5
	s_waitcnt lgkmcnt(0)
	v_readfirstlane_b32 s8, v0
	s_cmp_eq_u32 s8, 0
	s_cselect_b64 s[44:45], -1, 0
	s_and_b64 s[44:45], vcc, s[44:45]
	v_cmp_ne_u32_e32 vcc, 0, v3
	v_and_b32_e32 v0, 16, v5
	s_and_b64 s[76:77], vcc, s[44:45]
	s_and_saveexec_b64 s[44:45], s[76:77]
	s_cbranch_execz .LBB4_808
; %bb.807:                              ;   in Loop: Header=BB4_741 Depth=3
	v_mov_b32_e32 v0, 1
	s_waitcnt vmcnt(0)
	buffer_wbinvl1_vol
.LBB4_808:                              ;   in Loop: Header=BB4_741 Depth=3
	s_or_b64 exec, exec, s[44:45]
.LBB4_809:                              ;   in Loop: Header=BB4_741 Depth=3
	s_or_b64 exec, exec, s[28:29]
	v_cmp_ne_u32_e32 vcc, 0, v0
	s_xor_b64 s[28:29], s[12:13], -1
	s_and_b64 s[44:45], vcc, s[28:29]
	s_and_saveexec_b64 s[28:29], s[44:45]
	s_cbranch_execz .LBB4_811
; %bb.810:                              ;   in Loop: Header=BB4_741 Depth=3
	buffer_load_dword v3, off, s[0:3], s33 offset:164 ; 4-byte Folded Reload
	buffer_load_dword v4, off, s[0:3], s33 offset:168 ; 4-byte Folded Reload
	v_mov_b32_e32 v0, 1
	s_waitcnt vmcnt(0)
	flat_store_dword v[3:4], v0
.LBB4_811:                              ;   in Loop: Header=BB4_741 Depth=3
	s_or_b64 exec, exec, s[28:29]
	v_and_b32_e32 v0, 48, v5
	v_cmp_ne_u32_e32 vcc, 0, v0
	s_and_saveexec_b64 s[28:29], vcc
	s_cbranch_execz .LBB4_740
; %bb.812:                              ;   in Loop: Header=BB4_741 Depth=3
	v_add_co_u32_e32 v46, vcc, 2, v46
	v_addc_co_u32_e32 v47, vcc, 0, v47, vcc
	flat_store_dwordx2 v[32:33], v[46:47]
	s_branch .LBB4_740
.LBB4_813:                              ;   in Loop: Header=BB4_47 Depth=1
	buffer_load_dword v10, off, s[0:3], s33 offset:224 ; 4-byte Folded Reload
	buffer_load_dword v11, off, s[0:3], s33 offset:228 ; 4-byte Folded Reload
	v_mov_b32_e32 v14, 0
	s_waitcnt vmcnt(0)
	v_mul_lo_u32 v8, v10, s51
	v_mul_lo_u32 v0, v11, s50
	v_mad_u64_u32 v[3:4], s[8:9], v10, s50, 0
	v_add3_u32 v4, v4, v8, v0
	buffer_load_dword v8, off, s[0:3], s33 offset:216 ; 4-byte Folded Reload
	buffer_load_dword v9, off, s[0:3], s33 offset:220 ; 4-byte Folded Reload
	v_mov_b32_e32 v0, 0
	s_waitcnt vmcnt(0)
	v_sub_co_u32_e32 v8, vcc, v8, v3
	v_subb_co_u32_e32 v9, vcc, v9, v4, vcc
	v_cmp_lt_i64_e32 vcc, v[10:11], v[8:9]
	v_cndmask_b32_e32 v8, v8, v10, vcc
	v_max_i32_e32 v58, 0, v8
	v_add_u32_e32 v9, 31, v58
	v_lshrrev_b32_e32 v9, 1, v9
	v_and_b32_e32 v9, 0x3ffffff0, v9
	v_cmp_lt_i32_e32 vcc, 0, v8
	v_max_i32_e32 v12, s66, v9
	s_and_b64 s[8:9], s[74:75], vcc
	s_and_saveexec_b64 s[76:77], s[8:9]
	s_cbranch_execz .LBB4_1590
; %bb.814:                              ;   in Loop: Header=BB4_47 Depth=1
	buffer_load_dword v8, off, s[0:3], s33 offset:192 ; 4-byte Folded Reload
	buffer_load_dword v9, off, s[0:3], s33 offset:196 ; 4-byte Folded Reload
	s_mov_b32 s53, 1
	s_mov_b64 s[88:89], -1
	v_mov_b32_e32 v14, 0
	s_mov_b64 s[78:79], 0
	buffer_store_dword v58, off, s[0:3], s33 offset:256 ; 4-byte Folded Spill
	s_waitcnt vmcnt(0)
	v_add_co_u32_e32 v3, vcc, v3, v8
	v_addc_co_u32_e32 v4, vcc, v4, v9, vcc
	v_lshlrev_b64 v[16:17], 1, v[3:4]
	s_branch .LBB4_816
.LBB4_815:                              ;   in Loop: Header=BB4_816 Depth=2
	s_or_b64 exec, exec, s[28:29]
	v_add_u32_e32 v14, v12, v14
	v_cmp_ge_i32_e32 vcc, v14, v58
	s_xor_b64 s[8:9], s[88:89], -1
	s_or_b64 s[8:9], s[8:9], vcc
	s_and_b64 s[8:9], exec, s[8:9]
	s_or_b64 s[78:79], s[8:9], s[78:79]
	s_mov_b64 s[88:89], 0
	v_mov_b32_e32 v0, s53
	s_mov_b32 s53, 2
	s_andn2_b64 exec, exec, s[78:79]
	s_cbranch_execz .LBB4_1665
.LBB4_816:                              ;   Parent Loop BB4_47 Depth=1
                                        ; =>  This Loop Header: Depth=2
                                        ;       Child Loop BB4_824 Depth 3
                                        ;       Child Loop BB4_852 Depth 3
	;; [unrolled: 1-line block ×4, first 2 shown]
                                        ;         Child Loop BB4_895 Depth 4
                                        ;         Child Loop BB4_930 Depth 4
                                        ;         Child Loop BB4_934 Depth 4
                                        ;         Child Loop BB4_968 Depth 4
                                        ;       Child Loop BB4_1009 Depth 3
                                        ;       Child Loop BB4_1014 Depth 3
                                        ;         Child Loop BB4_1015 Depth 4
                                        ;         Child Loop BB4_1050 Depth 4
	;; [unrolled: 1-line block ×4, first 2 shown]
                                        ;       Child Loop BB4_1126 Depth 3
                                        ;       Child Loop BB4_1134 Depth 3
	;; [unrolled: 1-line block ×3, first 2 shown]
                                        ;         Child Loop BB4_1196 Depth 4
                                        ;         Child Loop BB4_1203 Depth 4
                                        ;         Child Loop BB4_1207 Depth 4
                                        ;         Child Loop BB4_1213 Depth 4
                                        ;       Child Loop BB4_1222 Depth 3
                                        ;       Child Loop BB4_1234 Depth 3
                                        ;         Child Loop BB4_1235 Depth 4
                                        ;         Child Loop BB4_1272 Depth 4
                                        ;       Child Loop BB4_1349 Depth 3
                                        ;         Child Loop BB4_1350 Depth 4
                                        ;         Child Loop BB4_1387 Depth 4
                                        ;       Child Loop BB4_1464 Depth 3
                                        ;       Child Loop BB4_1523 Depth 3
                                        ;         Child Loop BB4_1524 Depth 4
                                        ;         Child Loop BB4_1533 Depth 4
                                        ;       Child Loop BB4_1552 Depth 3
                                        ;       Child Loop BB4_1575 Depth 3
	s_and_saveexec_b64 s[28:29], s[4:5]
	s_cbranch_execz .LBB4_818
; %bb.817:                              ;   in Loop: Header=BB4_816 Depth=2
	s_trap 2
	s_waitcnt lgkmcnt(0)
	ds_read2_b64 v[8:11], v0 offset1:1
	v_ashrrev_i32_e32 v15, 31, v14
	v_lshlrev_b64 v[3:4], 1, v[14:15]
	s_waitcnt lgkmcnt(0)
	v_add_co_u32_e32 v0, vcc, v8, v16
	v_addc_co_u32_e32 v9, vcc, v9, v17, vcc
	v_add_co_u32_e32 v8, vcc, v0, v3
	v_addc_co_u32_e32 v9, vcc, v9, v4, vcc
	ds_write_b64 v0, v[8:9]
	v_add_co_u32_e32 v0, vcc, v10, v16
	v_addc_co_u32_e32 v9, vcc, v11, v17, vcc
	v_add_co_u32_e32 v8, vcc, v0, v3
	v_addc_co_u32_e32 v9, vcc, v9, v4, vcc
	ds_write_b64 v0, v[8:9]
	ds_read_b64 v[8:9], v0
	s_waitcnt lgkmcnt(0)
	v_add_co_u32_e32 v0, vcc, v8, v16
	v_addc_co_u32_e32 v10, vcc, v9, v17, vcc
	v_add_co_u32_e32 v0, vcc, v0, v3
	v_addc_co_u32_e32 v3, vcc, v10, v4, vcc
	v_cmp_ne_u64_e32 vcc, 0, v[8:9]
	v_cndmask_b32_e32 v4, 0, v3, vcc
	v_cndmask_b32_e32 v3, 0, v0, vcc
	ds_write_b64 v0, v[3:4]
.LBB4_818:                              ;   in Loop: Header=BB4_816 Depth=2
	s_or_b64 exec, exec, s[28:29]
	v_sub_u32_e32 v0, v58, v14
	v_min_i32_e32 v12, v12, v0
	v_and_b32_e32 v0, 12, v5
	v_cmp_ne_u32_e32 vcc, 0, v0
	s_and_saveexec_b64 s[40:41], vcc
	s_cbranch_execz .LBB4_844
; %bb.819:                              ;   in Loop: Header=BB4_816 Depth=2
	v_and_b32_e32 v0, 8, v5
	s_waitcnt lgkmcnt(0)
	v_add_co_u32_e32 v3, vcc, v38, v0
	v_addc_co_u32_e32 v4, vcc, 0, v39, vcc
	v_add_co_u32_e32 v8, vcc, 2, v46
	v_addc_co_u32_e32 v9, vcc, 0, v47, vcc
	v_cmp_lt_u64_e32 vcc, v[3:4], v[8:9]
	s_and_saveexec_b64 s[42:43], vcc
	s_cbranch_execz .LBB4_831
; %bb.820:                              ;   in Loop: Header=BB4_816 Depth=2
	v_and_b32_e32 v3, 64, v5
	s_mov_b32 s8, 0
	v_cmp_eq_u32_e32 vcc, 0, v3
	s_mov_b64 s[44:45], 0
                                        ; implicit-def: $sgpr90_sgpr91
                                        ; implicit-def: $sgpr92_sgpr93
                                        ; implicit-def: $sgpr94_sgpr95
	s_branch .LBB4_824
.LBB4_821:                              ;   in Loop: Header=BB4_824 Depth=3
	s_waitcnt vmcnt(0) lgkmcnt(0)
	v_add_co_u32_e64 v10, s[28:29], v38, v0
	v_addc_co_u32_e64 v11, s[28:29], 0, v39, s[28:29]
	v_cmp_ge_u64_e64 s[28:29], v[10:11], v[8:9]
	s_or_b64 s[36:37], s[36:37], exec
	s_orn2_b64 s[34:35], s[28:29], exec
.LBB4_822:                              ;   in Loop: Header=BB4_824 Depth=3
	s_or_b64 exec, exec, s[48:49]
	s_andn2_b64 s[28:29], s[94:95], exec
	s_and_b64 s[94:95], s[36:37], exec
	s_or_b64 s[94:95], s[28:29], s[94:95]
	s_andn2_b64 s[28:29], s[92:93], exec
	s_and_b64 s[92:93], s[34:35], exec
	s_or_b64 s[92:93], s[28:29], s[92:93]
.LBB4_823:                              ;   in Loop: Header=BB4_824 Depth=3
	s_or_b64 exec, exec, s[30:31]
	s_and_b64 s[28:29], exec, s[92:93]
	s_or_b64 s[44:45], s[28:29], s[44:45]
	s_andn2_b64 s[28:29], s[90:91], exec
	s_and_b64 s[90:91], s[94:95], exec
	s_or_b64 s[90:91], s[28:29], s[90:91]
	s_andn2_b64 exec, exec, s[44:45]
	s_cbranch_execz .LBB4_828
.LBB4_824:                              ;   Parent Loop BB4_47 Depth=1
                                        ;     Parent Loop BB4_816 Depth=2
                                        ; =>    This Inner Loop Header: Depth=3
	s_sleep 1
	s_waitcnt vmcnt(0) lgkmcnt(0)
	flat_load_dwordx2 v[38:39], v[32:33] glc
	s_or_b64 s[94:95], s[94:95], exec
	s_or_b64 s[92:93], s[92:93], exec
                                        ; implicit-def: $vgpr3
	s_and_saveexec_b64 s[30:31], vcc
	s_cbranch_execz .LBB4_823
; %bb.825:                              ;   in Loop: Header=BB4_824 Depth=3
	s_cmpk_lt_i32 s8, 0x270f
	s_cselect_b64 s[38:39], -1, 0
	s_cmpk_gt_i32 s8, 0x270e
	s_mov_b64 s[34:35], -1
	s_cbranch_scc0 .LBB4_827
; %bb.826:                              ;   in Loop: Header=BB4_824 Depth=3
	s_trap 2
	ds_read_b64 v[3:4], v0
	s_andn2_b64 s[38:39], s[38:39], exec
	s_mov_b32 s8, 0
	s_mov_b64 s[36:37], 0
	s_waitcnt vmcnt(0) lgkmcnt(0)
	flat_load_dword v3, v[3:4] glc
	s_waitcnt vmcnt(0) lgkmcnt(0)
	buffer_wbinvl1_vol
	v_cmp_eq_u32_e64 s[28:29], 0, v3
	s_and_b64 s[28:29], s[28:29], exec
	s_or_b64 s[38:39], s[38:39], s[28:29]
	s_and_saveexec_b64 s[48:49], s[38:39]
	s_cbranch_execz .LBB4_822
	s_branch .LBB4_821
.LBB4_827:                              ;   in Loop: Header=BB4_824 Depth=3
	s_add_i32 s8, s8, 1
	s_mov_b64 s[36:37], -1
                                        ; implicit-def: $vgpr3
	s_and_saveexec_b64 s[48:49], s[38:39]
	s_cbranch_execz .LBB4_822
	s_branch .LBB4_821
.LBB4_828:                              ;   in Loop: Header=BB4_816 Depth=2
	s_or_b64 exec, exec, s[44:45]
	s_xor_b64 s[8:9], s[90:91], -1
	s_and_saveexec_b64 s[28:29], s[8:9]
	s_xor_b64 s[28:29], exec, s[28:29]
	s_cbranch_execz .LBB4_830
; %bb.829:                              ;   in Loop: Header=BB4_816 Depth=2
	v_or_b32_e32 v5, 64, v5
	s_waitcnt lgkmcnt(0)
	ds_write_b32 v0, v3
	s_trap 2
.LBB4_830:                              ;   in Loop: Header=BB4_816 Depth=2
	s_or_b64 exec, exec, s[28:29]
.LBB4_831:                              ;   in Loop: Header=BB4_816 Depth=2
	s_or_b64 exec, exec, s[42:43]
	v_and_b32_e32 v3, 0x108, v5
	v_cmp_ne_u32_e32 vcc, s56, v3
	;;#ASMSTART
	s_wakeup
	;;#ASMEND
                                        ; implicit-def: $vgpr10_vgpr11
	s_and_saveexec_b64 s[8:9], vcc
	s_xor_b64 s[28:29], exec, s[8:9]
; %bb.832:                              ;   in Loop: Header=BB4_816 Depth=2
	v_and_b32_e32 v10, 7, v46
	v_mov_b32_e32 v11, v2
                                        ; implicit-def: $vgpr46_vgpr47
; %bb.833:                              ;   in Loop: Header=BB4_816 Depth=2
	s_andn2_saveexec_b64 s[28:29], s[28:29]
	s_cbranch_execz .LBB4_835
; %bb.834:                              ;   in Loop: Header=BB4_816 Depth=2
	buffer_load_dword v18, off, s[0:3], s33 offset:148 ; 4-byte Folded Reload
	buffer_load_dword v19, off, s[0:3], s33 offset:152 ; 4-byte Folded Reload
	;; [unrolled: 1-line block ×4, first 2 shown]
	v_and_b32_e32 v10, 7, v46
	v_ashrrev_i32_e32 v13, 31, v12
	v_mov_b32_e32 v11, v2
	s_waitcnt vmcnt(0)
	v_mad_u64_u32 v[3:4], s[8:9], v10, 24, v[18:19]
	v_lshlrev_b64 v[18:19], 1, v[12:13]
	flat_store_dwordx2 v[3:4], v[18:19] offset:8
.LBB4_835:                              ;   in Loop: Header=BB4_816 Depth=2
	s_or_b64 exec, exec, s[28:29]
	v_and_b32_e32 v3, 0x100, v5
	v_cmp_ne_u32_e32 vcc, 0, v3
	s_mov_b64 s[28:29], -1
                                        ; implicit-def: $vgpr3_vgpr4
	s_and_saveexec_b64 s[42:43], vcc
	s_cbranch_execz .LBB4_839
; %bb.836:                              ;   in Loop: Header=BB4_816 Depth=2
	buffer_load_dword v18, off, s[0:3], s33 offset:148 ; 4-byte Folded Reload
	buffer_load_dword v19, off, s[0:3], s33 offset:152 ; 4-byte Folded Reload
	;; [unrolled: 1-line block ×4, first 2 shown]
	s_waitcnt vmcnt(0)
	v_mad_u64_u32 v[18:19], s[8:9], v10, 24, v[18:19]
	v_mov_b32_e32 v3, v19
	v_mad_u64_u32 v[3:4], s[8:9], v11, 24, v[3:4]
	v_mov_b32_e32 v19, v3
	flat_load_dword v3, v[18:19]
	s_waitcnt vmcnt(0) lgkmcnt(0)
	v_cmp_ne_u32_e32 vcc, 1, v3
	v_cmp_eq_u32_e64 s[28:29], 1, v3
                                        ; implicit-def: $vgpr3_vgpr4
	s_and_saveexec_b64 s[44:45], s[28:29]
	s_cbranch_execz .LBB4_838
; %bb.837:                              ;   in Loop: Header=BB4_816 Depth=2
	flat_load_dword v3, v[18:19] offset:4 glc
	s_waitcnt vmcnt(0) lgkmcnt(0)
	v_ashrrev_i32_e32 v4, 31, v3
	v_lshrrev_b64 v[3:4], 1, v[3:4]
.LBB4_838:                              ;   in Loop: Header=BB4_816 Depth=2
	s_or_b64 exec, exec, s[44:45]
	s_orn2_b64 s[28:29], vcc, exec
.LBB4_839:                              ;   in Loop: Header=BB4_816 Depth=2
	s_or_b64 exec, exec, s[42:43]
	s_and_saveexec_b64 s[42:43], s[28:29]
	s_cbranch_execz .LBB4_841
; %bb.840:                              ;   in Loop: Header=BB4_816 Depth=2
	buffer_load_dword v3, off, s[0:3], s33 offset:172 ; 4-byte Folded Reload
	buffer_load_dword v4, off, s[0:3], s33 offset:176 ; 4-byte Folded Reload
	s_waitcnt vmcnt(0)
	v_mul_lo_u32 v11, v11, v3
	v_mul_lo_u32 v13, v10, v4
	v_mad_u64_u32 v[3:4], s[8:9], v10, v3, 0
	v_add3_u32 v4, v4, v13, v11
.LBB4_841:                              ;   in Loop: Header=BB4_816 Depth=2
	s_or_b64 exec, exec, s[42:43]
	v_cmp_eq_u32_e32 vcc, 0, v0
	v_mov_b32_e32 v0, 0x90
	v_mov_b32_e32 v10, 0xd0
	v_cndmask_b32_e32 v0, v10, v0, vcc
	buffer_load_dword v10, off, s[0:3], s33 offset:140 ; 4-byte Folded Reload
	buffer_load_dword v11, off, s[0:3], s33 offset:144 ; 4-byte Folded Reload
	v_lshlrev_b64 v[3:4], 1, v[3:4]
	v_add_u32_e32 v0, v0, v0
	s_waitcnt vmcnt(0)
	v_add_co_u32_e32 v3, vcc, v10, v3
	v_addc_co_u32_e32 v4, vcc, v11, v4, vcc
	ds_write_b64 v0, v[3:4] offset:584
	v_and_b32_e32 v0, 0x2000, v5
	v_cmp_ne_u32_e32 vcc, 0, v0
	s_and_saveexec_b64 s[28:29], vcc
	s_cbranch_execz .LBB4_843
; %bb.842:                              ;   in Loop: Header=BB4_816 Depth=2
	ds_read_b64 v[3:4], v0 offset:872
	s_waitcnt lgkmcnt(0)
	v_add_co_u32_e32 v3, vcc, 1, v3
	v_addc_co_u32_e32 v4, vcc, 0, v4, vcc
	ds_write_b64 v0, v[3:4] offset:872
.LBB4_843:                              ;   in Loop: Header=BB4_816 Depth=2
	s_or_b64 exec, exec, s[28:29]
	v_mov_b32_e32 v47, v9
	v_mov_b32_e32 v46, v8
.LBB4_844:                              ;   in Loop: Header=BB4_816 Depth=2
	s_or_b64 exec, exec, s[40:41]
	s_and_saveexec_b64 s[28:29], s[10:11]
	s_cbranch_execz .LBB4_863
; %bb.845:                              ;   in Loop: Header=BB4_816 Depth=2
	s_and_saveexec_b64 s[8:9], s[58:59]
	s_xor_b64 s[40:41], exec, s[8:9]
	s_cbranch_execz .LBB4_860
; %bb.846:                              ;   in Loop: Header=BB4_816 Depth=2
	s_and_saveexec_b64 s[42:43], s[16:17]
	s_cbranch_execz .LBB4_859
; %bb.847:                              ;   in Loop: Header=BB4_816 Depth=2
	s_mov_b64 s[90:91], exec
	v_mbcnt_lo_u32_b32 v0, s90, 0
	v_mbcnt_hi_u32_b32 v0, s91, v0
	v_cmp_eq_u32_e32 vcc, 0, v0
	s_waitcnt vmcnt(0) lgkmcnt(0)
	buffer_wbinvl1_vol
	s_and_saveexec_b64 s[44:45], vcc
	s_cbranch_execz .LBB4_849
; %bb.848:                              ;   in Loop: Header=BB4_816 Depth=2
	s_bcnt1_i32_b64 s8, s[90:91]
	v_mov_b32_e32 v3, s8
	v_mov_b32_e32 v4, v2
	ds_add_u64 v0, v[3:4]
	s_trap 2
.LBB4_849:                              ;   in Loop: Header=BB4_816 Depth=2
	s_or_b64 exec, exec, s[44:45]
	s_trap 2
	ds_read_b64 v[3:4], v0
	s_waitcnt lgkmcnt(0)
	v_add_co_u32_e32 v48, vcc, v48, v57
	v_addc_co_u32_e32 v49, vcc, 0, v49, vcc
	v_cmp_lt_u64_e32 vcc, v[3:4], v[48:49]
	s_and_saveexec_b64 s[44:45], vcc
	s_cbranch_execz .LBB4_858
; %bb.850:                              ;   in Loop: Header=BB4_816 Depth=2
	s_mov_b32 s8, 0
	s_mov_b64 s[90:91], 0
                                        ; implicit-def: $sgpr92_sgpr93
                                        ; implicit-def: $sgpr94_sgpr95
	s_branch .LBB4_852
.LBB4_851:                              ;   in Loop: Header=BB4_852 Depth=3
	s_or_b64 exec, exec, s[34:35]
	s_and_b64 vcc, exec, vcc
	s_or_b64 s[90:91], vcc, s[90:91]
	s_andn2_b64 s[92:93], s[92:93], exec
	s_and_b64 vcc, s[94:95], exec
	s_or_b64 s[92:93], s[92:93], vcc
	s_andn2_b64 exec, exec, s[90:91]
	s_cbranch_execz .LBB4_856
.LBB4_852:                              ;   Parent Loop BB4_47 Depth=1
                                        ;     Parent Loop BB4_816 Depth=2
                                        ; =>    This Inner Loop Header: Depth=3
	s_add_i32 s8, s8, 1
	s_cmpk_lg_i32 s8, 0x2710
	s_cselect_b64 s[30:31], -1, 0
	s_and_b64 vcc, exec, s[30:31]
	s_cbranch_vccz .LBB4_854
; %bb.853:                              ;   in Loop: Header=BB4_852 Depth=3
	s_mov_b64 vcc, -1
	s_or_b64 s[94:95], s[94:95], exec
	s_and_saveexec_b64 s[34:35], s[30:31]
	s_cbranch_execz .LBB4_851
	s_branch .LBB4_855
.LBB4_854:                              ;   in Loop: Header=BB4_852 Depth=3
	s_trap 2
	ds_read_b64 v[3:4], v0
	s_andn2_b64 s[30:31], s[30:31], exec
	s_mov_b32 s8, 0
	s_waitcnt lgkmcnt(0)
	flat_load_dword v0, v[3:4] glc
	s_waitcnt vmcnt(0) lgkmcnt(0)
	buffer_wbinvl1_vol
	v_cmp_eq_u32_e32 vcc, 0, v0
	s_and_b64 vcc, vcc, exec
	s_or_b64 s[30:31], s[30:31], vcc
	s_mov_b64 vcc, -1
	s_or_b64 s[94:95], s[94:95], exec
	s_and_saveexec_b64 s[34:35], s[30:31]
	s_cbranch_execz .LBB4_851
.LBB4_855:                              ;   in Loop: Header=BB4_852 Depth=3
	s_sleep 1
	s_trap 2
	ds_read_b64 v[3:4], v0
	s_waitcnt lgkmcnt(0)
	s_andn2_b64 s[94:95], s[94:95], exec
	v_cmp_ge_u64_e32 vcc, v[3:4], v[48:49]
	s_orn2_b64 vcc, vcc, exec
	s_branch .LBB4_851
.LBB4_856:                              ;   in Loop: Header=BB4_816 Depth=2
	s_or_b64 exec, exec, s[90:91]
	s_and_saveexec_b64 s[8:9], s[92:93]
	s_xor_b64 s[8:9], exec, s[8:9]
	s_cbranch_execz .LBB4_858
; %bb.857:                              ;   in Loop: Header=BB4_816 Depth=2
	v_mov_b32_e32 v0, 1
	ds_write_b32 v0, v0
	s_trap 2
.LBB4_858:                              ;   in Loop: Header=BB4_816 Depth=2
	s_or_b64 exec, exec, s[44:45]
	;;#ASMSTART
	s_wakeup
	;;#ASMEND
.LBB4_859:                              ;   in Loop: Header=BB4_816 Depth=2
	s_or_b64 exec, exec, s[42:43]
.LBB4_860:                              ;   in Loop: Header=BB4_816 Depth=2
	s_andn2_saveexec_b64 s[40:41], s[40:41]
	s_cbranch_execz .LBB4_862
; %bb.861:                              ;   in Loop: Header=BB4_816 Depth=2
	s_waitcnt vmcnt(0) lgkmcnt(0)
	buffer_wbinvl1_vol
	s_barrier
.LBB4_862:                              ;   in Loop: Header=BB4_816 Depth=2
	s_or_b64 exec, exec, s[40:41]
.LBB4_863:                              ;   in Loop: Header=BB4_816 Depth=2
	s_or_b64 exec, exec, s[28:29]
	s_trap 2
	ds_read_b32 v0, v0
	v_and_b32_e32 v3, 0x4000, v5
	v_cmp_ne_u32_e32 vcc, 0, v3
	s_xor_b64 s[8:9], s[6:7], -1
	s_and_b64 s[8:9], s[8:9], vcc
	s_and_saveexec_b64 s[28:29], s[8:9]
	s_cbranch_execz .LBB4_882
; %bb.864:                              ;   in Loop: Header=BB4_816 Depth=2
	s_and_saveexec_b64 s[8:9], s[58:59]
	s_xor_b64 s[40:41], exec, s[8:9]
	s_cbranch_execz .LBB4_879
; %bb.865:                              ;   in Loop: Header=BB4_816 Depth=2
	s_and_saveexec_b64 s[42:43], s[16:17]
	s_cbranch_execz .LBB4_878
; %bb.866:                              ;   in Loop: Header=BB4_816 Depth=2
	s_mov_b64 s[90:91], exec
	v_mbcnt_lo_u32_b32 v3, s90, 0
	v_mbcnt_hi_u32_b32 v3, s91, v3
	v_cmp_eq_u32_e32 vcc, 0, v3
	s_waitcnt vmcnt(0) lgkmcnt(0)
	buffer_wbinvl1_vol
	s_and_saveexec_b64 s[44:45], vcc
	s_cbranch_execz .LBB4_868
; %bb.867:                              ;   in Loop: Header=BB4_816 Depth=2
	s_bcnt1_i32_b64 s8, s[90:91]
	v_mov_b32_e32 v3, s8
	v_mov_b32_e32 v4, v2
	ds_add_u64 v0, v[3:4]
	s_trap 2
.LBB4_868:                              ;   in Loop: Header=BB4_816 Depth=2
	s_or_b64 exec, exec, s[44:45]
	s_trap 2
	ds_read_b64 v[3:4], v0
	s_waitcnt lgkmcnt(0)
	v_add_co_u32_e32 v48, vcc, v48, v57
	v_addc_co_u32_e32 v49, vcc, 0, v49, vcc
	v_cmp_lt_u64_e32 vcc, v[3:4], v[48:49]
	s_and_saveexec_b64 s[44:45], vcc
	s_cbranch_execz .LBB4_877
; %bb.869:                              ;   in Loop: Header=BB4_816 Depth=2
	s_mov_b32 s8, 0
	s_mov_b64 s[90:91], 0
                                        ; implicit-def: $sgpr92_sgpr93
                                        ; implicit-def: $sgpr94_sgpr95
	s_branch .LBB4_871
.LBB4_870:                              ;   in Loop: Header=BB4_871 Depth=3
	s_or_b64 exec, exec, s[34:35]
	s_and_b64 vcc, exec, vcc
	s_or_b64 s[90:91], vcc, s[90:91]
	s_andn2_b64 s[92:93], s[92:93], exec
	s_and_b64 vcc, s[94:95], exec
	s_or_b64 s[92:93], s[92:93], vcc
	s_andn2_b64 exec, exec, s[90:91]
	s_cbranch_execz .LBB4_875
.LBB4_871:                              ;   Parent Loop BB4_47 Depth=1
                                        ;     Parent Loop BB4_816 Depth=2
                                        ; =>    This Inner Loop Header: Depth=3
	s_add_i32 s8, s8, 1
	s_cmpk_lg_i32 s8, 0x2710
	s_cselect_b64 s[30:31], -1, 0
	s_and_b64 vcc, exec, s[30:31]
	s_cbranch_vccz .LBB4_873
; %bb.872:                              ;   in Loop: Header=BB4_871 Depth=3
	s_mov_b64 vcc, -1
	s_or_b64 s[94:95], s[94:95], exec
	s_and_saveexec_b64 s[34:35], s[30:31]
	s_cbranch_execz .LBB4_870
	s_branch .LBB4_874
.LBB4_873:                              ;   in Loop: Header=BB4_871 Depth=3
	s_trap 2
	ds_read_b64 v[3:4], v0
	s_andn2_b64 s[30:31], s[30:31], exec
	s_mov_b32 s8, 0
	s_waitcnt lgkmcnt(0)
	flat_load_dword v3, v[3:4] glc
	s_waitcnt vmcnt(0) lgkmcnt(0)
	buffer_wbinvl1_vol
	v_cmp_eq_u32_e32 vcc, 0, v3
	s_and_b64 vcc, vcc, exec
	s_or_b64 s[30:31], s[30:31], vcc
	s_mov_b64 vcc, -1
	s_or_b64 s[94:95], s[94:95], exec
	s_and_saveexec_b64 s[34:35], s[30:31]
	s_cbranch_execz .LBB4_870
.LBB4_874:                              ;   in Loop: Header=BB4_871 Depth=3
	s_sleep 1
	s_trap 2
	ds_read_b64 v[3:4], v0
	s_waitcnt lgkmcnt(0)
	s_andn2_b64 s[94:95], s[94:95], exec
	v_cmp_ge_u64_e32 vcc, v[3:4], v[48:49]
	s_orn2_b64 vcc, vcc, exec
	s_branch .LBB4_870
.LBB4_875:                              ;   in Loop: Header=BB4_816 Depth=2
	s_or_b64 exec, exec, s[90:91]
	s_and_saveexec_b64 s[8:9], s[92:93]
	s_xor_b64 s[8:9], exec, s[8:9]
	s_cbranch_execz .LBB4_877
; %bb.876:                              ;   in Loop: Header=BB4_816 Depth=2
	v_mov_b32_e32 v3, 1
	ds_write_b32 v0, v3
	s_trap 2
.LBB4_877:                              ;   in Loop: Header=BB4_816 Depth=2
	s_or_b64 exec, exec, s[44:45]
	;;#ASMSTART
	s_wakeup
	;;#ASMEND
.LBB4_878:                              ;   in Loop: Header=BB4_816 Depth=2
	s_or_b64 exec, exec, s[42:43]
.LBB4_879:                              ;   in Loop: Header=BB4_816 Depth=2
	s_andn2_saveexec_b64 s[40:41], s[40:41]
	s_cbranch_execz .LBB4_881
; %bb.880:                              ;   in Loop: Header=BB4_816 Depth=2
	s_waitcnt vmcnt(0) lgkmcnt(0)
	buffer_wbinvl1_vol
	s_barrier
.LBB4_881:                              ;   in Loop: Header=BB4_816 Depth=2
	s_or_b64 exec, exec, s[40:41]
.LBB4_882:                              ;   in Loop: Header=BB4_816 Depth=2
	s_or_b64 exec, exec, s[28:29]
	s_trap 2
	s_waitcnt lgkmcnt(0)
	ds_read_b64 v[18:19], v0
	s_waitcnt lgkmcnt(0)
	v_cmp_eq_u64_e32 vcc, 0, v[18:19]
	s_cbranch_vccnz .LBB4_971
; %bb.883:                              ;   in Loop: Header=BB4_816 Depth=2
	s_trap 2
	ds_read_b64 v[3:4], v0
	s_waitcnt lgkmcnt(0)
	buffer_store_dword v3, off, s[0:3], s33 offset:232 ; 4-byte Folded Spill
	s_nop 0
	buffer_store_dword v4, off, s[0:3], s33 offset:236 ; 4-byte Folded Spill
	v_cmp_eq_u64_e32 vcc, 0, v[3:4]
	s_cbranch_vccnz .LBB4_971
; %bb.884:                              ;   in Loop: Header=BB4_816 Depth=2
	s_trap 2
	ds_read_b64 v[22:23], v0
	v_cmp_eq_u32_e32 vcc, 0, v0
	v_cndmask_b32_e32 v59, 0, v12, vcc
	v_lshlrev_b32_e32 v42, 1, v59
	s_mov_b64 s[28:29], -1
	s_waitcnt lgkmcnt(0)
	v_cmp_ne_u64_e32 vcc, 0, v[22:23]
	v_readfirstlane_b32 s9, v22
	s_cbranch_vccz .LBB4_1224
; %bb.885:                              ;   in Loop: Header=BB4_816 Depth=2
	s_and_saveexec_b64 s[40:41], s[22:23]
	s_cbranch_execz .LBB4_887
; %bb.886:                              ;   in Loop: Header=BB4_816 Depth=2
	ds_read_b32 v0, v0 offset:720
	s_waitcnt lgkmcnt(0)
	v_and_b32_e32 v0, 15, v0
	v_cmp_eq_u32_e32 vcc, 0, v0
	s_orn2_b64 s[28:29], vcc, exec
.LBB4_887:                              ;   in Loop: Header=BB4_816 Depth=2
	s_or_b64 exec, exec, s[40:41]
	s_and_saveexec_b64 s[40:41], s[22:23]
	s_cbranch_execz .LBB4_889
; %bb.888:                              ;   in Loop: Header=BB4_816 Depth=2
	ds_read_b32 v0, v0 offset:784
	s_waitcnt lgkmcnt(0)
	v_and_b32_e32 v0, 15, v0
	v_cmp_eq_u32_e32 vcc, 0, v0
	s_and_b64 s[42:43], s[28:29], vcc
	s_andn2_b64 s[28:29], s[28:29], exec
	s_and_b64 s[42:43], s[42:43], exec
	s_or_b64 s[28:29], s[28:29], s[42:43]
.LBB4_889:                              ;   in Loop: Header=BB4_816 Depth=2
	s_or_b64 exec, exec, s[40:41]
	s_xor_b64 s[28:29], s[28:29], -1
	v_cndmask_b32_e64 v0, 0, 1, s[28:29]
	s_mov_b64 s[40:41], -1
	v_cmp_ne_u32_e32 vcc, 0, v0
	s_cbranch_vccz .LBB4_972
; %bb.890:                              ;   in Loop: Header=BB4_816 Depth=2
	s_and_b32 s8, s9, 1
	s_mov_b64 s[90:91], -1
	v_mov_b32_e32 v31, 0
	s_cbranch_execnz .LBB4_973
.LBB4_891:                              ;   in Loop: Header=BB4_816 Depth=2
	v_ashrrev_i32_e32 v0, 31, v42
	v_lshrrev_b32_e32 v0, 22, v0
	v_add_u32_e32 v0, v42, v0
	buffer_load_dword v4, off, s[0:3], s33 offset:200 ; 4-byte Folded Reload
	v_ashrrev_i32_e32 v3, 10, v0
	v_and_b32_e32 v15, 0xfffffc00, v0
	s_trap 2
	ds_read_b64 v[24:25], v0
	buffer_load_dword v0, off, s[0:3], s33 offset:208 ; 4-byte Folded Reload
	buffer_load_dword v8, off, s[0:3], s33 offset:232 ; 4-byte Folded Reload
	;; [unrolled: 1-line block ×3, first 2 shown]
	v_sub_u32_e32 v26, v42, v15
	v_cmp_lt_i32_e64 s[28:29], 15, v26
	s_and_b32 s8, s9, 1
	s_mov_b64 s[40:41], 0
	s_waitcnt vmcnt(0)
	v_sub_u32_e32 v50, v42, v4
	s_waitcnt vmcnt(2)
	v_sub_u32_e32 v0, v3, v0
	v_addc_co_u32_e64 v27, vcc, 0, v0, s[28:29]
	s_waitcnt vmcnt(1)
	v_add_co_u32_e32 v13, vcc, v8, v4
	s_waitcnt vmcnt(0)
	v_addc_co_u32_e32 v29, vcc, 0, v9, vcc
	v_add_co_u32_e32 v30, vcc, v22, v4
	v_addc_co_u32_e32 v31, vcc, 0, v23, vcc
	v_cmp_lt_i32_e32 vcc, 15, v50
	s_and_saveexec_b64 s[92:93], vcc
	s_cbranch_execz .LBB4_975
; %bb.892:                              ;   in Loop: Header=BB4_816 Depth=2
	buffer_load_dword v0, off, s[0:3], s33 offset:200 ; 4-byte Folded Reload
	s_and_b32 s40, 0xffff, s8
	s_cmp_eq_u32 s40, 0
	s_mov_b64 s[34:35], 0
	s_mov_b64 s[94:95], 0
	s_cselect_b64 s[40:41], -1, 0
                                        ; implicit-def: $sgpr30_sgpr31
	s_waitcnt vmcnt(0)
	v_add_co_u32_e32 v51, vcc, v18, v0
	v_addc_co_u32_e32 v52, vcc, 0, v19, vcc
	s_waitcnt lgkmcnt(0)
	v_add_co_u32_e32 v53, vcc, v24, v0
	v_addc_co_u32_e32 v56, vcc, 0, v25, vcc
	s_branch .LBB4_894
.LBB4_893:                              ;   in Loop: Header=BB4_894 Depth=3
	s_or_b64 exec, exec, s[42:43]
	v_cmp_gt_i32_e32 vcc, 16, v50
	s_or_b64 s[94:95], vcc, s[94:95]
	s_andn2_b64 s[42:43], s[30:31], exec
	s_and_b64 s[44:45], s[34:35], exec
	s_or_b64 s[30:31], s[42:43], s[44:45]
	s_andn2_b64 exec, exec, s[94:95]
	s_cbranch_execz .LBB4_974
.LBB4_894:                              ;   Parent Loop BB4_47 Depth=1
                                        ;     Parent Loop BB4_816 Depth=2
                                        ; =>    This Loop Header: Depth=3
                                        ;         Child Loop BB4_895 Depth 4
                                        ;         Child Loop BB4_930 Depth 4
	;; [unrolled: 1-line block ×4, first 2 shown]
	s_lshr_b32 s38, s33, 6
	s_add_i32 s38, s38, 64
	s_mov_b64 s[44:45], -1
	s_mov_b64 s[36:37], 0
.LBB4_895:                              ;   Parent Loop BB4_47 Depth=1
                                        ;     Parent Loop BB4_816 Depth=2
                                        ;       Parent Loop BB4_894 Depth=3
                                        ; =>      This Inner Loop Header: Depth=4
	s_cmp_eq_u32 s36, 1
	s_cselect_b64 s[42:43], -1, 0
	v_cndmask_b32_e64 v4, v52, v56, s[42:43]
	v_cndmask_b32_e64 v3, v51, v53, s[42:43]
	global_load_dwordx4 v[8:11], v[3:4], off glc slc
	v_mov_b32_e32 v0, s38
	s_cmp_eq_u32 s36, 0
	s_mov_b64 s[36:37], 1
	s_mov_b32 s38, s80
	s_waitcnt vmcnt(0)
	buffer_store_dword v9, v0, s[0:3], 0 offen offset:4
	buffer_store_dword v8, v0, s[0:3], 0 offen
	buffer_store_dword v11, v0, s[0:3], 0 offen offset:12
	buffer_store_dword v10, v0, s[0:3], 0 offen offset:8
	v_add_co_u32_e32 v0, vcc, s52, v3
	v_addc_co_u32_e32 v3, vcc, 0, v4, vcc
	s_cselect_b64 vcc, -1, 0
	v_cndmask_b32_e32 v52, v52, v3, vcc
	v_cndmask_b32_e32 v51, v51, v0, vcc
	v_cndmask_b32_e64 v56, v56, v3, s[42:43]
	v_cndmask_b32_e64 v53, v53, v0, s[42:43]
	s_and_b64 vcc, exec, s[44:45]
	s_mov_b64 s[44:45], 0
	s_cbranch_vccnz .LBB4_895
; %bb.896:                              ;   in Loop: Header=BB4_894 Depth=3
	s_and_saveexec_b64 s[36:37], s[34:35]
	s_cbranch_execz .LBB4_932
; %bb.897:                              ;   in Loop: Header=BB4_894 Depth=3
	buffer_load_dword v8, off, s[0:3], s33 offset:96
	buffer_load_dword v9, off, s[0:3], s33 offset:112
	;; [unrolled: 1-line block ×8, first 2 shown]
	s_waitcnt vmcnt(7)
	v_lshlrev_b32_e32 v3, 16, v8
	s_waitcnt vmcnt(6)
	v_lshlrev_b32_e32 v28, 16, v9
	v_max_f32_e32 v28, v28, v28
	v_max_f32_e32 v3, v3, v3
	v_min_f32_e32 v34, v3, v28
	v_max_f32_e32 v3, v3, v28
	v_cndmask_b32_e64 v28, v3, v34, s[40:41]
	v_and_b32_e32 v3, 0x7f800000, v28
	v_cmp_ne_u32_e32 vcc, s57, v3
                                        ; implicit-def: $vgpr3
	s_and_saveexec_b64 s[42:43], vcc
	s_xor_b64 s[42:43], exec, s[42:43]
; %bb.898:                              ;   in Loop: Header=BB4_894 Depth=3
	v_bfe_u32 v3, v28, 16, 1
	v_add3_u32 v3, v28, v3, s46
                                        ; implicit-def: $vgpr28
; %bb.899:                              ;   in Loop: Header=BB4_894 Depth=3
	s_andn2_saveexec_b64 s[42:43], s[42:43]
; %bb.900:                              ;   in Loop: Header=BB4_894 Depth=3
	v_or_b32_e32 v3, 0x10000, v28
	v_cmp_eq_u32_sdwa vcc, v28, v2 src0_sel:WORD_0 src1_sel:DWORD
	v_cndmask_b32_e32 v3, v3, v28, vcc
; %bb.901:                              ;   in Loop: Header=BB4_894 Depth=3
	s_or_b64 exec, exec, s[42:43]
	v_and_b32_e32 v8, 0xffff0000, v8
	v_and_b32_e32 v9, 0xffff0000, v9
	v_max_f32_e32 v9, v9, v9
	v_max_f32_e32 v8, v8, v8
	v_min_f32_e32 v28, v8, v9
	v_max_f32_e32 v8, v8, v9
	v_cndmask_b32_e64 v9, v8, v28, s[40:41]
	v_and_b32_e32 v8, 0x7f800000, v9
	v_cmp_ne_u32_e32 vcc, s57, v8
                                        ; implicit-def: $vgpr8
	s_and_saveexec_b64 s[42:43], vcc
	s_xor_b64 s[42:43], exec, s[42:43]
; %bb.902:                              ;   in Loop: Header=BB4_894 Depth=3
	v_bfe_u32 v8, v9, 16, 1
	v_add3_u32 v8, v9, v8, s46
                                        ; implicit-def: $vgpr9
; %bb.903:                              ;   in Loop: Header=BB4_894 Depth=3
	s_andn2_saveexec_b64 s[42:43], s[42:43]
; %bb.904:                              ;   in Loop: Header=BB4_894 Depth=3
	v_or_b32_e32 v8, 0x10000, v9
	v_cmp_eq_u32_sdwa vcc, v9, v2 src0_sel:WORD_0 src1_sel:DWORD
	v_cndmask_b32_e32 v8, v8, v9, vcc
; %bb.905:                              ;   in Loop: Header=BB4_894 Depth=3
	s_or_b64 exec, exec, s[42:43]
	s_waitcnt vmcnt(5)
	v_lshlrev_b32_e32 v9, 16, v20
	s_waitcnt vmcnt(3)
	v_lshlrev_b32_e32 v28, 16, v21
	v_max_f32_e32 v28, v28, v28
	v_max_f32_e32 v9, v9, v9
	v_min_f32_e32 v34, v9, v28
	v_max_f32_e32 v9, v9, v28
	v_cndmask_b32_e64 v28, v9, v34, s[40:41]
	v_and_b32_e32 v9, 0x7f800000, v28
	v_cmp_ne_u32_e32 vcc, s57, v9
                                        ; implicit-def: $vgpr9
	s_and_saveexec_b64 s[42:43], vcc
	s_xor_b64 s[42:43], exec, s[42:43]
; %bb.906:                              ;   in Loop: Header=BB4_894 Depth=3
	v_bfe_u32 v9, v28, 16, 1
	v_add3_u32 v9, v28, v9, s46
                                        ; implicit-def: $vgpr28
; %bb.907:                              ;   in Loop: Header=BB4_894 Depth=3
	s_andn2_saveexec_b64 s[42:43], s[42:43]
; %bb.908:                              ;   in Loop: Header=BB4_894 Depth=3
	v_or_b32_e32 v9, 0x10000, v28
	v_cmp_eq_u32_sdwa vcc, v28, v2 src0_sel:WORD_0 src1_sel:DWORD
	v_cndmask_b32_e32 v9, v9, v28, vcc
; %bb.909:                              ;   in Loop: Header=BB4_894 Depth=3
	s_or_b64 exec, exec, s[42:43]
	v_and_b32_e32 v20, 0xffff0000, v20
	v_and_b32_e32 v21, 0xffff0000, v21
	v_max_f32_e32 v21, v21, v21
	v_max_f32_e32 v20, v20, v20
	v_min_f32_e32 v28, v20, v21
	v_max_f32_e32 v20, v20, v21
	v_cndmask_b32_e64 v21, v20, v28, s[40:41]
	v_and_b32_e32 v20, 0x7f800000, v21
	v_cmp_ne_u32_e32 vcc, s57, v20
                                        ; implicit-def: $vgpr20
	s_and_saveexec_b64 s[42:43], vcc
	s_xor_b64 s[42:43], exec, s[42:43]
; %bb.910:                              ;   in Loop: Header=BB4_894 Depth=3
	v_bfe_u32 v20, v21, 16, 1
	v_add3_u32 v20, v21, v20, s46
                                        ; implicit-def: $vgpr21
; %bb.911:                              ;   in Loop: Header=BB4_894 Depth=3
	s_andn2_saveexec_b64 s[42:43], s[42:43]
; %bb.912:                              ;   in Loop: Header=BB4_894 Depth=3
	v_or_b32_e32 v20, 0x10000, v21
	v_cmp_eq_u32_sdwa vcc, v21, v2 src0_sel:WORD_0 src1_sel:DWORD
	v_cndmask_b32_e32 v20, v20, v21, vcc
; %bb.913:                              ;   in Loop: Header=BB4_894 Depth=3
	s_or_b64 exec, exec, s[42:43]
	v_lshlrev_b32_e32 v21, 16, v10
	s_waitcnt vmcnt(2)
	v_lshlrev_b32_e32 v28, 16, v11
	v_max_f32_e32 v28, v28, v28
	v_max_f32_e32 v21, v21, v21
	v_min_f32_e32 v34, v21, v28
	v_max_f32_e32 v21, v21, v28
	v_cndmask_b32_e64 v28, v21, v34, s[40:41]
	v_and_b32_e32 v21, 0x7f800000, v28
	v_cmp_ne_u32_e32 vcc, s57, v21
                                        ; implicit-def: $vgpr21
	s_and_saveexec_b64 s[42:43], vcc
	s_xor_b64 s[42:43], exec, s[42:43]
; %bb.914:                              ;   in Loop: Header=BB4_894 Depth=3
	v_bfe_u32 v21, v28, 16, 1
	v_add3_u32 v21, v28, v21, s46
                                        ; implicit-def: $vgpr28
; %bb.915:                              ;   in Loop: Header=BB4_894 Depth=3
	s_andn2_saveexec_b64 s[42:43], s[42:43]
; %bb.916:                              ;   in Loop: Header=BB4_894 Depth=3
	v_or_b32_e32 v21, 0x10000, v28
	v_cmp_eq_u32_sdwa vcc, v28, v2 src0_sel:WORD_0 src1_sel:DWORD
	v_cndmask_b32_e32 v21, v21, v28, vcc
; %bb.917:                              ;   in Loop: Header=BB4_894 Depth=3
	s_or_b64 exec, exec, s[42:43]
	v_and_b32_e32 v10, 0xffff0000, v10
	v_and_b32_e32 v11, 0xffff0000, v11
	v_max_f32_e32 v11, v11, v11
	v_max_f32_e32 v10, v10, v10
	v_min_f32_e32 v28, v10, v11
	v_max_f32_e32 v10, v10, v11
	v_cndmask_b32_e64 v11, v10, v28, s[40:41]
	v_and_b32_e32 v10, 0x7f800000, v11
	v_cmp_ne_u32_e32 vcc, s57, v10
                                        ; implicit-def: $vgpr10
	s_and_saveexec_b64 s[42:43], vcc
	s_xor_b64 s[42:43], exec, s[42:43]
; %bb.918:                              ;   in Loop: Header=BB4_894 Depth=3
	v_bfe_u32 v10, v11, 16, 1
	v_add3_u32 v10, v11, v10, s46
                                        ; implicit-def: $vgpr11
; %bb.919:                              ;   in Loop: Header=BB4_894 Depth=3
	s_andn2_saveexec_b64 s[42:43], s[42:43]
; %bb.920:                              ;   in Loop: Header=BB4_894 Depth=3
	v_or_b32_e32 v10, 0x10000, v11
	v_cmp_eq_u32_sdwa vcc, v11, v2 src0_sel:WORD_0 src1_sel:DWORD
	v_cndmask_b32_e32 v10, v10, v11, vcc
; %bb.921:                              ;   in Loop: Header=BB4_894 Depth=3
	s_or_b64 exec, exec, s[42:43]
	s_waitcnt vmcnt(0)
	v_lshlrev_b32_e32 v11, 16, v4
	v_lshlrev_b32_e32 v28, 16, v0
	v_max_f32_e32 v28, v28, v28
	v_max_f32_e32 v11, v11, v11
	v_min_f32_e32 v34, v11, v28
	v_max_f32_e32 v11, v11, v28
	v_cndmask_b32_e64 v28, v11, v34, s[40:41]
	v_and_b32_e32 v11, 0x7f800000, v28
	v_cmp_ne_u32_e32 vcc, s57, v11
                                        ; implicit-def: $vgpr11
	s_and_saveexec_b64 s[42:43], vcc
	s_xor_b64 s[42:43], exec, s[42:43]
; %bb.922:                              ;   in Loop: Header=BB4_894 Depth=3
	v_bfe_u32 v11, v28, 16, 1
	v_add3_u32 v11, v28, v11, s46
                                        ; implicit-def: $vgpr28
; %bb.923:                              ;   in Loop: Header=BB4_894 Depth=3
	s_andn2_saveexec_b64 s[42:43], s[42:43]
; %bb.924:                              ;   in Loop: Header=BB4_894 Depth=3
	v_or_b32_e32 v11, 0x10000, v28
	v_cmp_eq_u32_sdwa vcc, v28, v2 src0_sel:WORD_0 src1_sel:DWORD
	v_cndmask_b32_e32 v11, v11, v28, vcc
; %bb.925:                              ;   in Loop: Header=BB4_894 Depth=3
	s_or_b64 exec, exec, s[42:43]
	v_and_b32_e32 v4, 0xffff0000, v4
	v_and_b32_e32 v0, 0xffff0000, v0
	v_max_f32_e32 v0, v0, v0
	v_max_f32_e32 v4, v4, v4
	v_min_f32_e32 v28, v4, v0
	v_max_f32_e32 v0, v4, v0
	v_cndmask_b32_e64 v4, v0, v28, s[40:41]
	v_and_b32_e32 v0, 0x7f800000, v4
	v_cmp_ne_u32_e32 vcc, s57, v0
                                        ; implicit-def: $vgpr0
	s_and_saveexec_b64 s[42:43], vcc
	s_xor_b64 s[42:43], exec, s[42:43]
; %bb.926:                              ;   in Loop: Header=BB4_894 Depth=3
	v_bfe_u32 v0, v4, 16, 1
	v_add3_u32 v0, v4, v0, s46
                                        ; implicit-def: $vgpr4
; %bb.927:                              ;   in Loop: Header=BB4_894 Depth=3
	s_andn2_saveexec_b64 s[42:43], s[42:43]
; %bb.928:                              ;   in Loop: Header=BB4_894 Depth=3
	v_or_b32_e32 v0, 0x10000, v4
	v_cmp_eq_u32_sdwa vcc, v4, v2 src0_sel:WORD_0 src1_sel:DWORD
	v_cndmask_b32_e32 v0, v0, v4, vcc
; %bb.929:                              ;   in Loop: Header=BB4_894 Depth=3
	s_or_b64 exec, exec, s[42:43]
	v_lshrrev_b32_e32 v3, 16, v3
	v_and_or_b32 v8, v8, s47, v3
	v_lshrrev_b32_e32 v3, 16, v21
	v_lshrrev_b32_e32 v4, 16, v9
	v_and_or_b32 v10, v10, s47, v3
	v_lshrrev_b32_e32 v3, 16, v11
	v_and_or_b32 v9, v20, s47, v4
	v_and_or_b32 v11, v0, s47, v3
	s_mov_b64 s[38:39], 0
	s_mov_b64 s[34:35], -1
	buffer_store_dword v9, off, s[0:3], s33 offset:100
	buffer_store_dword v8, off, s[0:3], s33 offset:96
	;; [unrolled: 1-line block ×4, first 2 shown]
.LBB4_930:                              ;   Parent Loop BB4_47 Depth=1
                                        ;     Parent Loop BB4_816 Depth=2
                                        ;       Parent Loop BB4_894 Depth=3
                                        ; =>      This Inner Loop Header: Depth=4
	s_cmp_eq_u32 s38, 1
	s_cselect_b64 s[42:43], -1, 0
	v_cndmask_b32_e64 v3, v13, v30, s[42:43]
	v_cndmask_b32_e64 v4, v29, v31, s[42:43]
	v_add_co_u32_e32 v0, vcc, 0x400, v3
	s_cmp_eq_u32 s38, 0
	global_store_dwordx4 v[3:4], v[8:11], off glc slc
	v_addc_co_u32_e32 v3, vcc, 0, v4, vcc
	s_cselect_b64 vcc, -1, 0
	s_and_b64 s[44:45], exec, s[34:35]
	s_mov_b64 s[38:39], 1
	v_cndmask_b32_e64 v30, v30, v0, s[42:43]
	s_mov_b64 s[34:35], 0
	v_cndmask_b32_e64 v31, v31, v3, s[42:43]
	v_cndmask_b32_e32 v29, v29, v3, vcc
	v_cndmask_b32_e32 v13, v13, v0, vcc
	s_mov_b64 vcc, s[44:45]
	s_cbranch_vccnz .LBB4_930
; %bb.931:                              ;   in Loop: Header=BB4_894 Depth=3
	v_add_co_u32_e32 v13, vcc, v13, v6
	v_addc_co_u32_e32 v29, vcc, v29, v43, vcc
	v_add_co_u32_e32 v30, vcc, v30, v6
	v_addc_co_u32_e32 v31, vcc, v31, v43, vcc
.LBB4_932:                              ;   in Loop: Header=BB4_894 Depth=3
	s_or_b64 exec, exec, s[36:37]
	v_add_co_u32_e32 v51, vcc, v51, v6
	v_addc_co_u32_e32 v52, vcc, v52, v43, vcc
	v_add_co_u32_e32 v53, vcc, v53, v6
	v_sub_u32_e32 v50, v50, v1
	v_addc_co_u32_e32 v56, vcc, v56, v43, vcc
	v_cmp_lt_i32_e64 s[34:35], 15, v50
	s_and_saveexec_b64 s[44:45], s[34:35]
	s_cbranch_execz .LBB4_935
; %bb.933:                              ;   in Loop: Header=BB4_894 Depth=3
	s_lshr_b32 s48, s33, 6
	s_addk_i32 s48, 0x60
	s_mov_b64 s[38:39], 0
	s_mov_b64 s[36:37], -1
.LBB4_934:                              ;   Parent Loop BB4_47 Depth=1
                                        ;     Parent Loop BB4_816 Depth=2
                                        ;       Parent Loop BB4_894 Depth=3
                                        ; =>      This Inner Loop Header: Depth=4
	s_cmp_eq_u32 s38, 1
	s_cselect_b64 s[42:43], -1, 0
	v_cndmask_b32_e64 v4, v52, v56, s[42:43]
	v_cndmask_b32_e64 v3, v51, v53, s[42:43]
	global_load_dwordx4 v[8:11], v[3:4], off glc slc
	v_mov_b32_e32 v0, s48
	s_cmp_eq_u32 s38, 0
	s_mov_b64 s[38:39], 1
	s_mov_b32 s48, s71
	s_waitcnt vmcnt(0)
	buffer_store_dword v9, v0, s[0:3], 0 offen offset:4
	buffer_store_dword v8, v0, s[0:3], 0 offen
	buffer_store_dword v11, v0, s[0:3], 0 offen offset:12
	buffer_store_dword v10, v0, s[0:3], 0 offen offset:8
	v_add_co_u32_e32 v0, vcc, s52, v3
	v_addc_co_u32_e32 v3, vcc, 0, v4, vcc
	s_cselect_b64 vcc, -1, 0
	v_cndmask_b32_e32 v52, v52, v3, vcc
	v_cndmask_b32_e32 v51, v51, v0, vcc
	v_cndmask_b32_e64 v56, v56, v3, s[42:43]
	v_cndmask_b32_e64 v53, v53, v0, s[42:43]
	s_and_b64 vcc, exec, s[36:37]
	s_mov_b64 s[36:37], 0
	s_cbranch_vccnz .LBB4_934
.LBB4_935:                              ;   in Loop: Header=BB4_894 Depth=3
	s_or_b64 exec, exec, s[44:45]
	buffer_load_dword v8, off, s[0:3], s33 offset:64
	buffer_load_dword v9, off, s[0:3], s33 offset:80
	;; [unrolled: 1-line block ×8, first 2 shown]
	s_waitcnt vmcnt(7)
	v_lshlrev_b32_e32 v3, 16, v8
	s_waitcnt vmcnt(6)
	v_lshlrev_b32_e32 v28, 16, v9
	v_max_f32_e32 v28, v28, v28
	v_max_f32_e32 v3, v3, v3
	v_min_f32_e32 v34, v3, v28
	v_max_f32_e32 v3, v3, v28
	v_cndmask_b32_e64 v28, v3, v34, s[40:41]
	v_and_b32_e32 v3, 0x7f800000, v28
	v_cmp_ne_u32_e32 vcc, s57, v3
                                        ; implicit-def: $vgpr3
	s_and_saveexec_b64 s[42:43], vcc
	s_xor_b64 s[42:43], exec, s[42:43]
; %bb.936:                              ;   in Loop: Header=BB4_894 Depth=3
	v_bfe_u32 v3, v28, 16, 1
	v_add3_u32 v3, v28, v3, s46
                                        ; implicit-def: $vgpr28
; %bb.937:                              ;   in Loop: Header=BB4_894 Depth=3
	s_andn2_saveexec_b64 s[42:43], s[42:43]
; %bb.938:                              ;   in Loop: Header=BB4_894 Depth=3
	v_or_b32_e32 v3, 0x10000, v28
	v_cmp_eq_u32_sdwa vcc, v28, v2 src0_sel:WORD_0 src1_sel:DWORD
	v_cndmask_b32_e32 v3, v3, v28, vcc
; %bb.939:                              ;   in Loop: Header=BB4_894 Depth=3
	s_or_b64 exec, exec, s[42:43]
	v_and_b32_e32 v8, 0xffff0000, v8
	v_and_b32_e32 v9, 0xffff0000, v9
	v_max_f32_e32 v9, v9, v9
	v_max_f32_e32 v8, v8, v8
	v_min_f32_e32 v28, v8, v9
	v_max_f32_e32 v8, v8, v9
	v_cndmask_b32_e64 v9, v8, v28, s[40:41]
	v_and_b32_e32 v8, 0x7f800000, v9
	v_cmp_ne_u32_e32 vcc, s57, v8
                                        ; implicit-def: $vgpr8
	s_and_saveexec_b64 s[42:43], vcc
	s_xor_b64 s[42:43], exec, s[42:43]
; %bb.940:                              ;   in Loop: Header=BB4_894 Depth=3
	v_bfe_u32 v8, v9, 16, 1
	v_add3_u32 v8, v9, v8, s46
                                        ; implicit-def: $vgpr9
; %bb.941:                              ;   in Loop: Header=BB4_894 Depth=3
	s_andn2_saveexec_b64 s[42:43], s[42:43]
; %bb.942:                              ;   in Loop: Header=BB4_894 Depth=3
	v_or_b32_e32 v8, 0x10000, v9
	v_cmp_eq_u32_sdwa vcc, v9, v2 src0_sel:WORD_0 src1_sel:DWORD
	v_cndmask_b32_e32 v8, v8, v9, vcc
; %bb.943:                              ;   in Loop: Header=BB4_894 Depth=3
	s_or_b64 exec, exec, s[42:43]
	s_waitcnt vmcnt(5)
	v_lshlrev_b32_e32 v9, 16, v20
	s_waitcnt vmcnt(3)
	v_lshlrev_b32_e32 v28, 16, v21
	v_max_f32_e32 v28, v28, v28
	v_max_f32_e32 v9, v9, v9
	v_min_f32_e32 v34, v9, v28
	v_max_f32_e32 v9, v9, v28
	v_cndmask_b32_e64 v28, v9, v34, s[40:41]
	v_and_b32_e32 v9, 0x7f800000, v28
	v_cmp_ne_u32_e32 vcc, s57, v9
                                        ; implicit-def: $vgpr9
	s_and_saveexec_b64 s[42:43], vcc
	s_xor_b64 s[42:43], exec, s[42:43]
; %bb.944:                              ;   in Loop: Header=BB4_894 Depth=3
	v_bfe_u32 v9, v28, 16, 1
	v_add3_u32 v9, v28, v9, s46
                                        ; implicit-def: $vgpr28
; %bb.945:                              ;   in Loop: Header=BB4_894 Depth=3
	s_andn2_saveexec_b64 s[42:43], s[42:43]
; %bb.946:                              ;   in Loop: Header=BB4_894 Depth=3
	v_or_b32_e32 v9, 0x10000, v28
	v_cmp_eq_u32_sdwa vcc, v28, v2 src0_sel:WORD_0 src1_sel:DWORD
	v_cndmask_b32_e32 v9, v9, v28, vcc
; %bb.947:                              ;   in Loop: Header=BB4_894 Depth=3
	s_or_b64 exec, exec, s[42:43]
	v_and_b32_e32 v20, 0xffff0000, v20
	v_and_b32_e32 v21, 0xffff0000, v21
	v_max_f32_e32 v21, v21, v21
	v_max_f32_e32 v20, v20, v20
	v_min_f32_e32 v28, v20, v21
	v_max_f32_e32 v20, v20, v21
	v_cndmask_b32_e64 v21, v20, v28, s[40:41]
	v_and_b32_e32 v20, 0x7f800000, v21
	v_cmp_ne_u32_e32 vcc, s57, v20
                                        ; implicit-def: $vgpr20
	s_and_saveexec_b64 s[42:43], vcc
	s_xor_b64 s[42:43], exec, s[42:43]
; %bb.948:                              ;   in Loop: Header=BB4_894 Depth=3
	v_bfe_u32 v20, v21, 16, 1
	v_add3_u32 v20, v21, v20, s46
                                        ; implicit-def: $vgpr21
; %bb.949:                              ;   in Loop: Header=BB4_894 Depth=3
	s_andn2_saveexec_b64 s[42:43], s[42:43]
; %bb.950:                              ;   in Loop: Header=BB4_894 Depth=3
	v_or_b32_e32 v20, 0x10000, v21
	v_cmp_eq_u32_sdwa vcc, v21, v2 src0_sel:WORD_0 src1_sel:DWORD
	v_cndmask_b32_e32 v20, v20, v21, vcc
; %bb.951:                              ;   in Loop: Header=BB4_894 Depth=3
	s_or_b64 exec, exec, s[42:43]
	v_lshlrev_b32_e32 v21, 16, v10
	s_waitcnt vmcnt(2)
	v_lshlrev_b32_e32 v28, 16, v11
	v_max_f32_e32 v28, v28, v28
	v_max_f32_e32 v21, v21, v21
	v_min_f32_e32 v34, v21, v28
	v_max_f32_e32 v21, v21, v28
	v_cndmask_b32_e64 v28, v21, v34, s[40:41]
	v_and_b32_e32 v21, 0x7f800000, v28
	v_cmp_ne_u32_e32 vcc, s57, v21
                                        ; implicit-def: $vgpr21
	s_and_saveexec_b64 s[42:43], vcc
	s_xor_b64 s[42:43], exec, s[42:43]
; %bb.952:                              ;   in Loop: Header=BB4_894 Depth=3
	v_bfe_u32 v21, v28, 16, 1
	v_add3_u32 v21, v28, v21, s46
                                        ; implicit-def: $vgpr28
; %bb.953:                              ;   in Loop: Header=BB4_894 Depth=3
	s_andn2_saveexec_b64 s[42:43], s[42:43]
; %bb.954:                              ;   in Loop: Header=BB4_894 Depth=3
	v_or_b32_e32 v21, 0x10000, v28
	v_cmp_eq_u32_sdwa vcc, v28, v2 src0_sel:WORD_0 src1_sel:DWORD
	v_cndmask_b32_e32 v21, v21, v28, vcc
; %bb.955:                              ;   in Loop: Header=BB4_894 Depth=3
	s_or_b64 exec, exec, s[42:43]
	v_and_b32_e32 v10, 0xffff0000, v10
	v_and_b32_e32 v11, 0xffff0000, v11
	v_max_f32_e32 v11, v11, v11
	v_max_f32_e32 v10, v10, v10
	v_min_f32_e32 v28, v10, v11
	v_max_f32_e32 v10, v10, v11
	v_cndmask_b32_e64 v11, v10, v28, s[40:41]
	v_and_b32_e32 v10, 0x7f800000, v11
	v_cmp_ne_u32_e32 vcc, s57, v10
                                        ; implicit-def: $vgpr10
	s_and_saveexec_b64 s[42:43], vcc
	s_xor_b64 s[42:43], exec, s[42:43]
; %bb.956:                              ;   in Loop: Header=BB4_894 Depth=3
	v_bfe_u32 v10, v11, 16, 1
	v_add3_u32 v10, v11, v10, s46
                                        ; implicit-def: $vgpr11
; %bb.957:                              ;   in Loop: Header=BB4_894 Depth=3
	s_andn2_saveexec_b64 s[42:43], s[42:43]
; %bb.958:                              ;   in Loop: Header=BB4_894 Depth=3
	v_or_b32_e32 v10, 0x10000, v11
	v_cmp_eq_u32_sdwa vcc, v11, v2 src0_sel:WORD_0 src1_sel:DWORD
	v_cndmask_b32_e32 v10, v10, v11, vcc
; %bb.959:                              ;   in Loop: Header=BB4_894 Depth=3
	s_or_b64 exec, exec, s[42:43]
	s_waitcnt vmcnt(0)
	v_lshlrev_b32_e32 v11, 16, v4
	v_lshlrev_b32_e32 v28, 16, v0
	v_max_f32_e32 v28, v28, v28
	v_max_f32_e32 v11, v11, v11
	v_min_f32_e32 v34, v11, v28
	v_max_f32_e32 v11, v11, v28
	v_cndmask_b32_e64 v28, v11, v34, s[40:41]
	v_and_b32_e32 v11, 0x7f800000, v28
	v_cmp_ne_u32_e32 vcc, s57, v11
                                        ; implicit-def: $vgpr11
	s_and_saveexec_b64 s[42:43], vcc
	s_xor_b64 s[42:43], exec, s[42:43]
; %bb.960:                              ;   in Loop: Header=BB4_894 Depth=3
	v_bfe_u32 v11, v28, 16, 1
	v_add3_u32 v11, v28, v11, s46
                                        ; implicit-def: $vgpr28
; %bb.961:                              ;   in Loop: Header=BB4_894 Depth=3
	s_andn2_saveexec_b64 s[42:43], s[42:43]
; %bb.962:                              ;   in Loop: Header=BB4_894 Depth=3
	v_or_b32_e32 v11, 0x10000, v28
	v_cmp_eq_u32_sdwa vcc, v28, v2 src0_sel:WORD_0 src1_sel:DWORD
	v_cndmask_b32_e32 v11, v11, v28, vcc
; %bb.963:                              ;   in Loop: Header=BB4_894 Depth=3
	s_or_b64 exec, exec, s[42:43]
	v_and_b32_e32 v4, 0xffff0000, v4
	v_and_b32_e32 v0, 0xffff0000, v0
	v_max_f32_e32 v0, v0, v0
	v_max_f32_e32 v4, v4, v4
	v_min_f32_e32 v28, v4, v0
	v_max_f32_e32 v0, v4, v0
	v_cndmask_b32_e64 v4, v0, v28, s[40:41]
	v_and_b32_e32 v0, 0x7f800000, v4
	v_cmp_ne_u32_e32 vcc, s57, v0
                                        ; implicit-def: $vgpr0
	s_and_saveexec_b64 s[42:43], vcc
	s_xor_b64 s[42:43], exec, s[42:43]
; %bb.964:                              ;   in Loop: Header=BB4_894 Depth=3
	v_bfe_u32 v0, v4, 16, 1
	v_add3_u32 v0, v4, v0, s46
                                        ; implicit-def: $vgpr4
; %bb.965:                              ;   in Loop: Header=BB4_894 Depth=3
	s_andn2_saveexec_b64 s[42:43], s[42:43]
; %bb.966:                              ;   in Loop: Header=BB4_894 Depth=3
	v_or_b32_e32 v0, 0x10000, v4
	v_cmp_eq_u32_sdwa vcc, v4, v2 src0_sel:WORD_0 src1_sel:DWORD
	v_cndmask_b32_e32 v0, v0, v4, vcc
; %bb.967:                              ;   in Loop: Header=BB4_894 Depth=3
	s_or_b64 exec, exec, s[42:43]
	v_lshrrev_b32_e32 v3, 16, v3
	v_and_or_b32 v8, v8, s47, v3
	v_lshrrev_b32_e32 v3, 16, v21
	v_lshrrev_b32_e32 v4, 16, v9
	v_and_or_b32 v10, v10, s47, v3
	v_lshrrev_b32_e32 v3, 16, v11
	v_and_or_b32 v9, v20, s47, v4
	v_and_or_b32 v11, v0, s47, v3
	s_mov_b64 s[38:39], 0
	s_mov_b64 s[36:37], -1
	buffer_store_dword v9, off, s[0:3], s33 offset:68
	buffer_store_dword v8, off, s[0:3], s33 offset:64
	;; [unrolled: 1-line block ×4, first 2 shown]
.LBB4_968:                              ;   Parent Loop BB4_47 Depth=1
                                        ;     Parent Loop BB4_816 Depth=2
                                        ;       Parent Loop BB4_894 Depth=3
                                        ; =>      This Inner Loop Header: Depth=4
	s_cmp_eq_u32 s38, 1
	s_cselect_b64 s[42:43], -1, 0
	v_cndmask_b32_e64 v3, v13, v30, s[42:43]
	v_cndmask_b32_e64 v4, v29, v31, s[42:43]
	v_add_co_u32_e32 v0, vcc, 0x400, v3
	s_cmp_eq_u32 s38, 0
	global_store_dwordx4 v[3:4], v[8:11], off glc slc
	v_addc_co_u32_e32 v3, vcc, 0, v4, vcc
	s_cselect_b64 vcc, -1, 0
	s_and_b64 s[44:45], exec, s[36:37]
	s_mov_b64 s[38:39], 1
	v_cndmask_b32_e64 v30, v30, v0, s[42:43]
	s_mov_b64 s[36:37], 0
	v_cndmask_b32_e64 v31, v31, v3, s[42:43]
	v_cndmask_b32_e32 v29, v29, v3, vcc
	v_cndmask_b32_e32 v13, v13, v0, vcc
	s_mov_b64 vcc, s[44:45]
	s_cbranch_vccnz .LBB4_968
; %bb.969:                              ;   in Loop: Header=BB4_894 Depth=3
	v_sub_u32_e32 v27, v27, v57
	s_and_saveexec_b64 s[42:43], s[34:35]
	s_cbranch_execz .LBB4_893
; %bb.970:                              ;   in Loop: Header=BB4_894 Depth=3
	v_add_co_u32_e32 v13, vcc, v13, v6
	v_addc_co_u32_e32 v29, vcc, v29, v43, vcc
	v_add_co_u32_e32 v30, vcc, v30, v6
	v_addc_co_u32_e32 v31, vcc, v31, v43, vcc
	;; [unrolled: 2-line block ×4, first 2 shown]
	v_sub_u32_e32 v50, v50, v1
	v_sub_u32_e32 v27, v27, v57
	s_branch .LBB4_893
.LBB4_971:                              ;   in Loop: Header=BB4_816 Depth=2
	s_mov_b64 s[28:29], 0
	s_and_saveexec_b64 s[40:41], s[10:11]
	s_cbranch_execnz .LBB4_1545
	s_branch .LBB4_1563
.LBB4_972:                              ;   in Loop: Header=BB4_816 Depth=2
	s_mov_b64 s[90:91], 0
                                        ; implicit-def: $sgpr8
	s_andn2_b64 vcc, exec, s[40:41]
	v_mov_b32_e32 v31, 0
	s_cbranch_vccz .LBB4_891
.LBB4_973:                              ;   in Loop: Header=BB4_816 Depth=2
	buffer_load_dword v0, off, s[0:3], s33 offset:204 ; 4-byte Folded Reload
	buffer_load_dword v51, off, s[0:3], s33 offset:188 ; 4-byte Folded Reload
	v_mov_b32_e32 v50, v42
	s_and_saveexec_b64 s[44:45], s[90:91]
	s_cbranch_execnz .LBB4_1131
	s_branch .LBB4_1223
.LBB4_974:                              ;   in Loop: Header=BB4_816 Depth=2
	s_or_b64 exec, exec, s[94:95]
	s_and_b64 s[40:41], s[30:31], exec
.LBB4_975:                              ;   in Loop: Header=BB4_816 Depth=2
	s_or_b64 exec, exec, s[92:93]
	s_and_saveexec_b64 s[44:45], s[40:41]
	s_cbranch_execz .LBB4_1010
; %bb.976:                              ;   in Loop: Header=BB4_816 Depth=2
	buffer_load_dword v8, off, s[0:3], s33 offset:96
	buffer_load_dword v9, off, s[0:3], s33 offset:112
	buffer_load_dword v20, off, s[0:3], s33 offset:100
	buffer_load_dword v10, off, s[0:3], s33 offset:104
	buffer_load_dword v21, off, s[0:3], s33 offset:116
	buffer_load_dword v11, off, s[0:3], s33 offset:120
	buffer_load_dword v0, off, s[0:3], s33 offset:124
	buffer_load_dword v4, off, s[0:3], s33 offset:108
	s_and_b32 s40, 0xffff, s8
	s_cmp_eq_u32 s40, 0
	s_cselect_b64 vcc, -1, 0
	s_waitcnt vmcnt(7)
	v_lshlrev_b32_e32 v3, 16, v8
	s_waitcnt vmcnt(6)
	v_lshlrev_b32_e32 v28, 16, v9
	v_max_f32_e32 v28, v28, v28
	v_max_f32_e32 v3, v3, v3
	v_min_f32_e32 v34, v3, v28
	v_max_f32_e32 v3, v3, v28
	v_cndmask_b32_e32 v28, v3, v34, vcc
	v_and_b32_e32 v3, 0x7f800000, v28
	v_cmp_ne_u32_e64 s[40:41], s57, v3
                                        ; implicit-def: $vgpr3
	s_and_saveexec_b64 s[42:43], s[40:41]
	s_xor_b64 s[40:41], exec, s[42:43]
; %bb.977:                              ;   in Loop: Header=BB4_816 Depth=2
	v_bfe_u32 v3, v28, 16, 1
	v_add3_u32 v3, v28, v3, s46
                                        ; implicit-def: $vgpr28
; %bb.978:                              ;   in Loop: Header=BB4_816 Depth=2
	s_andn2_saveexec_b64 s[42:43], s[40:41]
; %bb.979:                              ;   in Loop: Header=BB4_816 Depth=2
	v_or_b32_e32 v3, 0x10000, v28
	v_cmp_eq_u32_sdwa s[40:41], v28, v2 src0_sel:WORD_0 src1_sel:DWORD
	v_cndmask_b32_e64 v3, v3, v28, s[40:41]
; %bb.980:                              ;   in Loop: Header=BB4_816 Depth=2
	s_or_b64 exec, exec, s[42:43]
	v_and_b32_e32 v8, 0xffff0000, v8
	v_and_b32_e32 v9, 0xffff0000, v9
	v_max_f32_e32 v9, v9, v9
	v_max_f32_e32 v8, v8, v8
	v_min_f32_e32 v28, v8, v9
	v_max_f32_e32 v8, v8, v9
	v_cndmask_b32_e32 v9, v8, v28, vcc
	v_and_b32_e32 v8, 0x7f800000, v9
	v_cmp_ne_u32_e64 s[40:41], s57, v8
                                        ; implicit-def: $vgpr8
	s_and_saveexec_b64 s[42:43], s[40:41]
	s_xor_b64 s[40:41], exec, s[42:43]
; %bb.981:                              ;   in Loop: Header=BB4_816 Depth=2
	v_bfe_u32 v8, v9, 16, 1
	v_add3_u32 v8, v9, v8, s46
                                        ; implicit-def: $vgpr9
; %bb.982:                              ;   in Loop: Header=BB4_816 Depth=2
	s_andn2_saveexec_b64 s[42:43], s[40:41]
; %bb.983:                              ;   in Loop: Header=BB4_816 Depth=2
	v_or_b32_e32 v8, 0x10000, v9
	v_cmp_eq_u32_sdwa s[40:41], v9, v2 src0_sel:WORD_0 src1_sel:DWORD
	v_cndmask_b32_e64 v8, v8, v9, s[40:41]
; %bb.984:                              ;   in Loop: Header=BB4_816 Depth=2
	s_or_b64 exec, exec, s[42:43]
	s_waitcnt vmcnt(5)
	v_lshlrev_b32_e32 v9, 16, v20
	s_waitcnt vmcnt(3)
	v_lshlrev_b32_e32 v28, 16, v21
	v_max_f32_e32 v28, v28, v28
	v_max_f32_e32 v9, v9, v9
	v_min_f32_e32 v34, v9, v28
	v_max_f32_e32 v9, v9, v28
	v_cndmask_b32_e32 v28, v9, v34, vcc
	v_and_b32_e32 v9, 0x7f800000, v28
	v_cmp_ne_u32_e64 s[40:41], s57, v9
                                        ; implicit-def: $vgpr9
	s_and_saveexec_b64 s[42:43], s[40:41]
	s_xor_b64 s[40:41], exec, s[42:43]
; %bb.985:                              ;   in Loop: Header=BB4_816 Depth=2
	v_bfe_u32 v9, v28, 16, 1
	v_add3_u32 v9, v28, v9, s46
                                        ; implicit-def: $vgpr28
; %bb.986:                              ;   in Loop: Header=BB4_816 Depth=2
	s_andn2_saveexec_b64 s[42:43], s[40:41]
; %bb.987:                              ;   in Loop: Header=BB4_816 Depth=2
	v_or_b32_e32 v9, 0x10000, v28
	v_cmp_eq_u32_sdwa s[40:41], v28, v2 src0_sel:WORD_0 src1_sel:DWORD
	v_cndmask_b32_e64 v9, v9, v28, s[40:41]
; %bb.988:                              ;   in Loop: Header=BB4_816 Depth=2
	s_or_b64 exec, exec, s[42:43]
	v_and_b32_e32 v20, 0xffff0000, v20
	v_and_b32_e32 v21, 0xffff0000, v21
	v_max_f32_e32 v21, v21, v21
	v_max_f32_e32 v20, v20, v20
	v_min_f32_e32 v28, v20, v21
	v_max_f32_e32 v20, v20, v21
	v_cndmask_b32_e32 v21, v20, v28, vcc
	v_and_b32_e32 v20, 0x7f800000, v21
	v_cmp_ne_u32_e64 s[40:41], s57, v20
                                        ; implicit-def: $vgpr20
	s_and_saveexec_b64 s[42:43], s[40:41]
	s_xor_b64 s[40:41], exec, s[42:43]
; %bb.989:                              ;   in Loop: Header=BB4_816 Depth=2
	v_bfe_u32 v20, v21, 16, 1
	v_add3_u32 v20, v21, v20, s46
                                        ; implicit-def: $vgpr21
; %bb.990:                              ;   in Loop: Header=BB4_816 Depth=2
	s_andn2_saveexec_b64 s[42:43], s[40:41]
; %bb.991:                              ;   in Loop: Header=BB4_816 Depth=2
	v_or_b32_e32 v20, 0x10000, v21
	v_cmp_eq_u32_sdwa s[40:41], v21, v2 src0_sel:WORD_0 src1_sel:DWORD
	v_cndmask_b32_e64 v20, v20, v21, s[40:41]
; %bb.992:                              ;   in Loop: Header=BB4_816 Depth=2
	s_or_b64 exec, exec, s[42:43]
	v_lshlrev_b32_e32 v21, 16, v10
	s_waitcnt vmcnt(2)
	v_lshlrev_b32_e32 v28, 16, v11
	v_max_f32_e32 v28, v28, v28
	v_max_f32_e32 v21, v21, v21
	v_min_f32_e32 v34, v21, v28
	v_max_f32_e32 v21, v21, v28
	v_cndmask_b32_e32 v28, v21, v34, vcc
	v_and_b32_e32 v21, 0x7f800000, v28
	v_cmp_ne_u32_e64 s[40:41], s57, v21
                                        ; implicit-def: $vgpr21
	s_and_saveexec_b64 s[42:43], s[40:41]
	s_xor_b64 s[40:41], exec, s[42:43]
; %bb.993:                              ;   in Loop: Header=BB4_816 Depth=2
	v_bfe_u32 v21, v28, 16, 1
	v_add3_u32 v21, v28, v21, s46
                                        ; implicit-def: $vgpr28
; %bb.994:                              ;   in Loop: Header=BB4_816 Depth=2
	s_andn2_saveexec_b64 s[42:43], s[40:41]
; %bb.995:                              ;   in Loop: Header=BB4_816 Depth=2
	v_or_b32_e32 v21, 0x10000, v28
	v_cmp_eq_u32_sdwa s[40:41], v28, v2 src0_sel:WORD_0 src1_sel:DWORD
	v_cndmask_b32_e64 v21, v21, v28, s[40:41]
; %bb.996:                              ;   in Loop: Header=BB4_816 Depth=2
	s_or_b64 exec, exec, s[42:43]
	v_and_b32_e32 v10, 0xffff0000, v10
	v_and_b32_e32 v11, 0xffff0000, v11
	v_max_f32_e32 v11, v11, v11
	v_max_f32_e32 v10, v10, v10
	v_min_f32_e32 v28, v10, v11
	v_max_f32_e32 v10, v10, v11
	v_cndmask_b32_e32 v11, v10, v28, vcc
	v_and_b32_e32 v10, 0x7f800000, v11
	v_cmp_ne_u32_e64 s[40:41], s57, v10
                                        ; implicit-def: $vgpr10
	s_and_saveexec_b64 s[42:43], s[40:41]
	s_xor_b64 s[40:41], exec, s[42:43]
; %bb.997:                              ;   in Loop: Header=BB4_816 Depth=2
	v_bfe_u32 v10, v11, 16, 1
	v_add3_u32 v10, v11, v10, s46
                                        ; implicit-def: $vgpr11
; %bb.998:                              ;   in Loop: Header=BB4_816 Depth=2
	s_andn2_saveexec_b64 s[42:43], s[40:41]
; %bb.999:                              ;   in Loop: Header=BB4_816 Depth=2
	v_or_b32_e32 v10, 0x10000, v11
	v_cmp_eq_u32_sdwa s[40:41], v11, v2 src0_sel:WORD_0 src1_sel:DWORD
	v_cndmask_b32_e64 v10, v10, v11, s[40:41]
; %bb.1000:                             ;   in Loop: Header=BB4_816 Depth=2
	s_or_b64 exec, exec, s[42:43]
	s_waitcnt vmcnt(0)
	v_lshlrev_b32_e32 v11, 16, v4
	v_lshlrev_b32_e32 v28, 16, v0
	v_max_f32_e32 v28, v28, v28
	v_max_f32_e32 v11, v11, v11
	v_min_f32_e32 v34, v11, v28
	v_max_f32_e32 v11, v11, v28
	v_cndmask_b32_e32 v28, v11, v34, vcc
	v_and_b32_e32 v11, 0x7f800000, v28
	v_cmp_ne_u32_e64 s[40:41], s57, v11
                                        ; implicit-def: $vgpr11
	s_and_saveexec_b64 s[42:43], s[40:41]
	s_xor_b64 s[40:41], exec, s[42:43]
; %bb.1001:                             ;   in Loop: Header=BB4_816 Depth=2
	v_bfe_u32 v11, v28, 16, 1
	v_add3_u32 v11, v28, v11, s46
                                        ; implicit-def: $vgpr28
; %bb.1002:                             ;   in Loop: Header=BB4_816 Depth=2
	s_andn2_saveexec_b64 s[42:43], s[40:41]
; %bb.1003:                             ;   in Loop: Header=BB4_816 Depth=2
	v_or_b32_e32 v11, 0x10000, v28
	v_cmp_eq_u32_sdwa s[40:41], v28, v2 src0_sel:WORD_0 src1_sel:DWORD
	v_cndmask_b32_e64 v11, v11, v28, s[40:41]
; %bb.1004:                             ;   in Loop: Header=BB4_816 Depth=2
	s_or_b64 exec, exec, s[42:43]
	v_and_b32_e32 v4, 0xffff0000, v4
	v_and_b32_e32 v0, 0xffff0000, v0
	v_max_f32_e32 v0, v0, v0
	v_max_f32_e32 v4, v4, v4
	v_min_f32_e32 v28, v4, v0
	v_max_f32_e32 v0, v4, v0
	v_cndmask_b32_e32 v4, v0, v28, vcc
	v_and_b32_e32 v0, 0x7f800000, v4
	v_cmp_ne_u32_e32 vcc, s57, v0
                                        ; implicit-def: $vgpr0
	s_and_saveexec_b64 s[40:41], vcc
	s_xor_b64 s[40:41], exec, s[40:41]
; %bb.1005:                             ;   in Loop: Header=BB4_816 Depth=2
	v_bfe_u32 v0, v4, 16, 1
	v_add3_u32 v0, v4, v0, s46
                                        ; implicit-def: $vgpr4
; %bb.1006:                             ;   in Loop: Header=BB4_816 Depth=2
	s_andn2_saveexec_b64 s[40:41], s[40:41]
; %bb.1007:                             ;   in Loop: Header=BB4_816 Depth=2
	v_or_b32_e32 v0, 0x10000, v4
	v_cmp_eq_u32_sdwa vcc, v4, v2 src0_sel:WORD_0 src1_sel:DWORD
	v_cndmask_b32_e32 v0, v0, v4, vcc
; %bb.1008:                             ;   in Loop: Header=BB4_816 Depth=2
	s_or_b64 exec, exec, s[40:41]
	v_lshrrev_b32_e32 v3, 16, v3
	v_and_or_b32 v8, v8, s47, v3
	v_lshrrev_b32_e32 v3, 16, v21
	v_lshrrev_b32_e32 v4, 16, v9
	v_and_or_b32 v10, v10, s47, v3
	v_lshrrev_b32_e32 v3, 16, v11
	v_and_or_b32 v9, v20, s47, v4
	v_and_or_b32 v11, v0, s47, v3
	s_mov_b64 s[94:95], 0
	s_mov_b64 s[92:93], -1
.LBB4_1009:                             ;   Parent Loop BB4_47 Depth=1
                                        ;     Parent Loop BB4_816 Depth=2
                                        ; =>    This Inner Loop Header: Depth=3
	s_cmp_eq_u32 s94, 1
	s_cselect_b64 s[40:41], -1, 0
	v_cndmask_b32_e64 v3, v13, v30, s[40:41]
	v_cndmask_b32_e64 v4, v29, v31, s[40:41]
	v_add_co_u32_e32 v0, vcc, 0x400, v3
	s_cmp_eq_u32 s94, 0
	global_store_dwordx4 v[3:4], v[8:11], off glc slc
	v_addc_co_u32_e32 v3, vcc, 0, v4, vcc
	s_cselect_b64 vcc, -1, 0
	s_and_b64 s[42:43], exec, s[92:93]
	s_mov_b64 s[94:95], 1
	v_cndmask_b32_e64 v30, v30, v0, s[40:41]
	s_mov_b64 s[92:93], 0
	v_cndmask_b32_e64 v31, v31, v3, s[40:41]
	v_cndmask_b32_e32 v29, v29, v3, vcc
	v_cndmask_b32_e32 v13, v13, v0, vcc
	s_mov_b64 vcc, s[42:43]
	s_cbranch_vccnz .LBB4_1009
.LBB4_1010:                             ;   in Loop: Header=BB4_816 Depth=2
	s_or_b64 exec, exec, s[44:45]
	v_and_b32_e32 v3, 14, v42
	v_cndmask_b32_e64 v13, v26, v3, s[28:29]
	v_cmp_ne_u32_e32 vcc, 0, v13
                                        ; implicit-def: $vgpr50
                                        ; implicit-def: $vgpr31
                                        ; implicit-def: $vgpr0
                                        ; implicit-def: $vgpr51
	s_and_saveexec_b64 s[92:93], vcc
	s_cbranch_execz .LBB4_1130
; %bb.1011:                             ;   in Loop: Header=BB4_816 Depth=2
	v_sub_u32_e32 v0, v26, v3
	buffer_load_dword v3, off, s[0:3], s33 offset:188 ; 4-byte Folded Reload
	v_cndmask_b32_e64 v0, 0, v0, s[28:29]
	v_cmp_lt_i32_e32 vcc, 0, v27
	v_add_u32_e32 v15, v0, v15
	v_cndmask_b32_e32 v0, 0, v57, vcc
	v_sub_u32_e32 v0, v0, v27
	s_mov_b64 s[40:41], 0
	s_waitcnt vmcnt(0)
	v_lshl_or_b32 v0, v0, 6, v3
	v_ashrrev_i32_e32 v3, 31, v0
	v_lshrrev_b32_e32 v3, 26, v3
	v_add_u32_e32 v3, v0, v3
	v_ashrrev_i32_e32 v4, 6, v3
	v_and_b32_e32 v3, 0xffffffc0, v3
	v_sub_u32_e32 v26, v0, v3
	v_lshlrev_b32_e32 v0, 4, v26
	v_lshl_add_u32 v3, v4, 10, v0
	v_add_u32_e32 v0, v3, v15
	v_sub_u32_e32 v53, v13, v3
	v_ashrrev_i32_e32 v3, 31, v13
	v_lshrrev_b32_e32 v3, 22, v3
	v_add_u32_e32 v3, v13, v3
	v_and_b32_e32 v27, 0xfffffc00, v3
	v_sub_u32_e32 v29, v13, v27
	v_ashrrev_i32_e32 v8, 10, v3
	v_cmp_lt_i32_e64 s[28:29], 15, v29
	v_addc_co_u32_e64 v8, vcc, 0, v8, s[28:29]
	v_sub_u32_e32 v30, v8, v4
	buffer_load_dword v8, off, s[0:3], s33 offset:232 ; 4-byte Folded Reload
	buffer_load_dword v9, off, s[0:3], s33 offset:236 ; 4-byte Folded Reload
	v_ashrrev_i32_e32 v3, 31, v0
	s_waitcnt vmcnt(1)
	v_add_co_u32_e32 v31, vcc, v0, v8
	s_waitcnt vmcnt(0)
	v_addc_co_u32_e32 v50, vcc, v3, v9, vcc
	v_add_co_u32_e32 v51, vcc, v0, v22
	v_addc_co_u32_e32 v52, vcc, v3, v23, vcc
	v_cmp_lt_i32_e32 vcc, 15, v53
	s_and_saveexec_b64 s[94:95], vcc
	s_cbranch_execz .LBB4_1092
; %bb.1012:                             ;   in Loop: Header=BB4_816 Depth=2
	v_add_co_u32_e32 v56, vcc, v0, v18
	v_addc_co_u32_e32 v60, vcc, v3, v19, vcc
	s_and_b32 s40, 0xffff, s8
	s_waitcnt lgkmcnt(0)
	v_add_co_u32_e32 v24, vcc, v0, v24
	s_cmp_eq_u32 s40, 0
	v_addc_co_u32_e32 v25, vcc, v3, v25, vcc
	s_mov_b64 s[36:37], 0
	s_mov_b64 s[30:31], 0
	s_cselect_b64 s[40:41], -1, 0
                                        ; implicit-def: $sgpr34_sgpr35
	s_branch .LBB4_1014
.LBB4_1013:                             ;   in Loop: Header=BB4_1014 Depth=3
	s_or_b64 exec, exec, s[42:43]
	v_cmp_gt_i32_e32 vcc, 16, v53
	s_or_b64 s[30:31], vcc, s[30:31]
	s_andn2_b64 s[42:43], s[34:35], exec
	s_and_b64 s[44:45], s[36:37], exec
	s_or_b64 s[34:35], s[42:43], s[44:45]
	s_andn2_b64 exec, exec, s[30:31]
	s_cbranch_execz .LBB4_1091
.LBB4_1014:                             ;   Parent Loop BB4_47 Depth=1
                                        ;     Parent Loop BB4_816 Depth=2
                                        ; =>    This Loop Header: Depth=3
                                        ;         Child Loop BB4_1015 Depth 4
                                        ;         Child Loop BB4_1050 Depth 4
	;; [unrolled: 1-line block ×4, first 2 shown]
	s_lshr_b32 s48, s33, 6
	s_add_i32 s48, s48, 64
	s_mov_b64 s[44:45], -1
	s_mov_b64 s[38:39], 0
.LBB4_1015:                             ;   Parent Loop BB4_47 Depth=1
                                        ;     Parent Loop BB4_816 Depth=2
                                        ;       Parent Loop BB4_1014 Depth=3
                                        ; =>      This Inner Loop Header: Depth=4
	s_cmp_eq_u32 s38, 1
	s_cselect_b64 s[42:43], -1, 0
	v_cndmask_b32_e64 v4, v60, v25, s[42:43]
	v_cndmask_b32_e64 v3, v56, v24, s[42:43]
	global_load_dwordx4 v[8:11], v[3:4], off glc slc
	v_mov_b32_e32 v0, s48
	s_cmp_eq_u32 s38, 0
	s_mov_b64 s[38:39], 1
	s_mov_b32 s48, s82
	s_waitcnt vmcnt(0)
	buffer_store_dword v9, v0, s[0:3], 0 offen offset:4
	buffer_store_dword v8, v0, s[0:3], 0 offen
	buffer_store_dword v11, v0, s[0:3], 0 offen offset:12
	buffer_store_dword v10, v0, s[0:3], 0 offen offset:8
	v_add_co_u32_e32 v0, vcc, s52, v3
	v_addc_co_u32_e32 v3, vcc, 0, v4, vcc
	s_cselect_b64 vcc, -1, 0
	v_cndmask_b32_e32 v60, v60, v3, vcc
	v_cndmask_b32_e32 v56, v56, v0, vcc
	v_cndmask_b32_e64 v25, v25, v3, s[42:43]
	v_cndmask_b32_e64 v24, v24, v0, s[42:43]
	s_and_b64 vcc, exec, s[44:45]
	s_mov_b64 s[44:45], 0
	s_cbranch_vccnz .LBB4_1015
; %bb.1016:                             ;   in Loop: Header=BB4_1014 Depth=3
	s_and_saveexec_b64 s[38:39], s[36:37]
	s_cbranch_execz .LBB4_1052
; %bb.1017:                             ;   in Loop: Header=BB4_1014 Depth=3
	buffer_load_dword v8, off, s[0:3], s33 offset:96
	buffer_load_dword v9, off, s[0:3], s33 offset:112
	;; [unrolled: 1-line block ×8, first 2 shown]
	s_waitcnt vmcnt(7)
	v_lshlrev_b32_e32 v3, 16, v8
	s_waitcnt vmcnt(6)
	v_lshlrev_b32_e32 v28, 16, v9
	v_max_f32_e32 v28, v28, v28
	v_max_f32_e32 v3, v3, v3
	v_min_f32_e32 v34, v3, v28
	v_max_f32_e32 v3, v3, v28
	v_cndmask_b32_e64 v28, v3, v34, s[40:41]
	v_and_b32_e32 v3, 0x7f800000, v28
	v_cmp_ne_u32_e32 vcc, s57, v3
                                        ; implicit-def: $vgpr3
	s_and_saveexec_b64 s[42:43], vcc
	s_xor_b64 s[42:43], exec, s[42:43]
; %bb.1018:                             ;   in Loop: Header=BB4_1014 Depth=3
	v_bfe_u32 v3, v28, 16, 1
	v_add3_u32 v3, v28, v3, s46
                                        ; implicit-def: $vgpr28
; %bb.1019:                             ;   in Loop: Header=BB4_1014 Depth=3
	s_andn2_saveexec_b64 s[42:43], s[42:43]
; %bb.1020:                             ;   in Loop: Header=BB4_1014 Depth=3
	v_or_b32_e32 v3, 0x10000, v28
	v_cmp_eq_u32_sdwa vcc, v28, v2 src0_sel:WORD_0 src1_sel:DWORD
	v_cndmask_b32_e32 v3, v3, v28, vcc
; %bb.1021:                             ;   in Loop: Header=BB4_1014 Depth=3
	s_or_b64 exec, exec, s[42:43]
	v_and_b32_e32 v8, 0xffff0000, v8
	v_and_b32_e32 v9, 0xffff0000, v9
	v_max_f32_e32 v9, v9, v9
	v_max_f32_e32 v8, v8, v8
	v_min_f32_e32 v28, v8, v9
	v_max_f32_e32 v8, v8, v9
	v_cndmask_b32_e64 v9, v8, v28, s[40:41]
	v_and_b32_e32 v8, 0x7f800000, v9
	v_cmp_ne_u32_e32 vcc, s57, v8
                                        ; implicit-def: $vgpr8
	s_and_saveexec_b64 s[42:43], vcc
	s_xor_b64 s[42:43], exec, s[42:43]
; %bb.1022:                             ;   in Loop: Header=BB4_1014 Depth=3
	v_bfe_u32 v8, v9, 16, 1
	v_add3_u32 v8, v9, v8, s46
                                        ; implicit-def: $vgpr9
; %bb.1023:                             ;   in Loop: Header=BB4_1014 Depth=3
	s_andn2_saveexec_b64 s[42:43], s[42:43]
; %bb.1024:                             ;   in Loop: Header=BB4_1014 Depth=3
	v_or_b32_e32 v8, 0x10000, v9
	v_cmp_eq_u32_sdwa vcc, v9, v2 src0_sel:WORD_0 src1_sel:DWORD
	v_cndmask_b32_e32 v8, v8, v9, vcc
; %bb.1025:                             ;   in Loop: Header=BB4_1014 Depth=3
	s_or_b64 exec, exec, s[42:43]
	s_waitcnt vmcnt(5)
	v_lshlrev_b32_e32 v9, 16, v20
	s_waitcnt vmcnt(3)
	v_lshlrev_b32_e32 v28, 16, v21
	v_max_f32_e32 v28, v28, v28
	v_max_f32_e32 v9, v9, v9
	v_min_f32_e32 v34, v9, v28
	v_max_f32_e32 v9, v9, v28
	v_cndmask_b32_e64 v28, v9, v34, s[40:41]
	v_and_b32_e32 v9, 0x7f800000, v28
	v_cmp_ne_u32_e32 vcc, s57, v9
                                        ; implicit-def: $vgpr9
	s_and_saveexec_b64 s[42:43], vcc
	s_xor_b64 s[42:43], exec, s[42:43]
; %bb.1026:                             ;   in Loop: Header=BB4_1014 Depth=3
	v_bfe_u32 v9, v28, 16, 1
	v_add3_u32 v9, v28, v9, s46
                                        ; implicit-def: $vgpr28
; %bb.1027:                             ;   in Loop: Header=BB4_1014 Depth=3
	s_andn2_saveexec_b64 s[42:43], s[42:43]
; %bb.1028:                             ;   in Loop: Header=BB4_1014 Depth=3
	v_or_b32_e32 v9, 0x10000, v28
	v_cmp_eq_u32_sdwa vcc, v28, v2 src0_sel:WORD_0 src1_sel:DWORD
	v_cndmask_b32_e32 v9, v9, v28, vcc
; %bb.1029:                             ;   in Loop: Header=BB4_1014 Depth=3
	s_or_b64 exec, exec, s[42:43]
	v_and_b32_e32 v20, 0xffff0000, v20
	v_and_b32_e32 v21, 0xffff0000, v21
	v_max_f32_e32 v21, v21, v21
	v_max_f32_e32 v20, v20, v20
	v_min_f32_e32 v28, v20, v21
	v_max_f32_e32 v20, v20, v21
	v_cndmask_b32_e64 v21, v20, v28, s[40:41]
	v_and_b32_e32 v20, 0x7f800000, v21
	v_cmp_ne_u32_e32 vcc, s57, v20
                                        ; implicit-def: $vgpr20
	s_and_saveexec_b64 s[42:43], vcc
	s_xor_b64 s[42:43], exec, s[42:43]
; %bb.1030:                             ;   in Loop: Header=BB4_1014 Depth=3
	v_bfe_u32 v20, v21, 16, 1
	v_add3_u32 v20, v21, v20, s46
                                        ; implicit-def: $vgpr21
; %bb.1031:                             ;   in Loop: Header=BB4_1014 Depth=3
	s_andn2_saveexec_b64 s[42:43], s[42:43]
; %bb.1032:                             ;   in Loop: Header=BB4_1014 Depth=3
	v_or_b32_e32 v20, 0x10000, v21
	v_cmp_eq_u32_sdwa vcc, v21, v2 src0_sel:WORD_0 src1_sel:DWORD
	v_cndmask_b32_e32 v20, v20, v21, vcc
; %bb.1033:                             ;   in Loop: Header=BB4_1014 Depth=3
	s_or_b64 exec, exec, s[42:43]
	v_lshlrev_b32_e32 v21, 16, v10
	s_waitcnt vmcnt(2)
	v_lshlrev_b32_e32 v28, 16, v11
	v_max_f32_e32 v28, v28, v28
	v_max_f32_e32 v21, v21, v21
	v_min_f32_e32 v34, v21, v28
	v_max_f32_e32 v21, v21, v28
	v_cndmask_b32_e64 v28, v21, v34, s[40:41]
	v_and_b32_e32 v21, 0x7f800000, v28
	v_cmp_ne_u32_e32 vcc, s57, v21
                                        ; implicit-def: $vgpr21
	s_and_saveexec_b64 s[42:43], vcc
	s_xor_b64 s[42:43], exec, s[42:43]
; %bb.1034:                             ;   in Loop: Header=BB4_1014 Depth=3
	v_bfe_u32 v21, v28, 16, 1
	v_add3_u32 v21, v28, v21, s46
                                        ; implicit-def: $vgpr28
; %bb.1035:                             ;   in Loop: Header=BB4_1014 Depth=3
	s_andn2_saveexec_b64 s[42:43], s[42:43]
; %bb.1036:                             ;   in Loop: Header=BB4_1014 Depth=3
	v_or_b32_e32 v21, 0x10000, v28
	v_cmp_eq_u32_sdwa vcc, v28, v2 src0_sel:WORD_0 src1_sel:DWORD
	v_cndmask_b32_e32 v21, v21, v28, vcc
; %bb.1037:                             ;   in Loop: Header=BB4_1014 Depth=3
	s_or_b64 exec, exec, s[42:43]
	v_and_b32_e32 v10, 0xffff0000, v10
	v_and_b32_e32 v11, 0xffff0000, v11
	v_max_f32_e32 v11, v11, v11
	v_max_f32_e32 v10, v10, v10
	v_min_f32_e32 v28, v10, v11
	v_max_f32_e32 v10, v10, v11
	v_cndmask_b32_e64 v11, v10, v28, s[40:41]
	v_and_b32_e32 v10, 0x7f800000, v11
	v_cmp_ne_u32_e32 vcc, s57, v10
                                        ; implicit-def: $vgpr10
	s_and_saveexec_b64 s[42:43], vcc
	s_xor_b64 s[42:43], exec, s[42:43]
; %bb.1038:                             ;   in Loop: Header=BB4_1014 Depth=3
	v_bfe_u32 v10, v11, 16, 1
	v_add3_u32 v10, v11, v10, s46
                                        ; implicit-def: $vgpr11
; %bb.1039:                             ;   in Loop: Header=BB4_1014 Depth=3
	s_andn2_saveexec_b64 s[42:43], s[42:43]
; %bb.1040:                             ;   in Loop: Header=BB4_1014 Depth=3
	v_or_b32_e32 v10, 0x10000, v11
	v_cmp_eq_u32_sdwa vcc, v11, v2 src0_sel:WORD_0 src1_sel:DWORD
	v_cndmask_b32_e32 v10, v10, v11, vcc
; %bb.1041:                             ;   in Loop: Header=BB4_1014 Depth=3
	s_or_b64 exec, exec, s[42:43]
	s_waitcnt vmcnt(0)
	v_lshlrev_b32_e32 v11, 16, v4
	v_lshlrev_b32_e32 v28, 16, v0
	v_max_f32_e32 v28, v28, v28
	v_max_f32_e32 v11, v11, v11
	v_min_f32_e32 v34, v11, v28
	v_max_f32_e32 v11, v11, v28
	v_cndmask_b32_e64 v28, v11, v34, s[40:41]
	v_and_b32_e32 v11, 0x7f800000, v28
	v_cmp_ne_u32_e32 vcc, s57, v11
                                        ; implicit-def: $vgpr11
	s_and_saveexec_b64 s[42:43], vcc
	s_xor_b64 s[42:43], exec, s[42:43]
; %bb.1042:                             ;   in Loop: Header=BB4_1014 Depth=3
	v_bfe_u32 v11, v28, 16, 1
	v_add3_u32 v11, v28, v11, s46
                                        ; implicit-def: $vgpr28
; %bb.1043:                             ;   in Loop: Header=BB4_1014 Depth=3
	s_andn2_saveexec_b64 s[42:43], s[42:43]
; %bb.1044:                             ;   in Loop: Header=BB4_1014 Depth=3
	v_or_b32_e32 v11, 0x10000, v28
	v_cmp_eq_u32_sdwa vcc, v28, v2 src0_sel:WORD_0 src1_sel:DWORD
	v_cndmask_b32_e32 v11, v11, v28, vcc
; %bb.1045:                             ;   in Loop: Header=BB4_1014 Depth=3
	s_or_b64 exec, exec, s[42:43]
	v_and_b32_e32 v4, 0xffff0000, v4
	v_and_b32_e32 v0, 0xffff0000, v0
	v_max_f32_e32 v0, v0, v0
	v_max_f32_e32 v4, v4, v4
	v_min_f32_e32 v28, v4, v0
	v_max_f32_e32 v0, v4, v0
	v_cndmask_b32_e64 v4, v0, v28, s[40:41]
	v_and_b32_e32 v0, 0x7f800000, v4
	v_cmp_ne_u32_e32 vcc, s57, v0
                                        ; implicit-def: $vgpr0
	s_and_saveexec_b64 s[42:43], vcc
	s_xor_b64 s[42:43], exec, s[42:43]
; %bb.1046:                             ;   in Loop: Header=BB4_1014 Depth=3
	v_bfe_u32 v0, v4, 16, 1
	v_add3_u32 v0, v4, v0, s46
                                        ; implicit-def: $vgpr4
; %bb.1047:                             ;   in Loop: Header=BB4_1014 Depth=3
	s_andn2_saveexec_b64 s[42:43], s[42:43]
; %bb.1048:                             ;   in Loop: Header=BB4_1014 Depth=3
	v_or_b32_e32 v0, 0x10000, v4
	v_cmp_eq_u32_sdwa vcc, v4, v2 src0_sel:WORD_0 src1_sel:DWORD
	v_cndmask_b32_e32 v0, v0, v4, vcc
; %bb.1049:                             ;   in Loop: Header=BB4_1014 Depth=3
	s_or_b64 exec, exec, s[42:43]
	v_lshrrev_b32_e32 v3, 16, v3
	v_and_or_b32 v8, v8, s47, v3
	v_lshrrev_b32_e32 v3, 16, v21
	v_lshrrev_b32_e32 v4, 16, v9
	v_and_or_b32 v10, v10, s47, v3
	v_lshrrev_b32_e32 v3, 16, v11
	v_and_or_b32 v9, v20, s47, v4
	v_and_or_b32 v11, v0, s47, v3
	s_mov_b64 s[48:49], 0
	s_mov_b64 s[36:37], -1
	buffer_store_dword v9, off, s[0:3], s33 offset:100
	buffer_store_dword v8, off, s[0:3], s33 offset:96
	;; [unrolled: 1-line block ×4, first 2 shown]
.LBB4_1050:                             ;   Parent Loop BB4_47 Depth=1
                                        ;     Parent Loop BB4_816 Depth=2
                                        ;       Parent Loop BB4_1014 Depth=3
                                        ; =>      This Inner Loop Header: Depth=4
	s_cmp_eq_u32 s48, 1
	s_cselect_b64 s[42:43], -1, 0
	v_cndmask_b32_e64 v3, v31, v51, s[42:43]
	v_cndmask_b32_e64 v4, v50, v52, s[42:43]
	v_add_co_u32_e32 v0, vcc, 0x400, v3
	s_cmp_eq_u32 s48, 0
	global_store_dwordx4 v[3:4], v[8:11], off glc slc
	v_addc_co_u32_e32 v3, vcc, 0, v4, vcc
	s_cselect_b64 vcc, -1, 0
	s_and_b64 s[44:45], exec, s[36:37]
	s_mov_b64 s[48:49], 1
	v_cndmask_b32_e64 v51, v51, v0, s[42:43]
	s_mov_b64 s[36:37], 0
	v_cndmask_b32_e64 v52, v52, v3, s[42:43]
	v_cndmask_b32_e32 v50, v50, v3, vcc
	v_cndmask_b32_e32 v31, v31, v0, vcc
	s_mov_b64 vcc, s[44:45]
	s_cbranch_vccnz .LBB4_1050
; %bb.1051:                             ;   in Loop: Header=BB4_1014 Depth=3
	v_add_co_u32_e32 v31, vcc, v31, v6
	v_addc_co_u32_e32 v50, vcc, v50, v43, vcc
	v_add_co_u32_e32 v51, vcc, v51, v6
	v_addc_co_u32_e32 v52, vcc, v52, v43, vcc
.LBB4_1052:                             ;   in Loop: Header=BB4_1014 Depth=3
	s_or_b64 exec, exec, s[38:39]
	v_add_co_u32_e32 v56, vcc, v56, v6
	v_addc_co_u32_e32 v60, vcc, v60, v43, vcc
	v_add_co_u32_e32 v24, vcc, v24, v6
	v_sub_u32_e32 v53, v53, v1
	v_addc_co_u32_e32 v25, vcc, v25, v43, vcc
	v_cmp_lt_i32_e64 s[36:37], 15, v53
	s_and_saveexec_b64 s[44:45], s[36:37]
	s_cbranch_execz .LBB4_1055
; %bb.1053:                             ;   in Loop: Header=BB4_1014 Depth=3
	s_lshr_b32 s81, s33, 6
	s_addk_i32 s81, 0x60
	s_mov_b64 s[48:49], 0
	s_mov_b64 s[38:39], -1
.LBB4_1054:                             ;   Parent Loop BB4_47 Depth=1
                                        ;     Parent Loop BB4_816 Depth=2
                                        ;       Parent Loop BB4_1014 Depth=3
                                        ; =>      This Inner Loop Header: Depth=4
	s_cmp_eq_u32 s48, 1
	s_cselect_b64 s[42:43], -1, 0
	v_cndmask_b32_e64 v4, v60, v25, s[42:43]
	v_cndmask_b32_e64 v3, v56, v24, s[42:43]
	global_load_dwordx4 v[8:11], v[3:4], off glc slc
	v_mov_b32_e32 v0, s81
	s_cmp_eq_u32 s48, 0
	s_mov_b64 s[48:49], 1
	s_mov_b32 s81, s54
	s_waitcnt vmcnt(0)
	buffer_store_dword v9, v0, s[0:3], 0 offen offset:4
	buffer_store_dword v8, v0, s[0:3], 0 offen
	buffer_store_dword v11, v0, s[0:3], 0 offen offset:12
	buffer_store_dword v10, v0, s[0:3], 0 offen offset:8
	v_add_co_u32_e32 v0, vcc, s52, v3
	v_addc_co_u32_e32 v3, vcc, 0, v4, vcc
	s_cselect_b64 vcc, -1, 0
	v_cndmask_b32_e32 v60, v60, v3, vcc
	v_cndmask_b32_e32 v56, v56, v0, vcc
	v_cndmask_b32_e64 v25, v25, v3, s[42:43]
	v_cndmask_b32_e64 v24, v24, v0, s[42:43]
	s_and_b64 vcc, exec, s[38:39]
	s_mov_b64 s[38:39], 0
	s_cbranch_vccnz .LBB4_1054
.LBB4_1055:                             ;   in Loop: Header=BB4_1014 Depth=3
	s_or_b64 exec, exec, s[44:45]
	buffer_load_dword v8, off, s[0:3], s33 offset:64
	buffer_load_dword v9, off, s[0:3], s33 offset:80
	;; [unrolled: 1-line block ×8, first 2 shown]
	s_waitcnt vmcnt(7)
	v_lshlrev_b32_e32 v3, 16, v8
	s_waitcnt vmcnt(6)
	v_lshlrev_b32_e32 v28, 16, v9
	v_max_f32_e32 v28, v28, v28
	v_max_f32_e32 v3, v3, v3
	v_min_f32_e32 v34, v3, v28
	v_max_f32_e32 v3, v3, v28
	v_cndmask_b32_e64 v28, v3, v34, s[40:41]
	v_and_b32_e32 v3, 0x7f800000, v28
	v_cmp_ne_u32_e32 vcc, s57, v3
                                        ; implicit-def: $vgpr3
	s_and_saveexec_b64 s[42:43], vcc
	s_xor_b64 s[42:43], exec, s[42:43]
; %bb.1056:                             ;   in Loop: Header=BB4_1014 Depth=3
	v_bfe_u32 v3, v28, 16, 1
	v_add3_u32 v3, v28, v3, s46
                                        ; implicit-def: $vgpr28
; %bb.1057:                             ;   in Loop: Header=BB4_1014 Depth=3
	s_andn2_saveexec_b64 s[42:43], s[42:43]
; %bb.1058:                             ;   in Loop: Header=BB4_1014 Depth=3
	v_or_b32_e32 v3, 0x10000, v28
	v_cmp_eq_u32_sdwa vcc, v28, v2 src0_sel:WORD_0 src1_sel:DWORD
	v_cndmask_b32_e32 v3, v3, v28, vcc
; %bb.1059:                             ;   in Loop: Header=BB4_1014 Depth=3
	s_or_b64 exec, exec, s[42:43]
	v_and_b32_e32 v8, 0xffff0000, v8
	v_and_b32_e32 v9, 0xffff0000, v9
	v_max_f32_e32 v9, v9, v9
	v_max_f32_e32 v8, v8, v8
	v_min_f32_e32 v28, v8, v9
	v_max_f32_e32 v8, v8, v9
	v_cndmask_b32_e64 v9, v8, v28, s[40:41]
	v_and_b32_e32 v8, 0x7f800000, v9
	v_cmp_ne_u32_e32 vcc, s57, v8
                                        ; implicit-def: $vgpr8
	s_and_saveexec_b64 s[42:43], vcc
	s_xor_b64 s[42:43], exec, s[42:43]
; %bb.1060:                             ;   in Loop: Header=BB4_1014 Depth=3
	v_bfe_u32 v8, v9, 16, 1
	v_add3_u32 v8, v9, v8, s46
                                        ; implicit-def: $vgpr9
; %bb.1061:                             ;   in Loop: Header=BB4_1014 Depth=3
	s_andn2_saveexec_b64 s[42:43], s[42:43]
; %bb.1062:                             ;   in Loop: Header=BB4_1014 Depth=3
	v_or_b32_e32 v8, 0x10000, v9
	v_cmp_eq_u32_sdwa vcc, v9, v2 src0_sel:WORD_0 src1_sel:DWORD
	v_cndmask_b32_e32 v8, v8, v9, vcc
; %bb.1063:                             ;   in Loop: Header=BB4_1014 Depth=3
	s_or_b64 exec, exec, s[42:43]
	s_waitcnt vmcnt(5)
	v_lshlrev_b32_e32 v9, 16, v20
	s_waitcnt vmcnt(3)
	v_lshlrev_b32_e32 v28, 16, v21
	v_max_f32_e32 v28, v28, v28
	v_max_f32_e32 v9, v9, v9
	v_min_f32_e32 v34, v9, v28
	v_max_f32_e32 v9, v9, v28
	v_cndmask_b32_e64 v28, v9, v34, s[40:41]
	v_and_b32_e32 v9, 0x7f800000, v28
	v_cmp_ne_u32_e32 vcc, s57, v9
                                        ; implicit-def: $vgpr9
	s_and_saveexec_b64 s[42:43], vcc
	s_xor_b64 s[42:43], exec, s[42:43]
; %bb.1064:                             ;   in Loop: Header=BB4_1014 Depth=3
	v_bfe_u32 v9, v28, 16, 1
	v_add3_u32 v9, v28, v9, s46
                                        ; implicit-def: $vgpr28
; %bb.1065:                             ;   in Loop: Header=BB4_1014 Depth=3
	s_andn2_saveexec_b64 s[42:43], s[42:43]
; %bb.1066:                             ;   in Loop: Header=BB4_1014 Depth=3
	v_or_b32_e32 v9, 0x10000, v28
	v_cmp_eq_u32_sdwa vcc, v28, v2 src0_sel:WORD_0 src1_sel:DWORD
	v_cndmask_b32_e32 v9, v9, v28, vcc
; %bb.1067:                             ;   in Loop: Header=BB4_1014 Depth=3
	s_or_b64 exec, exec, s[42:43]
	v_and_b32_e32 v20, 0xffff0000, v20
	v_and_b32_e32 v21, 0xffff0000, v21
	v_max_f32_e32 v21, v21, v21
	v_max_f32_e32 v20, v20, v20
	v_min_f32_e32 v28, v20, v21
	v_max_f32_e32 v20, v20, v21
	v_cndmask_b32_e64 v21, v20, v28, s[40:41]
	v_and_b32_e32 v20, 0x7f800000, v21
	v_cmp_ne_u32_e32 vcc, s57, v20
                                        ; implicit-def: $vgpr20
	s_and_saveexec_b64 s[42:43], vcc
	s_xor_b64 s[42:43], exec, s[42:43]
; %bb.1068:                             ;   in Loop: Header=BB4_1014 Depth=3
	v_bfe_u32 v20, v21, 16, 1
	v_add3_u32 v20, v21, v20, s46
                                        ; implicit-def: $vgpr21
; %bb.1069:                             ;   in Loop: Header=BB4_1014 Depth=3
	s_andn2_saveexec_b64 s[42:43], s[42:43]
; %bb.1070:                             ;   in Loop: Header=BB4_1014 Depth=3
	v_or_b32_e32 v20, 0x10000, v21
	v_cmp_eq_u32_sdwa vcc, v21, v2 src0_sel:WORD_0 src1_sel:DWORD
	v_cndmask_b32_e32 v20, v20, v21, vcc
; %bb.1071:                             ;   in Loop: Header=BB4_1014 Depth=3
	s_or_b64 exec, exec, s[42:43]
	v_lshlrev_b32_e32 v21, 16, v10
	s_waitcnt vmcnt(2)
	v_lshlrev_b32_e32 v28, 16, v11
	v_max_f32_e32 v28, v28, v28
	v_max_f32_e32 v21, v21, v21
	v_min_f32_e32 v34, v21, v28
	v_max_f32_e32 v21, v21, v28
	v_cndmask_b32_e64 v28, v21, v34, s[40:41]
	v_and_b32_e32 v21, 0x7f800000, v28
	v_cmp_ne_u32_e32 vcc, s57, v21
                                        ; implicit-def: $vgpr21
	s_and_saveexec_b64 s[42:43], vcc
	s_xor_b64 s[42:43], exec, s[42:43]
; %bb.1072:                             ;   in Loop: Header=BB4_1014 Depth=3
	v_bfe_u32 v21, v28, 16, 1
	v_add3_u32 v21, v28, v21, s46
                                        ; implicit-def: $vgpr28
; %bb.1073:                             ;   in Loop: Header=BB4_1014 Depth=3
	s_andn2_saveexec_b64 s[42:43], s[42:43]
; %bb.1074:                             ;   in Loop: Header=BB4_1014 Depth=3
	v_or_b32_e32 v21, 0x10000, v28
	v_cmp_eq_u32_sdwa vcc, v28, v2 src0_sel:WORD_0 src1_sel:DWORD
	v_cndmask_b32_e32 v21, v21, v28, vcc
; %bb.1075:                             ;   in Loop: Header=BB4_1014 Depth=3
	s_or_b64 exec, exec, s[42:43]
	v_and_b32_e32 v10, 0xffff0000, v10
	v_and_b32_e32 v11, 0xffff0000, v11
	v_max_f32_e32 v11, v11, v11
	v_max_f32_e32 v10, v10, v10
	v_min_f32_e32 v28, v10, v11
	v_max_f32_e32 v10, v10, v11
	v_cndmask_b32_e64 v11, v10, v28, s[40:41]
	v_and_b32_e32 v10, 0x7f800000, v11
	v_cmp_ne_u32_e32 vcc, s57, v10
                                        ; implicit-def: $vgpr10
	s_and_saveexec_b64 s[42:43], vcc
	s_xor_b64 s[42:43], exec, s[42:43]
; %bb.1076:                             ;   in Loop: Header=BB4_1014 Depth=3
	v_bfe_u32 v10, v11, 16, 1
	v_add3_u32 v10, v11, v10, s46
                                        ; implicit-def: $vgpr11
; %bb.1077:                             ;   in Loop: Header=BB4_1014 Depth=3
	s_andn2_saveexec_b64 s[42:43], s[42:43]
; %bb.1078:                             ;   in Loop: Header=BB4_1014 Depth=3
	v_or_b32_e32 v10, 0x10000, v11
	v_cmp_eq_u32_sdwa vcc, v11, v2 src0_sel:WORD_0 src1_sel:DWORD
	v_cndmask_b32_e32 v10, v10, v11, vcc
; %bb.1079:                             ;   in Loop: Header=BB4_1014 Depth=3
	s_or_b64 exec, exec, s[42:43]
	s_waitcnt vmcnt(0)
	v_lshlrev_b32_e32 v11, 16, v4
	v_lshlrev_b32_e32 v28, 16, v0
	v_max_f32_e32 v28, v28, v28
	v_max_f32_e32 v11, v11, v11
	v_min_f32_e32 v34, v11, v28
	v_max_f32_e32 v11, v11, v28
	v_cndmask_b32_e64 v28, v11, v34, s[40:41]
	v_and_b32_e32 v11, 0x7f800000, v28
	v_cmp_ne_u32_e32 vcc, s57, v11
                                        ; implicit-def: $vgpr11
	s_and_saveexec_b64 s[42:43], vcc
	s_xor_b64 s[42:43], exec, s[42:43]
; %bb.1080:                             ;   in Loop: Header=BB4_1014 Depth=3
	v_bfe_u32 v11, v28, 16, 1
	v_add3_u32 v11, v28, v11, s46
                                        ; implicit-def: $vgpr28
; %bb.1081:                             ;   in Loop: Header=BB4_1014 Depth=3
	s_andn2_saveexec_b64 s[42:43], s[42:43]
; %bb.1082:                             ;   in Loop: Header=BB4_1014 Depth=3
	v_or_b32_e32 v11, 0x10000, v28
	v_cmp_eq_u32_sdwa vcc, v28, v2 src0_sel:WORD_0 src1_sel:DWORD
	v_cndmask_b32_e32 v11, v11, v28, vcc
; %bb.1083:                             ;   in Loop: Header=BB4_1014 Depth=3
	s_or_b64 exec, exec, s[42:43]
	v_and_b32_e32 v4, 0xffff0000, v4
	v_and_b32_e32 v0, 0xffff0000, v0
	v_max_f32_e32 v0, v0, v0
	v_max_f32_e32 v4, v4, v4
	v_min_f32_e32 v28, v4, v0
	v_max_f32_e32 v0, v4, v0
	v_cndmask_b32_e64 v4, v0, v28, s[40:41]
	v_and_b32_e32 v0, 0x7f800000, v4
	v_cmp_ne_u32_e32 vcc, s57, v0
                                        ; implicit-def: $vgpr0
	s_and_saveexec_b64 s[42:43], vcc
	s_xor_b64 s[42:43], exec, s[42:43]
; %bb.1084:                             ;   in Loop: Header=BB4_1014 Depth=3
	v_bfe_u32 v0, v4, 16, 1
	v_add3_u32 v0, v4, v0, s46
                                        ; implicit-def: $vgpr4
; %bb.1085:                             ;   in Loop: Header=BB4_1014 Depth=3
	s_andn2_saveexec_b64 s[42:43], s[42:43]
; %bb.1086:                             ;   in Loop: Header=BB4_1014 Depth=3
	v_or_b32_e32 v0, 0x10000, v4
	v_cmp_eq_u32_sdwa vcc, v4, v2 src0_sel:WORD_0 src1_sel:DWORD
	v_cndmask_b32_e32 v0, v0, v4, vcc
; %bb.1087:                             ;   in Loop: Header=BB4_1014 Depth=3
	s_or_b64 exec, exec, s[42:43]
	v_lshrrev_b32_e32 v3, 16, v3
	v_and_or_b32 v8, v8, s47, v3
	v_lshrrev_b32_e32 v3, 16, v21
	v_lshrrev_b32_e32 v4, 16, v9
	v_and_or_b32 v10, v10, s47, v3
	v_lshrrev_b32_e32 v3, 16, v11
	v_and_or_b32 v9, v20, s47, v4
	v_and_or_b32 v11, v0, s47, v3
	s_mov_b64 s[48:49], 0
	s_mov_b64 s[38:39], -1
	buffer_store_dword v9, off, s[0:3], s33 offset:68
	buffer_store_dword v8, off, s[0:3], s33 offset:64
	;; [unrolled: 1-line block ×4, first 2 shown]
.LBB4_1088:                             ;   Parent Loop BB4_47 Depth=1
                                        ;     Parent Loop BB4_816 Depth=2
                                        ;       Parent Loop BB4_1014 Depth=3
                                        ; =>      This Inner Loop Header: Depth=4
	s_cmp_eq_u32 s48, 1
	s_cselect_b64 s[42:43], -1, 0
	v_cndmask_b32_e64 v3, v31, v51, s[42:43]
	v_cndmask_b32_e64 v4, v50, v52, s[42:43]
	v_add_co_u32_e32 v0, vcc, 0x400, v3
	s_cmp_eq_u32 s48, 0
	global_store_dwordx4 v[3:4], v[8:11], off glc slc
	v_addc_co_u32_e32 v3, vcc, 0, v4, vcc
	s_cselect_b64 vcc, -1, 0
	s_and_b64 s[44:45], exec, s[38:39]
	s_mov_b64 s[48:49], 1
	v_cndmask_b32_e64 v51, v51, v0, s[42:43]
	s_mov_b64 s[38:39], 0
	v_cndmask_b32_e64 v52, v52, v3, s[42:43]
	v_cndmask_b32_e32 v50, v50, v3, vcc
	v_cndmask_b32_e32 v31, v31, v0, vcc
	s_mov_b64 vcc, s[44:45]
	s_cbranch_vccnz .LBB4_1088
; %bb.1089:                             ;   in Loop: Header=BB4_1014 Depth=3
	v_sub_u32_e32 v30, v30, v57
	s_and_saveexec_b64 s[42:43], s[36:37]
	s_cbranch_execz .LBB4_1013
; %bb.1090:                             ;   in Loop: Header=BB4_1014 Depth=3
	v_add_co_u32_e32 v31, vcc, v31, v6
	v_addc_co_u32_e32 v50, vcc, v50, v43, vcc
	v_add_co_u32_e32 v51, vcc, v51, v6
	v_addc_co_u32_e32 v52, vcc, v52, v43, vcc
	;; [unrolled: 2-line block ×4, first 2 shown]
	v_sub_u32_e32 v53, v53, v1
	v_sub_u32_e32 v30, v30, v57
	s_branch .LBB4_1013
.LBB4_1091:                             ;   in Loop: Header=BB4_816 Depth=2
	s_or_b64 exec, exec, s[30:31]
	s_and_b64 s[40:41], s[34:35], exec
.LBB4_1092:                             ;   in Loop: Header=BB4_816 Depth=2
	s_or_b64 exec, exec, s[94:95]
	s_and_saveexec_b64 s[44:45], s[40:41]
	s_cbranch_execz .LBB4_1127
; %bb.1093:                             ;   in Loop: Header=BB4_816 Depth=2
	buffer_load_dword v8, off, s[0:3], s33 offset:96
	buffer_load_dword v9, off, s[0:3], s33 offset:112
	;; [unrolled: 1-line block ×8, first 2 shown]
	s_and_b32 s40, 0xffff, s8
	s_cmp_eq_u32 s40, 0
	s_cselect_b64 vcc, -1, 0
	s_waitcnt vmcnt(7)
	v_lshlrev_b32_e32 v3, 16, v8
	s_waitcnt vmcnt(6) lgkmcnt(0)
	v_lshlrev_b32_e32 v24, 16, v9
	v_max_f32_e32 v24, v24, v24
	v_max_f32_e32 v3, v3, v3
	v_min_f32_e32 v25, v3, v24
	v_max_f32_e32 v3, v3, v24
	v_cndmask_b32_e32 v24, v3, v25, vcc
	v_and_b32_e32 v3, 0x7f800000, v24
	v_cmp_ne_u32_e64 s[40:41], s57, v3
                                        ; implicit-def: $vgpr3
	s_and_saveexec_b64 s[42:43], s[40:41]
	s_xor_b64 s[40:41], exec, s[42:43]
; %bb.1094:                             ;   in Loop: Header=BB4_816 Depth=2
	v_bfe_u32 v3, v24, 16, 1
	v_add3_u32 v3, v24, v3, s46
                                        ; implicit-def: $vgpr24
; %bb.1095:                             ;   in Loop: Header=BB4_816 Depth=2
	s_andn2_saveexec_b64 s[42:43], s[40:41]
; %bb.1096:                             ;   in Loop: Header=BB4_816 Depth=2
	v_or_b32_e32 v3, 0x10000, v24
	v_cmp_eq_u32_sdwa s[40:41], v24, v2 src0_sel:WORD_0 src1_sel:DWORD
	v_cndmask_b32_e64 v3, v3, v24, s[40:41]
; %bb.1097:                             ;   in Loop: Header=BB4_816 Depth=2
	s_or_b64 exec, exec, s[42:43]
	v_and_b32_e32 v8, 0xffff0000, v8
	v_and_b32_e32 v9, 0xffff0000, v9
	v_max_f32_e32 v9, v9, v9
	v_max_f32_e32 v8, v8, v8
	v_min_f32_e32 v24, v8, v9
	v_max_f32_e32 v8, v8, v9
	v_cndmask_b32_e32 v9, v8, v24, vcc
	v_and_b32_e32 v8, 0x7f800000, v9
	v_cmp_ne_u32_e64 s[40:41], s57, v8
                                        ; implicit-def: $vgpr8
	s_and_saveexec_b64 s[42:43], s[40:41]
	s_xor_b64 s[40:41], exec, s[42:43]
; %bb.1098:                             ;   in Loop: Header=BB4_816 Depth=2
	v_bfe_u32 v8, v9, 16, 1
	v_add3_u32 v8, v9, v8, s46
                                        ; implicit-def: $vgpr9
; %bb.1099:                             ;   in Loop: Header=BB4_816 Depth=2
	s_andn2_saveexec_b64 s[42:43], s[40:41]
; %bb.1100:                             ;   in Loop: Header=BB4_816 Depth=2
	v_or_b32_e32 v8, 0x10000, v9
	v_cmp_eq_u32_sdwa s[40:41], v9, v2 src0_sel:WORD_0 src1_sel:DWORD
	v_cndmask_b32_e64 v8, v8, v9, s[40:41]
; %bb.1101:                             ;   in Loop: Header=BB4_816 Depth=2
	s_or_b64 exec, exec, s[42:43]
	s_waitcnt vmcnt(5)
	v_lshlrev_b32_e32 v9, 16, v20
	s_waitcnt vmcnt(3)
	v_lshlrev_b32_e32 v24, 16, v21
	v_max_f32_e32 v24, v24, v24
	v_max_f32_e32 v9, v9, v9
	v_min_f32_e32 v25, v9, v24
	v_max_f32_e32 v9, v9, v24
	v_cndmask_b32_e32 v24, v9, v25, vcc
	v_and_b32_e32 v9, 0x7f800000, v24
	v_cmp_ne_u32_e64 s[40:41], s57, v9
                                        ; implicit-def: $vgpr9
	s_and_saveexec_b64 s[42:43], s[40:41]
	s_xor_b64 s[40:41], exec, s[42:43]
; %bb.1102:                             ;   in Loop: Header=BB4_816 Depth=2
	v_bfe_u32 v9, v24, 16, 1
	v_add3_u32 v9, v24, v9, s46
                                        ; implicit-def: $vgpr24
; %bb.1103:                             ;   in Loop: Header=BB4_816 Depth=2
	s_andn2_saveexec_b64 s[42:43], s[40:41]
; %bb.1104:                             ;   in Loop: Header=BB4_816 Depth=2
	v_or_b32_e32 v9, 0x10000, v24
	v_cmp_eq_u32_sdwa s[40:41], v24, v2 src0_sel:WORD_0 src1_sel:DWORD
	v_cndmask_b32_e64 v9, v9, v24, s[40:41]
; %bb.1105:                             ;   in Loop: Header=BB4_816 Depth=2
	s_or_b64 exec, exec, s[42:43]
	v_and_b32_e32 v20, 0xffff0000, v20
	v_and_b32_e32 v21, 0xffff0000, v21
	v_max_f32_e32 v21, v21, v21
	v_max_f32_e32 v20, v20, v20
	v_min_f32_e32 v24, v20, v21
	v_max_f32_e32 v20, v20, v21
	v_cndmask_b32_e32 v21, v20, v24, vcc
	v_and_b32_e32 v20, 0x7f800000, v21
	v_cmp_ne_u32_e64 s[40:41], s57, v20
                                        ; implicit-def: $vgpr20
	s_and_saveexec_b64 s[42:43], s[40:41]
	s_xor_b64 s[40:41], exec, s[42:43]
; %bb.1106:                             ;   in Loop: Header=BB4_816 Depth=2
	v_bfe_u32 v20, v21, 16, 1
	v_add3_u32 v20, v21, v20, s46
                                        ; implicit-def: $vgpr21
; %bb.1107:                             ;   in Loop: Header=BB4_816 Depth=2
	s_andn2_saveexec_b64 s[42:43], s[40:41]
; %bb.1108:                             ;   in Loop: Header=BB4_816 Depth=2
	v_or_b32_e32 v20, 0x10000, v21
	v_cmp_eq_u32_sdwa s[40:41], v21, v2 src0_sel:WORD_0 src1_sel:DWORD
	v_cndmask_b32_e64 v20, v20, v21, s[40:41]
; %bb.1109:                             ;   in Loop: Header=BB4_816 Depth=2
	s_or_b64 exec, exec, s[42:43]
	v_lshlrev_b32_e32 v21, 16, v10
	s_waitcnt vmcnt(2)
	v_lshlrev_b32_e32 v24, 16, v11
	v_max_f32_e32 v24, v24, v24
	v_max_f32_e32 v21, v21, v21
	v_min_f32_e32 v25, v21, v24
	v_max_f32_e32 v21, v21, v24
	v_cndmask_b32_e32 v24, v21, v25, vcc
	v_and_b32_e32 v21, 0x7f800000, v24
	v_cmp_ne_u32_e64 s[40:41], s57, v21
                                        ; implicit-def: $vgpr21
	s_and_saveexec_b64 s[42:43], s[40:41]
	s_xor_b64 s[40:41], exec, s[42:43]
; %bb.1110:                             ;   in Loop: Header=BB4_816 Depth=2
	v_bfe_u32 v21, v24, 16, 1
	v_add3_u32 v21, v24, v21, s46
                                        ; implicit-def: $vgpr24
; %bb.1111:                             ;   in Loop: Header=BB4_816 Depth=2
	s_andn2_saveexec_b64 s[42:43], s[40:41]
; %bb.1112:                             ;   in Loop: Header=BB4_816 Depth=2
	v_or_b32_e32 v21, 0x10000, v24
	v_cmp_eq_u32_sdwa s[40:41], v24, v2 src0_sel:WORD_0 src1_sel:DWORD
	v_cndmask_b32_e64 v21, v21, v24, s[40:41]
; %bb.1113:                             ;   in Loop: Header=BB4_816 Depth=2
	s_or_b64 exec, exec, s[42:43]
	v_and_b32_e32 v10, 0xffff0000, v10
	v_and_b32_e32 v11, 0xffff0000, v11
	v_max_f32_e32 v11, v11, v11
	v_max_f32_e32 v10, v10, v10
	v_min_f32_e32 v24, v10, v11
	v_max_f32_e32 v10, v10, v11
	v_cndmask_b32_e32 v11, v10, v24, vcc
	v_and_b32_e32 v10, 0x7f800000, v11
	v_cmp_ne_u32_e64 s[40:41], s57, v10
                                        ; implicit-def: $vgpr10
	s_and_saveexec_b64 s[42:43], s[40:41]
	s_xor_b64 s[40:41], exec, s[42:43]
; %bb.1114:                             ;   in Loop: Header=BB4_816 Depth=2
	v_bfe_u32 v10, v11, 16, 1
	v_add3_u32 v10, v11, v10, s46
                                        ; implicit-def: $vgpr11
; %bb.1115:                             ;   in Loop: Header=BB4_816 Depth=2
	s_andn2_saveexec_b64 s[42:43], s[40:41]
; %bb.1116:                             ;   in Loop: Header=BB4_816 Depth=2
	v_or_b32_e32 v10, 0x10000, v11
	v_cmp_eq_u32_sdwa s[40:41], v11, v2 src0_sel:WORD_0 src1_sel:DWORD
	v_cndmask_b32_e64 v10, v10, v11, s[40:41]
; %bb.1117:                             ;   in Loop: Header=BB4_816 Depth=2
	s_or_b64 exec, exec, s[42:43]
	s_waitcnt vmcnt(0)
	v_lshlrev_b32_e32 v11, 16, v4
	v_lshlrev_b32_e32 v24, 16, v0
	v_max_f32_e32 v24, v24, v24
	v_max_f32_e32 v11, v11, v11
	v_min_f32_e32 v25, v11, v24
	v_max_f32_e32 v11, v11, v24
	v_cndmask_b32_e32 v24, v11, v25, vcc
	v_and_b32_e32 v11, 0x7f800000, v24
	v_cmp_ne_u32_e64 s[40:41], s57, v11
                                        ; implicit-def: $vgpr11
	s_and_saveexec_b64 s[42:43], s[40:41]
	s_xor_b64 s[40:41], exec, s[42:43]
; %bb.1118:                             ;   in Loop: Header=BB4_816 Depth=2
	v_bfe_u32 v11, v24, 16, 1
	v_add3_u32 v11, v24, v11, s46
                                        ; implicit-def: $vgpr24
; %bb.1119:                             ;   in Loop: Header=BB4_816 Depth=2
	s_andn2_saveexec_b64 s[42:43], s[40:41]
; %bb.1120:                             ;   in Loop: Header=BB4_816 Depth=2
	v_or_b32_e32 v11, 0x10000, v24
	v_cmp_eq_u32_sdwa s[40:41], v24, v2 src0_sel:WORD_0 src1_sel:DWORD
	v_cndmask_b32_e64 v11, v11, v24, s[40:41]
; %bb.1121:                             ;   in Loop: Header=BB4_816 Depth=2
	s_or_b64 exec, exec, s[42:43]
	v_and_b32_e32 v4, 0xffff0000, v4
	v_and_b32_e32 v0, 0xffff0000, v0
	v_max_f32_e32 v0, v0, v0
	v_max_f32_e32 v4, v4, v4
	v_min_f32_e32 v24, v4, v0
	v_max_f32_e32 v0, v4, v0
	v_cndmask_b32_e32 v4, v0, v24, vcc
	v_and_b32_e32 v0, 0x7f800000, v4
	v_cmp_ne_u32_e32 vcc, s57, v0
                                        ; implicit-def: $vgpr0
	s_and_saveexec_b64 s[40:41], vcc
	s_xor_b64 s[40:41], exec, s[40:41]
; %bb.1122:                             ;   in Loop: Header=BB4_816 Depth=2
	v_bfe_u32 v0, v4, 16, 1
	v_add3_u32 v0, v4, v0, s46
                                        ; implicit-def: $vgpr4
; %bb.1123:                             ;   in Loop: Header=BB4_816 Depth=2
	s_andn2_saveexec_b64 s[40:41], s[40:41]
; %bb.1124:                             ;   in Loop: Header=BB4_816 Depth=2
	v_or_b32_e32 v0, 0x10000, v4
	v_cmp_eq_u32_sdwa vcc, v4, v2 src0_sel:WORD_0 src1_sel:DWORD
	v_cndmask_b32_e32 v0, v0, v4, vcc
; %bb.1125:                             ;   in Loop: Header=BB4_816 Depth=2
	s_or_b64 exec, exec, s[40:41]
	v_lshrrev_b32_e32 v3, 16, v3
	v_and_or_b32 v8, v8, s47, v3
	v_lshrrev_b32_e32 v3, 16, v21
	v_lshrrev_b32_e32 v4, 16, v9
	v_and_or_b32 v10, v10, s47, v3
	v_lshrrev_b32_e32 v3, 16, v11
	v_and_or_b32 v9, v20, s47, v4
	v_and_or_b32 v11, v0, s47, v3
	s_mov_b64 s[30:31], 0
	s_mov_b64 s[94:95], -1
.LBB4_1126:                             ;   Parent Loop BB4_47 Depth=1
                                        ;     Parent Loop BB4_816 Depth=2
                                        ; =>    This Inner Loop Header: Depth=3
	s_cmp_eq_u32 s30, 1
	s_cselect_b64 s[40:41], -1, 0
	v_cndmask_b32_e64 v3, v31, v51, s[40:41]
	v_cndmask_b32_e64 v4, v50, v52, s[40:41]
	v_add_co_u32_e32 v0, vcc, 0x400, v3
	s_cmp_eq_u32 s30, 0
	global_store_dwordx4 v[3:4], v[8:11], off glc slc
	v_addc_co_u32_e32 v3, vcc, 0, v4, vcc
	s_cselect_b64 vcc, -1, 0
	s_and_b64 s[42:43], exec, s[94:95]
	s_mov_b64 s[30:31], 1
	v_cndmask_b32_e64 v51, v51, v0, s[40:41]
	s_mov_b64 s[94:95], 0
	v_cndmask_b32_e64 v52, v52, v3, s[40:41]
	v_cndmask_b32_e32 v50, v50, v3, vcc
	v_cndmask_b32_e32 v31, v31, v0, vcc
	s_mov_b64 vcc, s[42:43]
	s_cbranch_vccnz .LBB4_1126
.LBB4_1127:                             ;   in Loop: Header=BB4_816 Depth=2
	s_or_b64 exec, exec, s[44:45]
	v_and_b32_e32 v3, 14, v13
	v_cndmask_b32_e64 v50, v29, v3, s[28:29]
	v_cmp_ne_u32_e32 vcc, 0, v50
	s_mov_b64 s[40:41], s[90:91]
                                        ; implicit-def: $vgpr31
                                        ; implicit-def: $vgpr0
                                        ; implicit-def: $vgpr51
	s_and_saveexec_b64 s[42:43], vcc
	s_cbranch_execz .LBB4_1129
; %bb.1128:                             ;   in Loop: Header=BB4_816 Depth=2
	v_sub_u32_e32 v0, v29, v3
	v_cndmask_b32_e64 v0, 0, v0, s[28:29]
	v_cmp_lt_i32_e32 vcc, 0, v30
	v_add3_u32 v31, v27, v15, v0
	v_cndmask_b32_e32 v0, 0, v57, vcc
	v_sub_u32_e32 v0, v0, v30
	v_lshl_add_u32 v0, v0, 6, v26
	v_ashrrev_i32_e32 v3, 31, v0
	v_lshrrev_b32_e32 v3, 26, v3
	v_add_u32_e32 v3, v0, v3
	v_and_b32_e32 v3, 0xffffffc0, v3
	v_sub_u32_e32 v51, v0, v3
	s_or_b64 s[40:41], s[90:91], exec
.LBB4_1129:                             ;   in Loop: Header=BB4_816 Depth=2
	s_or_b64 exec, exec, s[42:43]
	s_andn2_b64 s[28:29], s[90:91], exec
	s_and_b64 s[40:41], s[40:41], exec
	s_or_b64 s[90:91], s[28:29], s[40:41]
.LBB4_1130:                             ;   in Loop: Header=BB4_816 Depth=2
	s_or_b64 exec, exec, s[92:93]
	s_and_saveexec_b64 s[44:45], s[90:91]
	s_cbranch_execz .LBB4_1223
.LBB4_1131:                             ;   in Loop: Header=BB4_816 Depth=2
	s_waitcnt vmcnt(0)
	v_ashrrev_i32_e32 v3, 31, v0
	v_lshrrev_b32_e32 v3, 26, v3
	v_add_u32_e32 v0, v0, v3
	v_ashrrev_i32_e32 v0, 6, v0
	v_lshlrev_b32_e32 v3, 9, v0
	s_waitcnt vmcnt(0)
	v_lshlrev_b32_e32 v4, 1, v51
	v_add3_u32 v27, v31, v4, v3
	v_ashrrev_i32_e32 v3, 31, v50
	v_lshrrev_b32_e32 v3, 23, v3
	v_add_u32_e32 v3, v50, v3
	v_ashrrev_i32_e32 v15, 9, v3
	buffer_load_dword v3, off, s[0:3], s33 offset:232 ; 4-byte Folded Reload
	buffer_load_dword v4, off, s[0:3], s33 offset:236 ; 4-byte Folded Reload
	v_ashrrev_i32_e32 v28, 31, v27
	v_sub_u32_e32 v13, v15, v0
	s_mov_b64 s[28:29], 0
	s_waitcnt lgkmcnt(0)
	v_mov_b32_e32 v24, 0
	v_mov_b32_e32 v20, 0
	;; [unrolled: 1-line block ×6, first 2 shown]
	s_waitcnt vmcnt(1)
	v_add_co_u32_e32 v8, vcc, v3, v27
	s_waitcnt vmcnt(0)
	v_addc_co_u32_e32 v9, vcc, v4, v28, vcc
	v_add_co_u32_e32 v10, vcc, v22, v27
	v_addc_co_u32_e32 v11, vcc, v23, v28, vcc
	v_cmp_lt_i32_e32 vcc, 0, v13
	v_mov_b32_e32 v4, 0
	v_mov_b32_e32 v3, 0
	s_and_saveexec_b64 s[40:41], vcc
	s_cbranch_execz .LBB4_1173
; %bb.1132:                             ;   in Loop: Header=BB4_816 Depth=2
	buffer_store_dword v42, off, s[0:3], s33 offset:252 ; 4-byte Folded Spill
	buffer_store_dword v59, off, s[0:3], s33 offset:248 ; 4-byte Folded Spill
	s_trap 2
	ds_read_b64 v[3:4], v0
	v_add_co_u32_e32 v24, vcc, v27, v18
	v_addc_co_u32_e32 v25, vcc, v28, v19, vcc
	s_and_b32 s28, s8, 0xff
	s_waitcnt lgkmcnt(0)
	v_add_co_u32_e32 v26, vcc, v3, v27
	s_cmp_eq_u32 s28, 0
	v_addc_co_u32_e32 v27, vcc, v4, v28, vcc
	s_mov_b64 s[92:93], 0
	s_mov_b64 s[90:91], 0
	s_cselect_b64 s[28:29], -1, 0
                                        ; implicit-def: $sgpr42_sgpr43
                                        ; implicit-def: $vgpr3
                                        ; implicit-def: $vgpr61
                                        ; implicit-def: $vgpr60
                                        ; implicit-def: $vgpr56
                                        ; implicit-def: $vgpr29
                                        ; implicit-def: $vgpr30
                                        ; implicit-def: $vgpr52
                                        ; implicit-def: $vgpr53
	s_branch .LBB4_1134
.LBB4_1133:                             ;   in Loop: Header=BB4_1134 Depth=3
	s_or_b64 exec, exec, s[94:95]
	v_cmp_gt_i32_e32 vcc, 1, v13
	s_or_b64 s[90:91], vcc, s[90:91]
	s_andn2_b64 s[42:43], s[42:43], exec
	s_and_b64 s[94:95], s[92:93], exec
	s_or_b64 s[42:43], s[42:43], s[94:95]
	s_andn2_b64 exec, exec, s[90:91]
	s_cbranch_execz .LBB4_1172
.LBB4_1134:                             ;   Parent Loop BB4_47 Depth=1
                                        ;     Parent Loop BB4_816 Depth=2
                                        ; =>    This Inner Loop Header: Depth=3
	flat_load_ushort v0, v[24:25] glc slc
	flat_load_ushort v59, v[24:25] offset:128 glc slc
	flat_load_ushort v21, v[24:25] offset:256 glc slc
	flat_load_ushort v28, v[24:25] offset:384 glc slc
	flat_load_ushort v34, v[26:27] glc slc
	flat_load_ushort v42, v[26:27] offset:128 glc slc
	flat_load_ushort v4, v[26:27] offset:256 glc slc
	;; [unrolled: 1-line block ×3, first 2 shown]
	s_and_saveexec_b64 s[94:95], s[92:93]
	s_cbranch_execz .LBB4_1152
; %bb.1135:                             ;   in Loop: Header=BB4_1134 Depth=3
	v_lshlrev_b32_e32 v3, 16, v3
	v_lshlrev_b32_e32 v35, 16, v29
	v_max_f32_e32 v35, v35, v35
	v_max_f32_e32 v3, v3, v3
	v_min_f32_e32 v58, v3, v35
	v_max_f32_e32 v3, v3, v35
	v_cndmask_b32_e64 v35, v3, v58, s[28:29]
	v_and_b32_e32 v3, 0x7f800000, v35
	v_cmp_ne_u32_e32 vcc, s57, v3
                                        ; implicit-def: $vgpr3
	s_and_saveexec_b64 s[92:93], vcc
	s_xor_b64 s[92:93], exec, s[92:93]
; %bb.1136:                             ;   in Loop: Header=BB4_1134 Depth=3
	v_bfe_u32 v3, v35, 16, 1
	v_add3_u32 v3, v35, v3, s46
                                        ; implicit-def: $vgpr35
; %bb.1137:                             ;   in Loop: Header=BB4_1134 Depth=3
	s_andn2_saveexec_b64 s[92:93], s[92:93]
; %bb.1138:                             ;   in Loop: Header=BB4_1134 Depth=3
	v_or_b32_e32 v3, 0x10000, v35
	v_cmp_eq_u32_sdwa vcc, v35, v2 src0_sel:WORD_0 src1_sel:DWORD
	v_cndmask_b32_e32 v3, v3, v35, vcc
; %bb.1139:                             ;   in Loop: Header=BB4_1134 Depth=3
	s_or_b64 exec, exec, s[92:93]
	v_lshlrev_b32_e32 v35, 16, v61
	v_lshlrev_b32_e32 v58, 16, v30
	v_max_f32_e32 v58, v58, v58
	v_max_f32_e32 v35, v35, v35
	v_min_f32_e32 v61, v35, v58
	v_max_f32_e32 v35, v35, v58
	v_cndmask_b32_e64 v61, v35, v61, s[28:29]
	v_and_b32_e32 v35, 0x7f800000, v61
	v_cmp_ne_u32_e32 vcc, s57, v35
                                        ; implicit-def: $vgpr35
	s_and_saveexec_b64 s[92:93], vcc
	s_xor_b64 s[92:93], exec, s[92:93]
; %bb.1140:                             ;   in Loop: Header=BB4_1134 Depth=3
	v_bfe_u32 v35, v61, 16, 1
	v_add3_u32 v35, v61, v35, s46
                                        ; implicit-def: $vgpr61
; %bb.1141:                             ;   in Loop: Header=BB4_1134 Depth=3
	s_andn2_saveexec_b64 s[92:93], s[92:93]
; %bb.1142:                             ;   in Loop: Header=BB4_1134 Depth=3
	v_or_b32_e32 v35, 0x10000, v61
	v_cmp_eq_u32_sdwa vcc, v61, v2 src0_sel:WORD_0 src1_sel:DWORD
	v_cndmask_b32_e32 v35, v35, v61, vcc
; %bb.1143:                             ;   in Loop: Header=BB4_1134 Depth=3
	s_or_b64 exec, exec, s[92:93]
	v_lshlrev_b32_e32 v58, 16, v60
	v_lshlrev_b32_e32 v60, 16, v52
	v_max_f32_e32 v60, v60, v60
	v_max_f32_e32 v58, v58, v58
	v_min_f32_e32 v61, v58, v60
	v_max_f32_e32 v58, v58, v60
	v_cndmask_b32_e64 v61, v58, v61, s[28:29]
	v_and_b32_e32 v58, 0x7f800000, v61
	v_cmp_ne_u32_e32 vcc, s57, v58
                                        ; implicit-def: $vgpr60
	s_and_saveexec_b64 s[92:93], vcc
	s_xor_b64 s[92:93], exec, s[92:93]
; %bb.1144:                             ;   in Loop: Header=BB4_1134 Depth=3
	v_bfe_u32 v58, v61, 16, 1
	v_add3_u32 v60, v61, v58, s46
                                        ; implicit-def: $vgpr61
; %bb.1145:                             ;   in Loop: Header=BB4_1134 Depth=3
	s_andn2_saveexec_b64 s[92:93], s[92:93]
; %bb.1146:                             ;   in Loop: Header=BB4_1134 Depth=3
	v_or_b32_e32 v58, 0x10000, v61
	v_cmp_eq_u32_sdwa vcc, v61, v2 src0_sel:WORD_0 src1_sel:DWORD
	v_cndmask_b32_e32 v60, v58, v61, vcc
; %bb.1147:                             ;   in Loop: Header=BB4_1134 Depth=3
	s_or_b64 exec, exec, s[92:93]
	v_lshlrev_b32_e32 v56, 16, v56
	v_lshlrev_b32_e32 v58, 16, v53
	v_max_f32_e32 v58, v58, v58
	v_max_f32_e32 v56, v56, v56
	v_min_f32_e32 v61, v56, v58
	v_max_f32_e32 v56, v56, v58
	v_cndmask_b32_e64 v61, v56, v61, s[28:29]
	v_and_b32_e32 v56, 0x7f800000, v61
	v_cmp_ne_u32_e32 vcc, s57, v56
                                        ; implicit-def: $vgpr56
	s_and_saveexec_b64 s[92:93], vcc
	s_xor_b64 s[92:93], exec, s[92:93]
; %bb.1148:                             ;   in Loop: Header=BB4_1134 Depth=3
	v_bfe_u32 v56, v61, 16, 1
	v_add3_u32 v56, v61, v56, s46
                                        ; implicit-def: $vgpr61
; %bb.1149:                             ;   in Loop: Header=BB4_1134 Depth=3
	s_andn2_saveexec_b64 s[92:93], s[92:93]
; %bb.1150:                             ;   in Loop: Header=BB4_1134 Depth=3
	v_or_b32_e32 v56, 0x10000, v61
	v_cmp_eq_u32_sdwa vcc, v61, v2 src0_sel:WORD_0 src1_sel:DWORD
	v_cndmask_b32_e32 v56, v56, v61, vcc
; %bb.1151:                             ;   in Loop: Header=BB4_1134 Depth=3
	s_or_b64 exec, exec, s[92:93]
	v_lshrrev_b32_e32 v3, 16, v3
	v_lshrrev_b32_e32 v60, 16, v60
	;; [unrolled: 1-line block ×4, first 2 shown]
	flat_store_short v[8:9], v3 glc slc
	flat_store_short v[8:9], v61 offset:128 glc slc
	flat_store_short v[8:9], v60 offset:256 glc slc
	;; [unrolled: 1-line block ×3, first 2 shown]
	flat_store_short v[10:11], v3 glc slc
	flat_store_short v[10:11], v61 offset:128 glc slc
	flat_store_short v[10:11], v60 offset:256 glc slc
	;; [unrolled: 1-line block ×3, first 2 shown]
	v_add_co_u32_e32 v8, vcc, v8, v44
	v_addc_co_u32_e32 v9, vcc, v9, v45, vcc
	v_add_co_u32_e32 v10, vcc, v10, v44
	v_addc_co_u32_e32 v11, vcc, v11, v45, vcc
.LBB4_1152:                             ;   in Loop: Header=BB4_1134 Depth=3
	s_or_b64 exec, exec, s[94:95]
	v_add_co_u32_e32 v24, vcc, v24, v44
	v_addc_co_u32_e32 v25, vcc, v25, v45, vcc
	v_add_co_u32_e32 v26, vcc, v26, v44
	v_sub_u32_e32 v13, v13, v57
	v_addc_co_u32_e32 v27, vcc, v27, v45, vcc
	v_cmp_lt_i32_e64 s[92:93], 0, v13
	s_and_saveexec_b64 s[94:95], s[92:93]
	s_cbranch_execz .LBB4_1154
; %bb.1153:                             ;   in Loop: Header=BB4_1134 Depth=3
	flat_load_ushort v3, v[24:25] glc slc
	flat_load_ushort v61, v[24:25] offset:128 glc slc
	flat_load_ushort v60, v[24:25] offset:256 glc slc
	;; [unrolled: 1-line block ×3, first 2 shown]
	flat_load_ushort v29, v[26:27] glc slc
	flat_load_ushort v30, v[26:27] offset:128 glc slc
	flat_load_ushort v52, v[26:27] offset:256 glc slc
	;; [unrolled: 1-line block ×3, first 2 shown]
	v_add_co_u32_e32 v24, vcc, 0x200, v24
	v_addc_co_u32_e32 v25, vcc, 0, v25, vcc
	v_add_co_u32_e32 v26, vcc, 0x200, v26
	v_addc_co_u32_e32 v27, vcc, 0, v27, vcc
.LBB4_1154:                             ;   in Loop: Header=BB4_1134 Depth=3
	s_or_b64 exec, exec, s[94:95]
	s_waitcnt vmcnt(0) lgkmcnt(0)
	v_lshlrev_b32_e32 v0, 16, v0
	v_lshlrev_b32_e32 v34, 16, v34
	v_max_f32_e32 v34, v34, v34
	v_max_f32_e32 v0, v0, v0
	v_min_f32_e32 v35, v0, v34
	v_max_f32_e32 v0, v0, v34
	v_cndmask_b32_e64 v34, v0, v35, s[28:29]
	v_and_b32_e32 v0, 0x7f800000, v34
	v_cmp_ne_u32_e32 vcc, s57, v0
                                        ; implicit-def: $vgpr0
	s_and_saveexec_b64 s[94:95], vcc
	s_xor_b64 s[94:95], exec, s[94:95]
; %bb.1155:                             ;   in Loop: Header=BB4_1134 Depth=3
	v_bfe_u32 v0, v34, 16, 1
	v_add3_u32 v0, v34, v0, s46
                                        ; implicit-def: $vgpr34
; %bb.1156:                             ;   in Loop: Header=BB4_1134 Depth=3
	s_andn2_saveexec_b64 s[94:95], s[94:95]
; %bb.1157:                             ;   in Loop: Header=BB4_1134 Depth=3
	v_or_b32_e32 v0, 0x10000, v34
	v_cmp_eq_u32_sdwa vcc, v34, v2 src0_sel:WORD_0 src1_sel:DWORD
	v_cndmask_b32_e32 v0, v0, v34, vcc
; %bb.1158:                             ;   in Loop: Header=BB4_1134 Depth=3
	s_or_b64 exec, exec, s[94:95]
	v_lshlrev_b32_e32 v34, 16, v59
	v_lshlrev_b32_e32 v35, 16, v42
	v_max_f32_e32 v35, v35, v35
	v_max_f32_e32 v34, v34, v34
	v_min_f32_e32 v42, v34, v35
	v_max_f32_e32 v34, v34, v35
	v_cndmask_b32_e64 v35, v34, v42, s[28:29]
	v_and_b32_e32 v34, 0x7f800000, v35
	v_cmp_ne_u32_e32 vcc, s57, v34
                                        ; implicit-def: $vgpr34
	s_and_saveexec_b64 s[94:95], vcc
	s_xor_b64 s[94:95], exec, s[94:95]
; %bb.1159:                             ;   in Loop: Header=BB4_1134 Depth=3
	v_bfe_u32 v34, v35, 16, 1
	v_add3_u32 v34, v35, v34, s46
                                        ; implicit-def: $vgpr35
; %bb.1160:                             ;   in Loop: Header=BB4_1134 Depth=3
	s_andn2_saveexec_b64 s[94:95], s[94:95]
; %bb.1161:                             ;   in Loop: Header=BB4_1134 Depth=3
	v_or_b32_e32 v34, 0x10000, v35
	v_cmp_eq_u32_sdwa vcc, v35, v2 src0_sel:WORD_0 src1_sel:DWORD
	v_cndmask_b32_e32 v34, v34, v35, vcc
; %bb.1162:                             ;   in Loop: Header=BB4_1134 Depth=3
	s_or_b64 exec, exec, s[94:95]
	v_lshlrev_b32_e32 v21, 16, v21
	v_lshlrev_b32_e32 v4, 16, v4
	v_max_f32_e32 v4, v4, v4
	v_max_f32_e32 v21, v21, v21
	v_min_f32_e32 v35, v21, v4
	v_max_f32_e32 v4, v21, v4
	v_cndmask_b32_e64 v21, v4, v35, s[28:29]
	v_and_b32_e32 v4, 0x7f800000, v21
	v_cmp_ne_u32_e32 vcc, s57, v4
                                        ; implicit-def: $vgpr4
	s_and_saveexec_b64 s[94:95], vcc
	s_xor_b64 s[94:95], exec, s[94:95]
; %bb.1163:                             ;   in Loop: Header=BB4_1134 Depth=3
	v_bfe_u32 v4, v21, 16, 1
	v_add3_u32 v4, v21, v4, s46
                                        ; implicit-def: $vgpr21
; %bb.1164:                             ;   in Loop: Header=BB4_1134 Depth=3
	s_andn2_saveexec_b64 s[94:95], s[94:95]
; %bb.1165:                             ;   in Loop: Header=BB4_1134 Depth=3
	v_or_b32_e32 v4, 0x10000, v21
	v_cmp_eq_u32_sdwa vcc, v21, v2 src0_sel:WORD_0 src1_sel:DWORD
	v_cndmask_b32_e32 v4, v4, v21, vcc
; %bb.1166:                             ;   in Loop: Header=BB4_1134 Depth=3
	s_or_b64 exec, exec, s[94:95]
	v_lshlrev_b32_e32 v21, 16, v28
	v_lshlrev_b32_e32 v20, 16, v20
	v_max_f32_e32 v20, v20, v20
	v_max_f32_e32 v21, v21, v21
	v_min_f32_e32 v28, v21, v20
	v_max_f32_e32 v20, v21, v20
	v_cndmask_b32_e64 v21, v20, v28, s[28:29]
	v_and_b32_e32 v20, 0x7f800000, v21
	v_cmp_ne_u32_e32 vcc, s57, v20
                                        ; implicit-def: $vgpr20
	s_and_saveexec_b64 s[94:95], vcc
	s_xor_b64 s[94:95], exec, s[94:95]
; %bb.1167:                             ;   in Loop: Header=BB4_1134 Depth=3
	v_bfe_u32 v20, v21, 16, 1
	v_add3_u32 v20, v21, v20, s46
                                        ; implicit-def: $vgpr21
; %bb.1168:                             ;   in Loop: Header=BB4_1134 Depth=3
	s_andn2_saveexec_b64 s[94:95], s[94:95]
; %bb.1169:                             ;   in Loop: Header=BB4_1134 Depth=3
	v_or_b32_e32 v20, 0x10000, v21
	v_cmp_eq_u32_sdwa vcc, v21, v2 src0_sel:WORD_0 src1_sel:DWORD
	v_cndmask_b32_e32 v20, v20, v21, vcc
; %bb.1170:                             ;   in Loop: Header=BB4_1134 Depth=3
	s_or_b64 exec, exec, s[94:95]
	v_lshrrev_b32_e32 v0, 16, v0
	v_lshrrev_b32_e32 v4, 16, v4
	;; [unrolled: 1-line block ×4, first 2 shown]
	flat_store_short v[8:9], v0 glc slc
	flat_store_short v[8:9], v21 offset:128 glc slc
	flat_store_short v[8:9], v4 offset:256 glc slc
	flat_store_short v[8:9], v20 offset:384 glc slc
	v_add_co_u32_e32 v8, vcc, 0x200, v8
	v_addc_co_u32_e32 v9, vcc, 0, v9, vcc
	flat_store_short v[10:11], v0 glc slc
	flat_store_short v[10:11], v21 offset:128 glc slc
	flat_store_short v[10:11], v4 offset:256 glc slc
	;; [unrolled: 1-line block ×3, first 2 shown]
	v_add_co_u32_e32 v10, vcc, 0x200, v10
	v_addc_co_u32_e32 v11, vcc, 0, v11, vcc
	s_and_saveexec_b64 s[94:95], s[92:93]
	s_cbranch_execz .LBB4_1133
; %bb.1171:                             ;   in Loop: Header=BB4_1134 Depth=3
	v_add_co_u32_e32 v8, vcc, v8, v54
	v_addc_co_u32_e32 v9, vcc, v9, v55, vcc
	v_add_co_u32_e32 v10, vcc, v10, v54
	v_addc_co_u32_e32 v11, vcc, v11, v55, vcc
	;; [unrolled: 2-line block ×4, first 2 shown]
	v_sub_u32_e32 v13, v13, v57
	s_branch .LBB4_1133
.LBB4_1172:                             ;   in Loop: Header=BB4_816 Depth=2
	s_or_b64 exec, exec, s[90:91]
	buffer_load_dword v58, off, s[0:3], s33 offset:256 ; 4-byte Folded Reload
	buffer_load_dword v59, off, s[0:3], s33 offset:248 ; 4-byte Folded Reload
	;; [unrolled: 1-line block ×3, first 2 shown]
	v_lshlrev_b32_e32 v4, 16, v3
	v_lshlrev_b32_e32 v26, 16, v29
	;; [unrolled: 1-line block ×8, first 2 shown]
	s_and_b64 s[28:29], s[42:43], exec
.LBB4_1173:                             ;   in Loop: Header=BB4_816 Depth=2
	s_or_b64 exec, exec, s[40:41]
	s_and_saveexec_b64 s[40:41], s[28:29]
	s_cbranch_execz .LBB4_1191
; %bb.1174:                             ;   in Loop: Header=BB4_816 Depth=2
	s_and_b32 s28, s8, 0xff
	s_cmp_eq_u32 s28, 0
	v_max_f32_e32 v26, v26, v26
	v_max_f32_e32 v4, v4, v4
	v_min_f32_e32 v27, v4, v26
	v_max_f32_e32 v4, v4, v26
	s_cselect_b64 vcc, -1, 0
	v_cndmask_b32_e32 v26, v4, v27, vcc
	v_and_b32_e32 v4, 0x7f800000, v26
	v_cmp_ne_u32_e64 s[28:29], s57, v4
                                        ; implicit-def: $vgpr4
	s_and_saveexec_b64 s[42:43], s[28:29]
	s_xor_b64 s[28:29], exec, s[42:43]
; %bb.1175:                             ;   in Loop: Header=BB4_816 Depth=2
	v_bfe_u32 v4, v26, 16, 1
	v_add3_u32 v4, v26, v4, s46
                                        ; implicit-def: $vgpr26
; %bb.1176:                             ;   in Loop: Header=BB4_816 Depth=2
	s_andn2_saveexec_b64 s[42:43], s[28:29]
; %bb.1177:                             ;   in Loop: Header=BB4_816 Depth=2
	v_or_b32_e32 v4, 0x10000, v26
	v_cmp_eq_u32_sdwa s[28:29], v26, v2 src0_sel:WORD_0 src1_sel:DWORD
	v_cndmask_b32_e64 v4, v4, v26, s[28:29]
; %bb.1178:                             ;   in Loop: Header=BB4_816 Depth=2
	s_or_b64 exec, exec, s[42:43]
	v_max_f32_e32 v25, v25, v25
	v_max_f32_e32 v24, v24, v24
	v_min_f32_e32 v26, v24, v25
	v_max_f32_e32 v24, v24, v25
	v_cndmask_b32_e32 v25, v24, v26, vcc
	v_and_b32_e32 v24, 0x7f800000, v25
	v_cmp_ne_u32_e64 s[28:29], s57, v24
                                        ; implicit-def: $vgpr24
	s_and_saveexec_b64 s[42:43], s[28:29]
	s_xor_b64 s[28:29], exec, s[42:43]
; %bb.1179:                             ;   in Loop: Header=BB4_816 Depth=2
	v_bfe_u32 v24, v25, 16, 1
	v_add3_u32 v24, v25, v24, s46
                                        ; implicit-def: $vgpr25
; %bb.1180:                             ;   in Loop: Header=BB4_816 Depth=2
	s_andn2_saveexec_b64 s[42:43], s[28:29]
; %bb.1181:                             ;   in Loop: Header=BB4_816 Depth=2
	v_or_b32_e32 v24, 0x10000, v25
	v_cmp_eq_u32_sdwa s[28:29], v25, v2 src0_sel:WORD_0 src1_sel:DWORD
	v_cndmask_b32_e64 v24, v24, v25, s[28:29]
; %bb.1182:                             ;   in Loop: Header=BB4_816 Depth=2
	s_or_b64 exec, exec, s[42:43]
	v_max_f32_e32 v21, v21, v21
	v_max_f32_e32 v20, v20, v20
	v_min_f32_e32 v25, v20, v21
	v_max_f32_e32 v20, v20, v21
	v_cndmask_b32_e32 v21, v20, v25, vcc
	v_and_b32_e32 v20, 0x7f800000, v21
	v_cmp_ne_u32_e64 s[28:29], s57, v20
                                        ; implicit-def: $vgpr20
	s_and_saveexec_b64 s[42:43], s[28:29]
	s_xor_b64 s[28:29], exec, s[42:43]
; %bb.1183:                             ;   in Loop: Header=BB4_816 Depth=2
	v_bfe_u32 v20, v21, 16, 1
	v_add3_u32 v20, v21, v20, s46
                                        ; implicit-def: $vgpr21
; %bb.1184:                             ;   in Loop: Header=BB4_816 Depth=2
	s_andn2_saveexec_b64 s[42:43], s[28:29]
; %bb.1185:                             ;   in Loop: Header=BB4_816 Depth=2
	v_or_b32_e32 v20, 0x10000, v21
	v_cmp_eq_u32_sdwa s[28:29], v21, v2 src0_sel:WORD_0 src1_sel:DWORD
	v_cndmask_b32_e64 v20, v20, v21, s[28:29]
; %bb.1186:                             ;   in Loop: Header=BB4_816 Depth=2
	s_or_b64 exec, exec, s[42:43]
	v_max_f32_e32 v3, v3, v3
	v_max_f32_e32 v0, v0, v0
	v_min_f32_e32 v21, v0, v3
	v_max_f32_e32 v0, v0, v3
	v_cndmask_b32_e32 v3, v0, v21, vcc
	v_and_b32_e32 v0, 0x7f800000, v3
	v_cmp_ne_u32_e32 vcc, s57, v0
                                        ; implicit-def: $vgpr0
	s_and_saveexec_b64 s[28:29], vcc
	s_xor_b64 s[28:29], exec, s[28:29]
; %bb.1187:                             ;   in Loop: Header=BB4_816 Depth=2
	v_bfe_u32 v0, v3, 16, 1
	v_add3_u32 v0, v3, v0, s46
                                        ; implicit-def: $vgpr3
; %bb.1188:                             ;   in Loop: Header=BB4_816 Depth=2
	s_andn2_saveexec_b64 s[28:29], s[28:29]
; %bb.1189:                             ;   in Loop: Header=BB4_816 Depth=2
	v_or_b32_e32 v0, 0x10000, v3
	v_cmp_eq_u32_sdwa vcc, v3, v2 src0_sel:WORD_0 src1_sel:DWORD
	v_cndmask_b32_e32 v0, v0, v3, vcc
; %bb.1190:                             ;   in Loop: Header=BB4_816 Depth=2
	s_or_b64 exec, exec, s[28:29]
	v_lshrrev_b32_e32 v4, 16, v4
	v_lshrrev_b32_e32 v3, 16, v20
	;; [unrolled: 1-line block ×4, first 2 shown]
	flat_store_short v[8:9], v4 glc slc
	flat_store_short v[8:9], v20 offset:128 glc slc
	flat_store_short v[8:9], v3 offset:256 glc slc
	;; [unrolled: 1-line block ×3, first 2 shown]
	flat_store_short v[10:11], v4 glc slc
	flat_store_short v[10:11], v20 offset:128 glc slc
	flat_store_short v[10:11], v3 offset:256 glc slc
	;; [unrolled: 1-line block ×3, first 2 shown]
.LBB4_1191:                             ;   in Loop: Header=BB4_816 Depth=2
	s_or_b64 exec, exec, s[40:41]
	v_lshlrev_b32_e32 v0, 9, v15
	v_cmp_ne_u32_e32 vcc, v50, v0
	s_and_b64 exec, exec, vcc
	s_cbranch_execz .LBB4_1223
; %bb.1192:                             ;   in Loop: Header=BB4_816 Depth=2
	v_lshlrev_b32_e32 v3, 6, v13
	v_sub_u32_e32 v3, v51, v3
	v_ashrrev_i32_e32 v4, 31, v3
	v_lshrrev_b32_e32 v4, 26, v4
	v_add_u32_e32 v4, v3, v4
	v_and_b32_e32 v8, 0x7fffffc0, v4
	v_sub_u32_e32 v3, v3, v8
	v_lshlrev_b32_e32 v4, 1, v4
	v_and_b32_e32 v4, 0xffffff80, v4
	v_lshlrev_b32_e32 v3, 1, v3
	v_add3_u32 v0, v4, v3, v0
	v_sub_u32_e32 v13, v50, v0
	v_cmp_lt_i32_e32 vcc, 1, v13
	s_and_b64 exec, exec, vcc
	s_cbranch_execz .LBB4_1223
; %bb.1193:                             ;   in Loop: Header=BB4_816 Depth=2
	s_trap 2
	ds_read_b64 v[3:4], v0
	buffer_load_dword v8, off, s[0:3], s33 offset:232 ; 4-byte Folded Reload
	buffer_load_dword v9, off, s[0:3], s33 offset:236 ; 4-byte Folded Reload
	v_add_u32_e32 v0, v0, v31
	v_ashrrev_i32_e32 v20, 31, v0
	s_and_b32 s8, s8, 0xff
	s_cmp_eq_u32 s8, 0
	s_mov_b64 s[94:95], 0
	s_mov_b64 s[90:91], 0
	s_cselect_b64 s[28:29], -1, 0
                                        ; implicit-def: $sgpr92_sgpr93
	s_waitcnt vmcnt(0)
	v_add_co_u32_e32 v8, vcc, v8, v0
	v_addc_co_u32_e32 v9, vcc, v9, v20, vcc
	v_add_co_u32_e32 v10, vcc, v22, v0
	v_addc_co_u32_e32 v11, vcc, v23, v20, vcc
	;; [unrolled: 2-line block ×3, first 2 shown]
	s_waitcnt lgkmcnt(0)
	v_add_co_u32_e32 v23, vcc, v3, v0
	v_addc_co_u32_e32 v24, vcc, v4, v20, vcc
	s_branch .LBB4_1195
.LBB4_1194:                             ;   in Loop: Header=BB4_1195 Depth=3
	s_or_b64 exec, exec, s[40:41]
	v_cmp_gt_i32_e32 vcc, 2, v13
	s_or_b64 s[90:91], vcc, s[90:91]
	s_andn2_b64 s[40:41], s[92:93], exec
	s_and_b64 s[42:43], s[94:95], exec
	s_or_b64 s[92:93], s[40:41], s[42:43]
	s_andn2_b64 exec, exec, s[90:91]
	s_cbranch_execz .LBB4_1216
.LBB4_1195:                             ;   Parent Loop BB4_47 Depth=1
                                        ;     Parent Loop BB4_816 Depth=2
                                        ; =>    This Loop Header: Depth=3
                                        ;         Child Loop BB4_1196 Depth 4
                                        ;         Child Loop BB4_1203 Depth 4
	;; [unrolled: 1-line block ×4, first 2 shown]
	s_lshr_b32 s8, s33, 6
	s_add_i32 s8, s8, 64
	s_mov_b64 s[42:43], -1
	s_mov_b64 s[30:31], 0
.LBB4_1196:                             ;   Parent Loop BB4_47 Depth=1
                                        ;     Parent Loop BB4_816 Depth=2
                                        ;       Parent Loop BB4_1195 Depth=3
                                        ; =>      This Inner Loop Header: Depth=4
	s_cmp_eq_u32 s30, 1
	s_cselect_b64 s[40:41], -1, 0
	v_cndmask_b32_e64 v4, v22, v24, s[40:41]
	v_cndmask_b32_e64 v3, v15, v23, s[40:41]
	flat_load_ushort v0, v[3:4] glc slc
	v_mov_b32_e32 v20, s8
	s_cmp_eq_u32 s30, 0
	s_mov_b64 s[30:31], 1
	s_waitcnt vmcnt(0) lgkmcnt(0)
	buffer_store_short v0, v20, s[0:3], 0 offen
	v_add_co_u32_e32 v0, vcc, 0x80, v3
	v_addc_co_u32_e32 v3, vcc, 0, v4, vcc
	s_cselect_b64 vcc, -1, 0
	s_lshr_b32 s8, s33, 6
	s_addk_i32 s8, 0x60
	v_cndmask_b32_e32 v22, v22, v3, vcc
	v_cndmask_b32_e32 v15, v15, v0, vcc
	v_cndmask_b32_e64 v24, v24, v3, s[40:41]
	v_cndmask_b32_e64 v23, v23, v0, s[40:41]
	s_and_b64 vcc, exec, s[42:43]
	s_mov_b64 s[42:43], 0
	s_cbranch_vccnz .LBB4_1196
; %bb.1197:                             ;   in Loop: Header=BB4_1195 Depth=3
	s_and_saveexec_b64 s[30:31], s[94:95]
	s_cbranch_execz .LBB4_1205
; %bb.1198:                             ;   in Loop: Header=BB4_1195 Depth=3
	buffer_load_ushort v0, off, s[0:3], s33 offset:56
	buffer_load_ushort v3, off, s[0:3], s33 offset:58
	s_waitcnt vmcnt(1)
	v_lshlrev_b32_e32 v0, 16, v0
	s_waitcnt vmcnt(0)
	v_lshlrev_b32_e32 v3, 16, v3
	v_max_f32_e32 v3, v3, v3
	v_max_f32_e32 v0, v0, v0
	v_min_f32_e32 v4, v0, v3
	v_max_f32_e32 v0, v0, v3
	v_cndmask_b32_e64 v0, v0, v4, s[28:29]
	v_and_b32_e32 v3, 0x7f800000, v0
	v_cmp_ne_u32_e32 vcc, s57, v3
                                        ; implicit-def: $vgpr3
	s_and_saveexec_b64 s[40:41], vcc
	s_xor_b64 s[40:41], exec, s[40:41]
; %bb.1199:                             ;   in Loop: Header=BB4_1195 Depth=3
	v_bfe_u32 v3, v0, 16, 1
	v_add3_u32 v3, v0, v3, s46
                                        ; implicit-def: $vgpr0
; %bb.1200:                             ;   in Loop: Header=BB4_1195 Depth=3
	s_andn2_saveexec_b64 s[40:41], s[40:41]
; %bb.1201:                             ;   in Loop: Header=BB4_1195 Depth=3
	v_or_b32_e32 v3, 0x10000, v0
	v_cmp_eq_u32_sdwa vcc, v0, v2 src0_sel:WORD_0 src1_sel:DWORD
	v_cndmask_b32_e32 v3, v3, v0, vcc
; %bb.1202:                             ;   in Loop: Header=BB4_1195 Depth=3
	s_or_b64 exec, exec, s[40:41]
	v_lshrrev_b32_e32 v0, 16, v3
	s_mov_b64 s[34:35], 0
	s_mov_b64 s[94:95], -1
	buffer_store_short v0, off, s[0:3], s33 offset:56
.LBB4_1203:                             ;   Parent Loop BB4_47 Depth=1
                                        ;     Parent Loop BB4_816 Depth=2
                                        ;       Parent Loop BB4_1195 Depth=3
                                        ; =>      This Inner Loop Header: Depth=4
	s_cmp_eq_u32 s34, 1
	s_cselect_b64 s[40:41], -1, 0
	v_cndmask_b32_e64 v4, v9, v11, s[40:41]
	v_cndmask_b32_e64 v3, v8, v10, s[40:41]
	flat_store_short v[3:4], v0 glc slc
	v_add_co_u32_e32 v3, vcc, 0x80, v3
	s_cmp_eq_u32 s34, 0
	v_addc_co_u32_e32 v4, vcc, 0, v4, vcc
	s_cselect_b64 vcc, -1, 0
	s_and_b64 s[42:43], exec, s[94:95]
	s_mov_b64 s[34:35], 1
	v_cndmask_b32_e64 v10, v10, v3, s[40:41]
	s_mov_b64 s[94:95], 0
	v_cndmask_b32_e64 v11, v11, v4, s[40:41]
	v_cndmask_b32_e32 v9, v9, v4, vcc
	v_cndmask_b32_e32 v8, v8, v3, vcc
	s_mov_b64 vcc, s[42:43]
	s_cbranch_vccnz .LBB4_1203
; %bb.1204:                             ;   in Loop: Header=BB4_1195 Depth=3
	v_add_co_u32_e32 v8, vcc, v8, v40
	v_addc_co_u32_e32 v9, vcc, v9, v41, vcc
	v_add_co_u32_e32 v10, vcc, v10, v40
	v_addc_co_u32_e32 v11, vcc, v11, v41, vcc
.LBB4_1205:                             ;   in Loop: Header=BB4_1195 Depth=3
	s_or_b64 exec, exec, s[30:31]
	v_add_co_u32_e32 v15, vcc, v15, v40
	v_addc_co_u32_e32 v22, vcc, v22, v41, vcc
	v_lshlrev_b32_e32 v0, 7, v57
	v_add_co_u32_e32 v23, vcc, v23, v40
	v_sub_u32_e32 v13, v13, v0
	v_addc_co_u32_e32 v24, vcc, v24, v41, vcc
	v_cmp_lt_i32_e64 s[94:95], 1, v13
	s_and_saveexec_b64 s[42:43], s[94:95]
	s_cbranch_execz .LBB4_1208
; %bb.1206:                             ;   in Loop: Header=BB4_1195 Depth=3
	s_lshr_b32 s8, s33, 6
	s_add_i32 s8, s8, 56
	s_mov_b64 s[34:35], 0
	s_mov_b64 s[30:31], -1
.LBB4_1207:                             ;   Parent Loop BB4_47 Depth=1
                                        ;     Parent Loop BB4_816 Depth=2
                                        ;       Parent Loop BB4_1195 Depth=3
                                        ; =>      This Inner Loop Header: Depth=4
	s_cmp_eq_u32 s34, 1
	s_cselect_b64 s[40:41], -1, 0
	v_cndmask_b32_e64 v4, v22, v24, s[40:41]
	v_cndmask_b32_e64 v3, v15, v23, s[40:41]
	flat_load_ushort v0, v[3:4] glc slc
	v_mov_b32_e32 v20, s8
	s_cmp_eq_u32 s34, 0
	s_mov_b64 s[34:35], 1
	s_waitcnt vmcnt(0) lgkmcnt(0)
	buffer_store_short v0, v20, s[0:3], 0 offen
	v_add_co_u32_e32 v0, vcc, 0x80, v3
	v_addc_co_u32_e32 v3, vcc, 0, v4, vcc
	s_cselect_b64 vcc, -1, 0
	s_lshr_b32 s8, s33, 6
	s_add_i32 s8, s8, 58
	v_cndmask_b32_e32 v22, v22, v3, vcc
	v_cndmask_b32_e32 v15, v15, v0, vcc
	v_cndmask_b32_e64 v24, v24, v3, s[40:41]
	v_cndmask_b32_e64 v23, v23, v0, s[40:41]
	s_and_b64 vcc, exec, s[30:31]
	s_mov_b64 s[30:31], 0
	s_cbranch_vccnz .LBB4_1207
.LBB4_1208:                             ;   in Loop: Header=BB4_1195 Depth=3
	s_or_b64 exec, exec, s[42:43]
	buffer_load_ushort v0, off, s[0:3], s33 offset:64
	buffer_load_ushort v3, off, s[0:3], s33 offset:96
	s_waitcnt vmcnt(0)
	v_lshlrev_b32_e32 v0, 16, v0
	v_lshlrev_b32_e32 v3, 16, v3
	v_max_f32_e32 v3, v3, v3
	v_max_f32_e32 v0, v0, v0
	v_min_f32_e32 v4, v0, v3
	v_max_f32_e32 v0, v0, v3
	v_cndmask_b32_e64 v0, v0, v4, s[28:29]
	v_and_b32_e32 v3, 0x7f800000, v0
	v_cmp_ne_u32_e32 vcc, s57, v3
                                        ; implicit-def: $vgpr3
	s_and_saveexec_b64 s[40:41], vcc
	s_xor_b64 s[40:41], exec, s[40:41]
; %bb.1209:                             ;   in Loop: Header=BB4_1195 Depth=3
	v_bfe_u32 v3, v0, 16, 1
	v_add3_u32 v3, v0, v3, s46
                                        ; implicit-def: $vgpr0
; %bb.1210:                             ;   in Loop: Header=BB4_1195 Depth=3
	s_andn2_saveexec_b64 s[40:41], s[40:41]
; %bb.1211:                             ;   in Loop: Header=BB4_1195 Depth=3
	v_or_b32_e32 v3, 0x10000, v0
	v_cmp_eq_u32_sdwa vcc, v0, v2 src0_sel:WORD_0 src1_sel:DWORD
	v_cndmask_b32_e32 v3, v3, v0, vcc
; %bb.1212:                             ;   in Loop: Header=BB4_1195 Depth=3
	s_or_b64 exec, exec, s[40:41]
	v_lshrrev_b32_e32 v0, 16, v3
	s_mov_b64 s[34:35], 0
	s_mov_b64 s[30:31], -1
	buffer_store_short v0, off, s[0:3], s33 offset:64
.LBB4_1213:                             ;   Parent Loop BB4_47 Depth=1
                                        ;     Parent Loop BB4_816 Depth=2
                                        ;       Parent Loop BB4_1195 Depth=3
                                        ; =>      This Inner Loop Header: Depth=4
	s_cmp_eq_u32 s34, 1
	s_cselect_b64 s[40:41], -1, 0
	v_cndmask_b32_e64 v4, v9, v11, s[40:41]
	v_cndmask_b32_e64 v3, v8, v10, s[40:41]
	flat_store_short v[3:4], v0 glc slc
	v_add_co_u32_e32 v3, vcc, 0x80, v3
	s_cmp_eq_u32 s34, 0
	v_addc_co_u32_e32 v4, vcc, 0, v4, vcc
	s_cselect_b64 vcc, -1, 0
	s_and_b64 s[42:43], exec, s[30:31]
	s_mov_b64 s[34:35], 1
	v_cndmask_b32_e64 v10, v10, v3, s[40:41]
	s_mov_b64 s[30:31], 0
	v_cndmask_b32_e64 v11, v11, v4, s[40:41]
	v_cndmask_b32_e32 v9, v9, v4, vcc
	v_cndmask_b32_e32 v8, v8, v3, vcc
	s_mov_b64 vcc, s[42:43]
	s_cbranch_vccnz .LBB4_1213
; %bb.1214:                             ;   in Loop: Header=BB4_1195 Depth=3
	s_and_saveexec_b64 s[40:41], s[94:95]
	s_cbranch_execz .LBB4_1194
; %bb.1215:                             ;   in Loop: Header=BB4_1195 Depth=3
	v_add_co_u32_e32 v8, vcc, v8, v40
	v_addc_co_u32_e32 v9, vcc, v9, v41, vcc
	v_add_co_u32_e32 v10, vcc, v10, v40
	v_addc_co_u32_e32 v11, vcc, v11, v41, vcc
	;; [unrolled: 2-line block ×3, first 2 shown]
	v_add_co_u32_e32 v23, vcc, v23, v40
	v_lshlrev_b32_e32 v0, 7, v57
	v_addc_co_u32_e32 v24, vcc, v24, v41, vcc
	v_sub_u32_e32 v13, v13, v0
	s_branch .LBB4_1194
.LBB4_1216:                             ;   in Loop: Header=BB4_816 Depth=2
	s_or_b64 exec, exec, s[90:91]
	s_and_b64 exec, exec, s[92:93]
	s_cbranch_execz .LBB4_1223
; %bb.1217:                             ;   in Loop: Header=BB4_816 Depth=2
	buffer_load_ushort v0, off, s[0:3], s33 offset:56
	buffer_load_ushort v3, off, s[0:3], s33 offset:58
	s_waitcnt vmcnt(0)
	v_lshlrev_b32_e32 v0, 16, v0
	v_lshlrev_b32_e32 v3, 16, v3
	v_max_f32_e32 v3, v3, v3
	v_max_f32_e32 v0, v0, v0
	v_min_f32_e32 v4, v0, v3
	v_max_f32_e32 v0, v0, v3
	v_cndmask_b32_e64 v0, v0, v4, s[28:29]
	v_and_b32_e32 v3, 0x7f800000, v0
	v_cmp_ne_u32_e32 vcc, s57, v3
                                        ; implicit-def: $vgpr3
	s_and_saveexec_b64 s[28:29], vcc
	s_xor_b64 s[28:29], exec, s[28:29]
; %bb.1218:                             ;   in Loop: Header=BB4_816 Depth=2
	v_bfe_u32 v3, v0, 16, 1
	v_add3_u32 v3, v0, v3, s46
                                        ; implicit-def: $vgpr0
; %bb.1219:                             ;   in Loop: Header=BB4_816 Depth=2
	s_andn2_saveexec_b64 s[28:29], s[28:29]
; %bb.1220:                             ;   in Loop: Header=BB4_816 Depth=2
	v_or_b32_e32 v3, 0x10000, v0
	v_cmp_eq_u32_sdwa vcc, v0, v2 src0_sel:WORD_0 src1_sel:DWORD
	v_cndmask_b32_e32 v3, v3, v0, vcc
; %bb.1221:                             ;   in Loop: Header=BB4_816 Depth=2
	s_or_b64 exec, exec, s[28:29]
	v_lshrrev_b32_e32 v0, 16, v3
	s_mov_b64 s[90:91], 0
	s_mov_b64 s[42:43], -1
.LBB4_1222:                             ;   Parent Loop BB4_47 Depth=1
                                        ;     Parent Loop BB4_816 Depth=2
                                        ; =>    This Inner Loop Header: Depth=3
	s_cmp_eq_u32 s90, 1
	s_cselect_b64 s[28:29], -1, 0
	v_cndmask_b32_e64 v4, v9, v11, s[28:29]
	v_cndmask_b32_e64 v3, v8, v10, s[28:29]
	flat_store_short v[3:4], v0 glc slc
	v_add_co_u32_e32 v3, vcc, 0x80, v3
	s_cmp_eq_u32 s90, 0
	v_addc_co_u32_e32 v4, vcc, 0, v4, vcc
	s_cselect_b64 vcc, -1, 0
	s_and_b64 s[40:41], exec, s[42:43]
	s_mov_b64 s[90:91], 1
	v_cndmask_b32_e64 v10, v10, v3, s[28:29]
	s_mov_b64 s[42:43], 0
	v_cndmask_b32_e64 v11, v11, v4, s[28:29]
	v_cndmask_b32_e32 v9, v9, v4, vcc
	v_cndmask_b32_e32 v8, v8, v3, vcc
	s_mov_b64 vcc, s[40:41]
	s_cbranch_vccnz .LBB4_1222
.LBB4_1223:                             ;   in Loop: Header=BB4_816 Depth=2
	s_or_b64 exec, exec, s[44:45]
	s_mov_b64 s[28:29], 0
.LBB4_1224:                             ;   in Loop: Header=BB4_816 Depth=2
	s_and_b64 vcc, exec, s[28:29]
	s_cbranch_vccz .LBB4_1307
; %bb.1225:                             ;   in Loop: Header=BB4_816 Depth=2
	s_mov_b64 s[28:29], -1
	s_and_saveexec_b64 s[40:41], s[22:23]
	s_cbranch_execz .LBB4_1227
; %bb.1226:                             ;   in Loop: Header=BB4_816 Depth=2
	s_waitcnt vmcnt(0)
	ds_read_b32 v0, v0 offset:720
	s_waitcnt lgkmcnt(0)
	v_and_b32_e32 v0, 15, v0
	v_cmp_eq_u32_e32 vcc, 0, v0
	s_orn2_b64 s[28:29], vcc, exec
.LBB4_1227:                             ;   in Loop: Header=BB4_816 Depth=2
	s_or_b64 exec, exec, s[40:41]
	s_and_saveexec_b64 s[40:41], s[18:19]
	s_cbranch_execz .LBB4_1229
; %bb.1228:                             ;   in Loop: Header=BB4_816 Depth=2
	s_waitcnt vmcnt(0)
	ds_read_b32 v0, v0 offset:784
	s_waitcnt lgkmcnt(0)
	v_and_b32_e32 v0, 15, v0
	v_cmp_eq_u32_e32 vcc, 0, v0
	s_and_b64 s[42:43], s[28:29], vcc
	s_andn2_b64 s[28:29], s[28:29], exec
	s_and_b64 s[42:43], s[42:43], exec
	s_or_b64 s[28:29], s[28:29], s[42:43]
.LBB4_1229:                             ;   in Loop: Header=BB4_816 Depth=2
	s_or_b64 exec, exec, s[40:41]
	s_xor_b64 s[28:29], s[28:29], -1
	s_waitcnt vmcnt(0)
	v_cndmask_b32_e64 v0, 0, 1, s[28:29]
	s_mov_b64 s[40:41], -1
	v_cmp_ne_u32_e32 vcc, 0, v0
	s_cbranch_vccz .LBB4_1308
; %bb.1230:                             ;   in Loop: Header=BB4_816 Depth=2
	s_and_b32 s8, s9, 1
	s_mov_b64 s[44:45], -1
	v_mov_b32_e32 v26, 0
	s_cbranch_execnz .LBB4_1309
.LBB4_1231:                             ;   in Loop: Header=BB4_816 Depth=2
	v_ashrrev_i32_e32 v0, 31, v42
	v_lshrrev_b32_e32 v0, 22, v0
	v_add_u32_e32 v0, v42, v0
	buffer_load_dword v4, off, s[0:3], s33 offset:200 ; 4-byte Folded Reload
	v_ashrrev_i32_e32 v3, 10, v0
	v_and_b32_e32 v15, 0xfffffc00, v0
	s_trap 2
	ds_read_b64 v[8:9], v0
	buffer_load_dword v0, off, s[0:3], s33 offset:208 ; 4-byte Folded Reload
	buffer_load_dword v10, off, s[0:3], s33 offset:232 ; 4-byte Folded Reload
	;; [unrolled: 1-line block ×3, first 2 shown]
	v_sub_u32_e32 v22, v42, v15
	v_cmp_lt_i32_e64 s[28:29], 15, v22
	s_and_b32 s8, s9, 1
	s_mov_b64 s[40:41], 0
	s_waitcnt vmcnt(0)
	v_sub_u32_e32 v13, v42, v4
	v_sub_u32_e32 v0, v3, v0
	v_addc_co_u32_e64 v23, vcc, 0, v0, s[28:29]
	v_add_co_u32_e32 v10, vcc, v10, v4
	v_addc_co_u32_e32 v11, vcc, 0, v11, vcc
	v_cmp_lt_i32_e32 vcc, 15, v13
	s_and_saveexec_b64 s[90:91], vcc
	s_cbranch_execz .LBB4_1311
; %bb.1232:                             ;   in Loop: Header=BB4_816 Depth=2
	buffer_load_dword v0, off, s[0:3], s33 offset:200 ; 4-byte Folded Reload
	s_and_b32 s9, 0xffff, s8
	s_cmp_eq_u32 s9, 0
	s_mov_b64 s[30:31], 0
	s_mov_b64 s[92:93], 0
	s_cselect_b64 s[40:41], -1, 0
                                        ; implicit-def: $sgpr94_sgpr95
	s_waitcnt vmcnt(0) lgkmcnt(0)
	v_add_co_u32_e32 v24, vcc, v18, v0
	v_addc_co_u32_e32 v25, vcc, 0, v19, vcc
	v_add_co_u32_e32 v26, vcc, v8, v0
	v_addc_co_u32_e32 v27, vcc, 0, v9, vcc
	s_branch .LBB4_1234
.LBB4_1233:                             ;   in Loop: Header=BB4_1234 Depth=3
	s_or_b64 exec, exec, s[42:43]
	v_cmp_gt_i32_e32 vcc, 16, v13
	s_or_b64 s[92:93], vcc, s[92:93]
	s_andn2_b64 s[42:43], s[94:95], exec
	s_and_b64 s[94:95], s[30:31], exec
	s_or_b64 s[94:95], s[42:43], s[94:95]
	s_andn2_b64 exec, exec, s[92:93]
	s_cbranch_execz .LBB4_1310
.LBB4_1234:                             ;   Parent Loop BB4_47 Depth=1
                                        ;     Parent Loop BB4_816 Depth=2
                                        ; =>    This Loop Header: Depth=3
                                        ;         Child Loop BB4_1235 Depth 4
                                        ;         Child Loop BB4_1272 Depth 4
	s_lshr_b32 s9, s33, 6
	s_add_i32 s9, s9, 64
	s_mov_b64 s[34:35], -1
	s_mov_b64 s[36:37], 0
.LBB4_1235:                             ;   Parent Loop BB4_47 Depth=1
                                        ;     Parent Loop BB4_816 Depth=2
                                        ;       Parent Loop BB4_1234 Depth=3
                                        ; =>      This Inner Loop Header: Depth=4
	s_cmp_eq_u32 s36, 1
	s_cselect_b64 s[42:43], -1, 0
	v_cndmask_b32_e64 v4, v25, v27, s[42:43]
	v_cndmask_b32_e64 v3, v24, v26, s[42:43]
	global_load_dwordx4 v[28:31], v[3:4], off glc slc
	v_mov_b32_e32 v0, s9
	s_cmp_eq_u32 s36, 0
	s_mov_b64 s[36:37], 1
	s_mov_b32 s9, s84
	s_waitcnt vmcnt(0)
	buffer_store_dword v29, v0, s[0:3], 0 offen offset:4
	buffer_store_dword v28, v0, s[0:3], 0 offen
	buffer_store_dword v31, v0, s[0:3], 0 offen offset:12
	buffer_store_dword v30, v0, s[0:3], 0 offen offset:8
	v_add_co_u32_e32 v0, vcc, s52, v3
	v_addc_co_u32_e32 v3, vcc, 0, v4, vcc
	s_cselect_b64 vcc, -1, 0
	v_cndmask_b32_e32 v25, v25, v3, vcc
	v_cndmask_b32_e32 v24, v24, v0, vcc
	v_cndmask_b32_e64 v27, v27, v3, s[42:43]
	v_cndmask_b32_e64 v26, v26, v0, s[42:43]
	s_and_b64 vcc, exec, s[34:35]
	s_mov_b64 s[34:35], 0
	s_cbranch_vccnz .LBB4_1235
; %bb.1236:                             ;   in Loop: Header=BB4_1234 Depth=3
	s_and_saveexec_b64 s[42:43], s[30:31]
	s_cbranch_execz .LBB4_1270
; %bb.1237:                             ;   in Loop: Header=BB4_1234 Depth=3
	buffer_load_dword v20, off, s[0:3], s33 offset:96
	buffer_load_dword v21, off, s[0:3], s33 offset:112
	;; [unrolled: 1-line block ×8, first 2 shown]
	s_waitcnt vmcnt(7)
	v_lshlrev_b32_e32 v3, 16, v20
	s_waitcnt vmcnt(6)
	v_lshlrev_b32_e32 v34, 16, v21
	v_max_f32_e32 v34, v34, v34
	v_max_f32_e32 v3, v3, v3
	v_min_f32_e32 v35, v3, v34
	v_max_f32_e32 v3, v3, v34
	v_cndmask_b32_e64 v34, v3, v35, s[40:41]
	v_and_b32_e32 v3, 0x7f800000, v34
	v_cmp_ne_u32_e32 vcc, s57, v3
                                        ; implicit-def: $vgpr3
	s_and_saveexec_b64 s[30:31], vcc
	s_xor_b64 vcc, exec, s[30:31]
; %bb.1238:                             ;   in Loop: Header=BB4_1234 Depth=3
	v_bfe_u32 v3, v34, 16, 1
	v_add3_u32 v3, v34, v3, s46
                                        ; implicit-def: $vgpr34
; %bb.1239:                             ;   in Loop: Header=BB4_1234 Depth=3
	s_andn2_saveexec_b64 s[30:31], vcc
; %bb.1240:                             ;   in Loop: Header=BB4_1234 Depth=3
	v_or_b32_e32 v3, 0x10000, v34
	v_cmp_eq_u32_sdwa vcc, v34, v2 src0_sel:WORD_0 src1_sel:DWORD
	v_cndmask_b32_e32 v3, v3, v34, vcc
; %bb.1241:                             ;   in Loop: Header=BB4_1234 Depth=3
	s_or_b64 exec, exec, s[30:31]
	v_and_b32_e32 v20, 0xffff0000, v20
	v_and_b32_e32 v21, 0xffff0000, v21
	v_max_f32_e32 v21, v21, v21
	v_max_f32_e32 v20, v20, v20
	v_min_f32_e32 v34, v20, v21
	v_max_f32_e32 v20, v20, v21
	v_cndmask_b32_e64 v21, v20, v34, s[40:41]
	v_and_b32_e32 v20, 0x7f800000, v21
	v_cmp_ne_u32_e32 vcc, s57, v20
                                        ; implicit-def: $vgpr20
	s_and_saveexec_b64 s[30:31], vcc
	s_xor_b64 vcc, exec, s[30:31]
; %bb.1242:                             ;   in Loop: Header=BB4_1234 Depth=3
	v_bfe_u32 v20, v21, 16, 1
	v_add3_u32 v20, v21, v20, s46
                                        ; implicit-def: $vgpr21
; %bb.1243:                             ;   in Loop: Header=BB4_1234 Depth=3
	s_andn2_saveexec_b64 s[30:31], vcc
; %bb.1244:                             ;   in Loop: Header=BB4_1234 Depth=3
	v_or_b32_e32 v20, 0x10000, v21
	v_cmp_eq_u32_sdwa vcc, v21, v2 src0_sel:WORD_0 src1_sel:DWORD
	v_cndmask_b32_e32 v20, v20, v21, vcc
; %bb.1245:                             ;   in Loop: Header=BB4_1234 Depth=3
	s_or_b64 exec, exec, s[30:31]
	s_waitcnt vmcnt(5)
	v_lshlrev_b32_e32 v21, 16, v30
	s_waitcnt vmcnt(3)
	v_lshlrev_b32_e32 v34, 16, v31
	v_max_f32_e32 v34, v34, v34
	v_max_f32_e32 v21, v21, v21
	v_min_f32_e32 v35, v21, v34
	v_max_f32_e32 v21, v21, v34
	v_cndmask_b32_e64 v34, v21, v35, s[40:41]
	v_and_b32_e32 v21, 0x7f800000, v34
	v_cmp_ne_u32_e32 vcc, s57, v21
                                        ; implicit-def: $vgpr21
	s_and_saveexec_b64 s[30:31], vcc
	s_xor_b64 vcc, exec, s[30:31]
; %bb.1246:                             ;   in Loop: Header=BB4_1234 Depth=3
	v_bfe_u32 v21, v34, 16, 1
	v_add3_u32 v21, v34, v21, s46
                                        ; implicit-def: $vgpr34
; %bb.1247:                             ;   in Loop: Header=BB4_1234 Depth=3
	s_andn2_saveexec_b64 s[30:31], vcc
; %bb.1248:                             ;   in Loop: Header=BB4_1234 Depth=3
	v_or_b32_e32 v21, 0x10000, v34
	v_cmp_eq_u32_sdwa vcc, v34, v2 src0_sel:WORD_0 src1_sel:DWORD
	v_cndmask_b32_e32 v21, v21, v34, vcc
; %bb.1249:                             ;   in Loop: Header=BB4_1234 Depth=3
	s_or_b64 exec, exec, s[30:31]
	v_and_b32_e32 v30, 0xffff0000, v30
	v_and_b32_e32 v31, 0xffff0000, v31
	v_max_f32_e32 v31, v31, v31
	v_max_f32_e32 v30, v30, v30
	v_min_f32_e32 v34, v30, v31
	v_max_f32_e32 v30, v30, v31
	v_cndmask_b32_e64 v31, v30, v34, s[40:41]
	v_and_b32_e32 v30, 0x7f800000, v31
	v_cmp_ne_u32_e32 vcc, s57, v30
                                        ; implicit-def: $vgpr30
	s_and_saveexec_b64 s[30:31], vcc
	s_xor_b64 vcc, exec, s[30:31]
; %bb.1250:                             ;   in Loop: Header=BB4_1234 Depth=3
	v_bfe_u32 v30, v31, 16, 1
	v_add3_u32 v30, v31, v30, s46
                                        ; implicit-def: $vgpr31
; %bb.1251:                             ;   in Loop: Header=BB4_1234 Depth=3
	s_andn2_saveexec_b64 s[30:31], vcc
; %bb.1252:                             ;   in Loop: Header=BB4_1234 Depth=3
	v_or_b32_e32 v30, 0x10000, v31
	v_cmp_eq_u32_sdwa vcc, v31, v2 src0_sel:WORD_0 src1_sel:DWORD
	v_cndmask_b32_e32 v30, v30, v31, vcc
; %bb.1253:                             ;   in Loop: Header=BB4_1234 Depth=3
	s_or_b64 exec, exec, s[30:31]
	v_lshlrev_b32_e32 v31, 16, v28
	s_waitcnt vmcnt(2)
	v_lshlrev_b32_e32 v34, 16, v29
	v_max_f32_e32 v34, v34, v34
	v_max_f32_e32 v31, v31, v31
	v_min_f32_e32 v35, v31, v34
	v_max_f32_e32 v31, v31, v34
	v_cndmask_b32_e64 v34, v31, v35, s[40:41]
	v_and_b32_e32 v31, 0x7f800000, v34
	v_cmp_ne_u32_e32 vcc, s57, v31
                                        ; implicit-def: $vgpr31
	s_and_saveexec_b64 s[30:31], vcc
	s_xor_b64 vcc, exec, s[30:31]
; %bb.1254:                             ;   in Loop: Header=BB4_1234 Depth=3
	v_bfe_u32 v31, v34, 16, 1
	v_add3_u32 v31, v34, v31, s46
                                        ; implicit-def: $vgpr34
; %bb.1255:                             ;   in Loop: Header=BB4_1234 Depth=3
	s_andn2_saveexec_b64 s[30:31], vcc
; %bb.1256:                             ;   in Loop: Header=BB4_1234 Depth=3
	v_or_b32_e32 v31, 0x10000, v34
	v_cmp_eq_u32_sdwa vcc, v34, v2 src0_sel:WORD_0 src1_sel:DWORD
	v_cndmask_b32_e32 v31, v31, v34, vcc
; %bb.1257:                             ;   in Loop: Header=BB4_1234 Depth=3
	s_or_b64 exec, exec, s[30:31]
	v_and_b32_e32 v28, 0xffff0000, v28
	v_and_b32_e32 v29, 0xffff0000, v29
	v_max_f32_e32 v29, v29, v29
	v_max_f32_e32 v28, v28, v28
	v_min_f32_e32 v34, v28, v29
	v_max_f32_e32 v28, v28, v29
	v_cndmask_b32_e64 v29, v28, v34, s[40:41]
	v_and_b32_e32 v28, 0x7f800000, v29
	v_cmp_ne_u32_e32 vcc, s57, v28
                                        ; implicit-def: $vgpr28
	s_and_saveexec_b64 s[30:31], vcc
	s_xor_b64 vcc, exec, s[30:31]
; %bb.1258:                             ;   in Loop: Header=BB4_1234 Depth=3
	v_bfe_u32 v28, v29, 16, 1
	v_add3_u32 v28, v29, v28, s46
                                        ; implicit-def: $vgpr29
; %bb.1259:                             ;   in Loop: Header=BB4_1234 Depth=3
	s_andn2_saveexec_b64 s[30:31], vcc
; %bb.1260:                             ;   in Loop: Header=BB4_1234 Depth=3
	v_or_b32_e32 v28, 0x10000, v29
	v_cmp_eq_u32_sdwa vcc, v29, v2 src0_sel:WORD_0 src1_sel:DWORD
	v_cndmask_b32_e32 v28, v28, v29, vcc
; %bb.1261:                             ;   in Loop: Header=BB4_1234 Depth=3
	s_or_b64 exec, exec, s[30:31]
	s_waitcnt vmcnt(0)
	v_lshlrev_b32_e32 v29, 16, v4
	v_lshlrev_b32_e32 v34, 16, v0
	v_max_f32_e32 v34, v34, v34
	v_max_f32_e32 v29, v29, v29
	v_min_f32_e32 v35, v29, v34
	v_max_f32_e32 v29, v29, v34
	v_cndmask_b32_e64 v34, v29, v35, s[40:41]
	v_and_b32_e32 v29, 0x7f800000, v34
	v_cmp_ne_u32_e32 vcc, s57, v29
                                        ; implicit-def: $vgpr29
	s_and_saveexec_b64 s[30:31], vcc
	s_xor_b64 vcc, exec, s[30:31]
; %bb.1262:                             ;   in Loop: Header=BB4_1234 Depth=3
	v_bfe_u32 v29, v34, 16, 1
	v_add3_u32 v29, v34, v29, s46
                                        ; implicit-def: $vgpr34
; %bb.1263:                             ;   in Loop: Header=BB4_1234 Depth=3
	s_andn2_saveexec_b64 s[30:31], vcc
; %bb.1264:                             ;   in Loop: Header=BB4_1234 Depth=3
	v_or_b32_e32 v29, 0x10000, v34
	v_cmp_eq_u32_sdwa vcc, v34, v2 src0_sel:WORD_0 src1_sel:DWORD
	v_cndmask_b32_e32 v29, v29, v34, vcc
; %bb.1265:                             ;   in Loop: Header=BB4_1234 Depth=3
	s_or_b64 exec, exec, s[30:31]
	v_and_b32_e32 v4, 0xffff0000, v4
	v_and_b32_e32 v0, 0xffff0000, v0
	v_max_f32_e32 v0, v0, v0
	v_max_f32_e32 v4, v4, v4
	v_min_f32_e32 v34, v4, v0
	v_max_f32_e32 v0, v4, v0
	v_cndmask_b32_e64 v4, v0, v34, s[40:41]
	v_and_b32_e32 v0, 0x7f800000, v4
	v_cmp_ne_u32_e32 vcc, s57, v0
                                        ; implicit-def: $vgpr0
	s_and_saveexec_b64 s[30:31], vcc
	s_xor_b64 vcc, exec, s[30:31]
; %bb.1266:                             ;   in Loop: Header=BB4_1234 Depth=3
	v_bfe_u32 v0, v4, 16, 1
	v_add3_u32 v0, v4, v0, s46
                                        ; implicit-def: $vgpr4
; %bb.1267:                             ;   in Loop: Header=BB4_1234 Depth=3
	s_andn2_saveexec_b64 s[30:31], vcc
; %bb.1268:                             ;   in Loop: Header=BB4_1234 Depth=3
	v_or_b32_e32 v0, 0x10000, v4
	v_cmp_eq_u32_sdwa vcc, v4, v2 src0_sel:WORD_0 src1_sel:DWORD
	v_cndmask_b32_e32 v0, v0, v4, vcc
; %bb.1269:                             ;   in Loop: Header=BB4_1234 Depth=3
	s_or_b64 exec, exec, s[30:31]
	v_lshrrev_b32_e32 v3, 16, v3
	v_and_or_b32 v50, v20, s47, v3
	v_lshrrev_b32_e32 v3, 16, v31
	v_lshrrev_b32_e32 v4, 16, v21
	v_and_or_b32 v52, v28, s47, v3
	v_lshrrev_b32_e32 v3, 16, v29
	v_and_or_b32 v51, v30, s47, v4
	v_and_or_b32 v53, v0, s47, v3
	buffer_store_dword v51, off, s[0:3], s33 offset:100
	buffer_store_dword v50, off, s[0:3], s33 offset:96
	buffer_store_dword v53, off, s[0:3], s33 offset:108
	buffer_store_dword v52, off, s[0:3], s33 offset:104
	global_store_dwordx4 v[10:11], v[50:53], off glc slc
	v_add_co_u32_e32 v10, vcc, v36, v10
	v_addc_co_u32_e32 v11, vcc, v37, v11, vcc
.LBB4_1270:                             ;   in Loop: Header=BB4_1234 Depth=3
	s_or_b64 exec, exec, s[42:43]
	v_add_co_u32_e32 v24, vcc, v24, v6
	v_addc_co_u32_e32 v25, vcc, v25, v43, vcc
	v_add_co_u32_e32 v26, vcc, v26, v6
	v_sub_u32_e32 v13, v13, v1
	v_addc_co_u32_e32 v27, vcc, v27, v43, vcc
	v_cmp_lt_i32_e64 s[30:31], 15, v13
	s_and_saveexec_b64 s[34:35], s[30:31]
	s_cbranch_execz .LBB4_1273
; %bb.1271:                             ;   in Loop: Header=BB4_1234 Depth=3
	s_lshr_b32 s9, s33, 6
	s_addk_i32 s9, 0x60
	s_mov_b64 s[38:39], 0
	s_mov_b64 s[36:37], -1
.LBB4_1272:                             ;   Parent Loop BB4_47 Depth=1
                                        ;     Parent Loop BB4_816 Depth=2
                                        ;       Parent Loop BB4_1234 Depth=3
                                        ; =>      This Inner Loop Header: Depth=4
	s_cmp_eq_u32 s38, 1
	s_cselect_b64 s[42:43], -1, 0
	v_cndmask_b32_e64 v4, v25, v27, s[42:43]
	v_cndmask_b32_e64 v3, v24, v26, s[42:43]
	global_load_dwordx4 v[28:31], v[3:4], off glc slc
	v_mov_b32_e32 v0, s9
	s_cmp_eq_u32 s38, 0
	s_mov_b64 s[38:39], 1
	s_mov_b32 s9, s83
	s_waitcnt vmcnt(0)
	buffer_store_dword v29, v0, s[0:3], 0 offen offset:4
	buffer_store_dword v28, v0, s[0:3], 0 offen
	buffer_store_dword v31, v0, s[0:3], 0 offen offset:12
	buffer_store_dword v30, v0, s[0:3], 0 offen offset:8
	v_add_co_u32_e32 v0, vcc, s52, v3
	v_addc_co_u32_e32 v3, vcc, 0, v4, vcc
	s_cselect_b64 vcc, -1, 0
	v_cndmask_b32_e32 v25, v25, v3, vcc
	v_cndmask_b32_e32 v24, v24, v0, vcc
	v_cndmask_b32_e64 v27, v27, v3, s[42:43]
	v_cndmask_b32_e64 v26, v26, v0, s[42:43]
	s_and_b64 vcc, exec, s[36:37]
	s_mov_b64 s[36:37], 0
	s_cbranch_vccnz .LBB4_1272
.LBB4_1273:                             ;   in Loop: Header=BB4_1234 Depth=3
	s_or_b64 exec, exec, s[34:35]
	buffer_load_dword v20, off, s[0:3], s33 offset:64
	buffer_load_dword v21, off, s[0:3], s33 offset:80
	buffer_load_dword v30, off, s[0:3], s33 offset:68
	buffer_load_dword v28, off, s[0:3], s33 offset:72
	buffer_load_dword v31, off, s[0:3], s33 offset:84
	buffer_load_dword v29, off, s[0:3], s33 offset:88
	buffer_load_dword v0, off, s[0:3], s33 offset:92
	buffer_load_dword v4, off, s[0:3], s33 offset:76
	s_waitcnt vmcnt(7)
	v_lshlrev_b32_e32 v3, 16, v20
	s_waitcnt vmcnt(6)
	v_lshlrev_b32_e32 v34, 16, v21
	v_max_f32_e32 v34, v34, v34
	v_max_f32_e32 v3, v3, v3
	v_min_f32_e32 v35, v3, v34
	v_max_f32_e32 v3, v3, v34
	v_cndmask_b32_e64 v34, v3, v35, s[40:41]
	v_and_b32_e32 v3, 0x7f800000, v34
	v_cmp_ne_u32_e32 vcc, s57, v3
                                        ; implicit-def: $vgpr3
	s_and_saveexec_b64 s[42:43], vcc
	s_xor_b64 s[42:43], exec, s[42:43]
; %bb.1274:                             ;   in Loop: Header=BB4_1234 Depth=3
	v_bfe_u32 v3, v34, 16, 1
	v_add3_u32 v3, v34, v3, s46
                                        ; implicit-def: $vgpr34
; %bb.1275:                             ;   in Loop: Header=BB4_1234 Depth=3
	s_andn2_saveexec_b64 s[42:43], s[42:43]
; %bb.1276:                             ;   in Loop: Header=BB4_1234 Depth=3
	v_or_b32_e32 v3, 0x10000, v34
	v_cmp_eq_u32_sdwa vcc, v34, v2 src0_sel:WORD_0 src1_sel:DWORD
	v_cndmask_b32_e32 v3, v3, v34, vcc
; %bb.1277:                             ;   in Loop: Header=BB4_1234 Depth=3
	s_or_b64 exec, exec, s[42:43]
	v_and_b32_e32 v20, 0xffff0000, v20
	v_and_b32_e32 v21, 0xffff0000, v21
	v_max_f32_e32 v21, v21, v21
	v_max_f32_e32 v20, v20, v20
	v_min_f32_e32 v34, v20, v21
	v_max_f32_e32 v20, v20, v21
	v_cndmask_b32_e64 v21, v20, v34, s[40:41]
	v_and_b32_e32 v20, 0x7f800000, v21
	v_cmp_ne_u32_e32 vcc, s57, v20
                                        ; implicit-def: $vgpr20
	s_and_saveexec_b64 s[42:43], vcc
	s_xor_b64 s[42:43], exec, s[42:43]
; %bb.1278:                             ;   in Loop: Header=BB4_1234 Depth=3
	v_bfe_u32 v20, v21, 16, 1
	v_add3_u32 v20, v21, v20, s46
                                        ; implicit-def: $vgpr21
; %bb.1279:                             ;   in Loop: Header=BB4_1234 Depth=3
	s_andn2_saveexec_b64 s[42:43], s[42:43]
; %bb.1280:                             ;   in Loop: Header=BB4_1234 Depth=3
	v_or_b32_e32 v20, 0x10000, v21
	v_cmp_eq_u32_sdwa vcc, v21, v2 src0_sel:WORD_0 src1_sel:DWORD
	v_cndmask_b32_e32 v20, v20, v21, vcc
; %bb.1281:                             ;   in Loop: Header=BB4_1234 Depth=3
	s_or_b64 exec, exec, s[42:43]
	s_waitcnt vmcnt(5)
	v_lshlrev_b32_e32 v21, 16, v30
	s_waitcnt vmcnt(3)
	v_lshlrev_b32_e32 v34, 16, v31
	v_max_f32_e32 v34, v34, v34
	v_max_f32_e32 v21, v21, v21
	v_min_f32_e32 v35, v21, v34
	v_max_f32_e32 v21, v21, v34
	v_cndmask_b32_e64 v34, v21, v35, s[40:41]
	v_and_b32_e32 v21, 0x7f800000, v34
	v_cmp_ne_u32_e32 vcc, s57, v21
                                        ; implicit-def: $vgpr21
	s_and_saveexec_b64 s[42:43], vcc
	s_xor_b64 s[42:43], exec, s[42:43]
; %bb.1282:                             ;   in Loop: Header=BB4_1234 Depth=3
	v_bfe_u32 v21, v34, 16, 1
	v_add3_u32 v21, v34, v21, s46
                                        ; implicit-def: $vgpr34
; %bb.1283:                             ;   in Loop: Header=BB4_1234 Depth=3
	s_andn2_saveexec_b64 s[42:43], s[42:43]
; %bb.1284:                             ;   in Loop: Header=BB4_1234 Depth=3
	v_or_b32_e32 v21, 0x10000, v34
	v_cmp_eq_u32_sdwa vcc, v34, v2 src0_sel:WORD_0 src1_sel:DWORD
	v_cndmask_b32_e32 v21, v21, v34, vcc
; %bb.1285:                             ;   in Loop: Header=BB4_1234 Depth=3
	s_or_b64 exec, exec, s[42:43]
	v_and_b32_e32 v30, 0xffff0000, v30
	v_and_b32_e32 v31, 0xffff0000, v31
	v_max_f32_e32 v31, v31, v31
	v_max_f32_e32 v30, v30, v30
	v_min_f32_e32 v34, v30, v31
	v_max_f32_e32 v30, v30, v31
	v_cndmask_b32_e64 v31, v30, v34, s[40:41]
	v_and_b32_e32 v30, 0x7f800000, v31
	v_cmp_ne_u32_e32 vcc, s57, v30
                                        ; implicit-def: $vgpr30
	s_and_saveexec_b64 s[42:43], vcc
	s_xor_b64 s[42:43], exec, s[42:43]
; %bb.1286:                             ;   in Loop: Header=BB4_1234 Depth=3
	v_bfe_u32 v30, v31, 16, 1
	v_add3_u32 v30, v31, v30, s46
                                        ; implicit-def: $vgpr31
; %bb.1287:                             ;   in Loop: Header=BB4_1234 Depth=3
	s_andn2_saveexec_b64 s[42:43], s[42:43]
; %bb.1288:                             ;   in Loop: Header=BB4_1234 Depth=3
	v_or_b32_e32 v30, 0x10000, v31
	v_cmp_eq_u32_sdwa vcc, v31, v2 src0_sel:WORD_0 src1_sel:DWORD
	v_cndmask_b32_e32 v30, v30, v31, vcc
; %bb.1289:                             ;   in Loop: Header=BB4_1234 Depth=3
	s_or_b64 exec, exec, s[42:43]
	v_lshlrev_b32_e32 v31, 16, v28
	s_waitcnt vmcnt(2)
	v_lshlrev_b32_e32 v34, 16, v29
	v_max_f32_e32 v34, v34, v34
	v_max_f32_e32 v31, v31, v31
	v_min_f32_e32 v35, v31, v34
	v_max_f32_e32 v31, v31, v34
	v_cndmask_b32_e64 v34, v31, v35, s[40:41]
	v_and_b32_e32 v31, 0x7f800000, v34
	v_cmp_ne_u32_e32 vcc, s57, v31
                                        ; implicit-def: $vgpr31
	s_and_saveexec_b64 s[42:43], vcc
	s_xor_b64 s[42:43], exec, s[42:43]
; %bb.1290:                             ;   in Loop: Header=BB4_1234 Depth=3
	v_bfe_u32 v31, v34, 16, 1
	v_add3_u32 v31, v34, v31, s46
                                        ; implicit-def: $vgpr34
; %bb.1291:                             ;   in Loop: Header=BB4_1234 Depth=3
	s_andn2_saveexec_b64 s[42:43], s[42:43]
; %bb.1292:                             ;   in Loop: Header=BB4_1234 Depth=3
	v_or_b32_e32 v31, 0x10000, v34
	v_cmp_eq_u32_sdwa vcc, v34, v2 src0_sel:WORD_0 src1_sel:DWORD
	v_cndmask_b32_e32 v31, v31, v34, vcc
; %bb.1293:                             ;   in Loop: Header=BB4_1234 Depth=3
	s_or_b64 exec, exec, s[42:43]
	v_and_b32_e32 v28, 0xffff0000, v28
	v_and_b32_e32 v29, 0xffff0000, v29
	v_max_f32_e32 v29, v29, v29
	v_max_f32_e32 v28, v28, v28
	v_min_f32_e32 v34, v28, v29
	v_max_f32_e32 v28, v28, v29
	v_cndmask_b32_e64 v29, v28, v34, s[40:41]
	v_and_b32_e32 v28, 0x7f800000, v29
	v_cmp_ne_u32_e32 vcc, s57, v28
                                        ; implicit-def: $vgpr28
	s_and_saveexec_b64 s[42:43], vcc
	s_xor_b64 s[42:43], exec, s[42:43]
; %bb.1294:                             ;   in Loop: Header=BB4_1234 Depth=3
	v_bfe_u32 v28, v29, 16, 1
	v_add3_u32 v28, v29, v28, s46
                                        ; implicit-def: $vgpr29
; %bb.1295:                             ;   in Loop: Header=BB4_1234 Depth=3
	s_andn2_saveexec_b64 s[42:43], s[42:43]
; %bb.1296:                             ;   in Loop: Header=BB4_1234 Depth=3
	v_or_b32_e32 v28, 0x10000, v29
	v_cmp_eq_u32_sdwa vcc, v29, v2 src0_sel:WORD_0 src1_sel:DWORD
	v_cndmask_b32_e32 v28, v28, v29, vcc
; %bb.1297:                             ;   in Loop: Header=BB4_1234 Depth=3
	s_or_b64 exec, exec, s[42:43]
	s_waitcnt vmcnt(0)
	v_lshlrev_b32_e32 v29, 16, v4
	v_lshlrev_b32_e32 v34, 16, v0
	v_max_f32_e32 v34, v34, v34
	v_max_f32_e32 v29, v29, v29
	v_min_f32_e32 v35, v29, v34
	v_max_f32_e32 v29, v29, v34
	v_cndmask_b32_e64 v34, v29, v35, s[40:41]
	v_and_b32_e32 v29, 0x7f800000, v34
	v_cmp_ne_u32_e32 vcc, s57, v29
                                        ; implicit-def: $vgpr29
	s_and_saveexec_b64 s[42:43], vcc
	s_xor_b64 s[42:43], exec, s[42:43]
; %bb.1298:                             ;   in Loop: Header=BB4_1234 Depth=3
	v_bfe_u32 v29, v34, 16, 1
	v_add3_u32 v29, v34, v29, s46
                                        ; implicit-def: $vgpr34
; %bb.1299:                             ;   in Loop: Header=BB4_1234 Depth=3
	s_andn2_saveexec_b64 s[42:43], s[42:43]
; %bb.1300:                             ;   in Loop: Header=BB4_1234 Depth=3
	v_or_b32_e32 v29, 0x10000, v34
	v_cmp_eq_u32_sdwa vcc, v34, v2 src0_sel:WORD_0 src1_sel:DWORD
	v_cndmask_b32_e32 v29, v29, v34, vcc
; %bb.1301:                             ;   in Loop: Header=BB4_1234 Depth=3
	s_or_b64 exec, exec, s[42:43]
	v_and_b32_e32 v4, 0xffff0000, v4
	v_and_b32_e32 v0, 0xffff0000, v0
	v_max_f32_e32 v0, v0, v0
	v_max_f32_e32 v4, v4, v4
	v_min_f32_e32 v34, v4, v0
	v_max_f32_e32 v0, v4, v0
	v_cndmask_b32_e64 v4, v0, v34, s[40:41]
	v_and_b32_e32 v0, 0x7f800000, v4
	v_cmp_ne_u32_e32 vcc, s57, v0
                                        ; implicit-def: $vgpr0
	s_and_saveexec_b64 s[42:43], vcc
	s_xor_b64 s[42:43], exec, s[42:43]
; %bb.1302:                             ;   in Loop: Header=BB4_1234 Depth=3
	v_bfe_u32 v0, v4, 16, 1
	v_add3_u32 v0, v4, v0, s46
                                        ; implicit-def: $vgpr4
; %bb.1303:                             ;   in Loop: Header=BB4_1234 Depth=3
	s_andn2_saveexec_b64 s[42:43], s[42:43]
; %bb.1304:                             ;   in Loop: Header=BB4_1234 Depth=3
	v_or_b32_e32 v0, 0x10000, v4
	v_cmp_eq_u32_sdwa vcc, v4, v2 src0_sel:WORD_0 src1_sel:DWORD
	v_cndmask_b32_e32 v0, v0, v4, vcc
; %bb.1305:                             ;   in Loop: Header=BB4_1234 Depth=3
	s_or_b64 exec, exec, s[42:43]
	v_lshrrev_b32_e32 v3, 16, v3
	v_and_or_b32 v50, v20, s47, v3
	v_lshrrev_b32_e32 v3, 16, v31
	v_lshrrev_b32_e32 v4, 16, v21
	v_and_or_b32 v52, v28, s47, v3
	v_lshrrev_b32_e32 v3, 16, v29
	v_and_or_b32 v51, v30, s47, v4
	v_and_or_b32 v53, v0, s47, v3
	buffer_store_dword v51, off, s[0:3], s33 offset:68
	buffer_store_dword v50, off, s[0:3], s33 offset:64
	;; [unrolled: 1-line block ×4, first 2 shown]
	global_store_dwordx4 v[10:11], v[50:53], off glc slc
	v_add_co_u32_e32 v10, vcc, 0x400, v10
	v_sub_u32_e32 v23, v23, v57
	v_addc_co_u32_e32 v11, vcc, 0, v11, vcc
	s_and_saveexec_b64 s[42:43], s[30:31]
	s_cbranch_execz .LBB4_1233
; %bb.1306:                             ;   in Loop: Header=BB4_1234 Depth=3
	v_add_co_u32_e32 v24, vcc, v24, v6
	v_addc_co_u32_e32 v25, vcc, v25, v43, vcc
	v_add_co_u32_e32 v26, vcc, v26, v6
	v_addc_co_u32_e32 v27, vcc, v27, v43, vcc
	;; [unrolled: 2-line block ×3, first 2 shown]
	v_sub_u32_e32 v13, v13, v1
	v_sub_u32_e32 v23, v23, v57
	s_branch .LBB4_1233
.LBB4_1307:                             ;   in Loop: Header=BB4_816 Depth=2
	s_waitcnt vmcnt(0)
	v_cmp_lt_i32_e64 s[28:29], 0, v59
	s_and_saveexec_b64 s[40:41], s[10:11]
	s_cbranch_execnz .LBB4_1545
	s_branch .LBB4_1563
.LBB4_1308:                             ;   in Loop: Header=BB4_816 Depth=2
	s_mov_b64 s[44:45], 0
                                        ; implicit-def: $sgpr8
	s_andn2_b64 vcc, exec, s[40:41]
	v_mov_b32_e32 v26, 0
	s_cbranch_vccz .LBB4_1231
.LBB4_1309:                             ;   in Loop: Header=BB4_816 Depth=2
	buffer_load_dword v0, off, s[0:3], s33 offset:204 ; 4-byte Folded Reload
	buffer_load_dword v27, off, s[0:3], s33 offset:188 ; 4-byte Folded Reload
	s_and_saveexec_b64 s[42:43], s[44:45]
	s_cbranch_execnz .LBB4_1461
	s_branch .LBB4_1544
.LBB4_1310:                             ;   in Loop: Header=BB4_816 Depth=2
	s_or_b64 exec, exec, s[92:93]
	s_and_b64 s[40:41], s[94:95], exec
.LBB4_1311:                             ;   in Loop: Header=BB4_816 Depth=2
	s_or_b64 exec, exec, s[90:91]
	s_and_saveexec_b64 s[42:43], s[40:41]
	s_cbranch_execz .LBB4_1345
; %bb.1312:                             ;   in Loop: Header=BB4_816 Depth=2
	buffer_load_dword v13, off, s[0:3], s33 offset:96
	buffer_load_dword v20, off, s[0:3], s33 offset:112
	s_waitcnt lgkmcnt(0)
	buffer_load_dword v25, off, s[0:3], s33 offset:100
	buffer_load_dword v21, off, s[0:3], s33 offset:104
	;; [unrolled: 1-line block ×6, first 2 shown]
	s_and_b32 s9, 0xffff, s8
	s_cmp_eq_u32 s9, 0
	s_cselect_b64 vcc, -1, 0
	s_waitcnt vmcnt(7)
	v_lshlrev_b32_e32 v3, 16, v13
	s_waitcnt vmcnt(6)
	v_lshlrev_b32_e32 v27, 16, v20
	v_max_f32_e32 v27, v27, v27
	v_max_f32_e32 v3, v3, v3
	v_min_f32_e32 v28, v3, v27
	v_max_f32_e32 v3, v3, v27
	v_cndmask_b32_e32 v27, v3, v28, vcc
	v_and_b32_e32 v3, 0x7f800000, v27
	v_cmp_ne_u32_e64 s[40:41], s57, v3
                                        ; implicit-def: $vgpr3
	s_and_saveexec_b64 s[90:91], s[40:41]
	s_xor_b64 s[40:41], exec, s[90:91]
; %bb.1313:                             ;   in Loop: Header=BB4_816 Depth=2
	v_bfe_u32 v3, v27, 16, 1
	v_add3_u32 v3, v27, v3, s46
                                        ; implicit-def: $vgpr27
; %bb.1314:                             ;   in Loop: Header=BB4_816 Depth=2
	s_andn2_saveexec_b64 s[90:91], s[40:41]
; %bb.1315:                             ;   in Loop: Header=BB4_816 Depth=2
	v_or_b32_e32 v3, 0x10000, v27
	v_cmp_eq_u32_sdwa s[40:41], v27, v2 src0_sel:WORD_0 src1_sel:DWORD
	v_cndmask_b32_e64 v3, v3, v27, s[40:41]
; %bb.1316:                             ;   in Loop: Header=BB4_816 Depth=2
	s_or_b64 exec, exec, s[90:91]
	v_and_b32_e32 v13, 0xffff0000, v13
	v_and_b32_e32 v20, 0xffff0000, v20
	v_max_f32_e32 v20, v20, v20
	v_max_f32_e32 v13, v13, v13
	v_min_f32_e32 v27, v13, v20
	v_max_f32_e32 v13, v13, v20
	v_cndmask_b32_e32 v20, v13, v27, vcc
	v_and_b32_e32 v13, 0x7f800000, v20
	v_cmp_ne_u32_e64 s[40:41], s57, v13
                                        ; implicit-def: $vgpr13
	s_and_saveexec_b64 s[90:91], s[40:41]
	s_xor_b64 s[40:41], exec, s[90:91]
; %bb.1317:                             ;   in Loop: Header=BB4_816 Depth=2
	v_bfe_u32 v13, v20, 16, 1
	v_add3_u32 v13, v20, v13, s46
                                        ; implicit-def: $vgpr20
; %bb.1318:                             ;   in Loop: Header=BB4_816 Depth=2
	s_andn2_saveexec_b64 s[90:91], s[40:41]
; %bb.1319:                             ;   in Loop: Header=BB4_816 Depth=2
	v_or_b32_e32 v13, 0x10000, v20
	v_cmp_eq_u32_sdwa s[40:41], v20, v2 src0_sel:WORD_0 src1_sel:DWORD
	v_cndmask_b32_e64 v13, v13, v20, s[40:41]
; %bb.1320:                             ;   in Loop: Header=BB4_816 Depth=2
	s_or_b64 exec, exec, s[90:91]
	s_waitcnt vmcnt(5)
	v_lshlrev_b32_e32 v20, 16, v25
	s_waitcnt vmcnt(3)
	v_lshlrev_b32_e32 v27, 16, v26
	v_max_f32_e32 v27, v27, v27
	v_max_f32_e32 v20, v20, v20
	v_min_f32_e32 v28, v20, v27
	v_max_f32_e32 v20, v20, v27
	v_cndmask_b32_e32 v27, v20, v28, vcc
	v_and_b32_e32 v20, 0x7f800000, v27
	v_cmp_ne_u32_e64 s[40:41], s57, v20
                                        ; implicit-def: $vgpr20
	s_and_saveexec_b64 s[90:91], s[40:41]
	s_xor_b64 s[40:41], exec, s[90:91]
; %bb.1321:                             ;   in Loop: Header=BB4_816 Depth=2
	v_bfe_u32 v20, v27, 16, 1
	v_add3_u32 v20, v27, v20, s46
                                        ; implicit-def: $vgpr27
; %bb.1322:                             ;   in Loop: Header=BB4_816 Depth=2
	s_andn2_saveexec_b64 s[90:91], s[40:41]
; %bb.1323:                             ;   in Loop: Header=BB4_816 Depth=2
	v_or_b32_e32 v20, 0x10000, v27
	v_cmp_eq_u32_sdwa s[40:41], v27, v2 src0_sel:WORD_0 src1_sel:DWORD
	v_cndmask_b32_e64 v20, v20, v27, s[40:41]
; %bb.1324:                             ;   in Loop: Header=BB4_816 Depth=2
	s_or_b64 exec, exec, s[90:91]
	v_and_b32_e32 v25, 0xffff0000, v25
	v_and_b32_e32 v26, 0xffff0000, v26
	v_max_f32_e32 v26, v26, v26
	v_max_f32_e32 v25, v25, v25
	v_min_f32_e32 v27, v25, v26
	v_max_f32_e32 v25, v25, v26
	v_cndmask_b32_e32 v26, v25, v27, vcc
	v_and_b32_e32 v25, 0x7f800000, v26
	v_cmp_ne_u32_e64 s[40:41], s57, v25
                                        ; implicit-def: $vgpr25
	s_and_saveexec_b64 s[90:91], s[40:41]
	s_xor_b64 s[40:41], exec, s[90:91]
; %bb.1325:                             ;   in Loop: Header=BB4_816 Depth=2
	v_bfe_u32 v25, v26, 16, 1
	v_add3_u32 v25, v26, v25, s46
                                        ; implicit-def: $vgpr26
; %bb.1326:                             ;   in Loop: Header=BB4_816 Depth=2
	s_andn2_saveexec_b64 s[90:91], s[40:41]
; %bb.1327:                             ;   in Loop: Header=BB4_816 Depth=2
	v_or_b32_e32 v25, 0x10000, v26
	v_cmp_eq_u32_sdwa s[40:41], v26, v2 src0_sel:WORD_0 src1_sel:DWORD
	v_cndmask_b32_e64 v25, v25, v26, s[40:41]
; %bb.1328:                             ;   in Loop: Header=BB4_816 Depth=2
	s_or_b64 exec, exec, s[90:91]
	v_lshlrev_b32_e32 v26, 16, v21
	s_waitcnt vmcnt(2)
	v_lshlrev_b32_e32 v27, 16, v24
	v_max_f32_e32 v27, v27, v27
	v_max_f32_e32 v26, v26, v26
	v_min_f32_e32 v28, v26, v27
	v_max_f32_e32 v26, v26, v27
	v_cndmask_b32_e32 v27, v26, v28, vcc
	v_and_b32_e32 v26, 0x7f800000, v27
	v_cmp_ne_u32_e64 s[40:41], s57, v26
                                        ; implicit-def: $vgpr26
	s_and_saveexec_b64 s[90:91], s[40:41]
	s_xor_b64 s[40:41], exec, s[90:91]
; %bb.1329:                             ;   in Loop: Header=BB4_816 Depth=2
	v_bfe_u32 v26, v27, 16, 1
	v_add3_u32 v26, v27, v26, s46
                                        ; implicit-def: $vgpr27
; %bb.1330:                             ;   in Loop: Header=BB4_816 Depth=2
	s_andn2_saveexec_b64 s[90:91], s[40:41]
; %bb.1331:                             ;   in Loop: Header=BB4_816 Depth=2
	v_or_b32_e32 v26, 0x10000, v27
	v_cmp_eq_u32_sdwa s[40:41], v27, v2 src0_sel:WORD_0 src1_sel:DWORD
	v_cndmask_b32_e64 v26, v26, v27, s[40:41]
; %bb.1332:                             ;   in Loop: Header=BB4_816 Depth=2
	s_or_b64 exec, exec, s[90:91]
	v_and_b32_e32 v21, 0xffff0000, v21
	v_and_b32_e32 v24, 0xffff0000, v24
	v_max_f32_e32 v24, v24, v24
	v_max_f32_e32 v21, v21, v21
	v_min_f32_e32 v27, v21, v24
	v_max_f32_e32 v21, v21, v24
	v_cndmask_b32_e32 v24, v21, v27, vcc
	v_and_b32_e32 v21, 0x7f800000, v24
	v_cmp_ne_u32_e64 s[40:41], s57, v21
                                        ; implicit-def: $vgpr21
	s_and_saveexec_b64 s[90:91], s[40:41]
	s_xor_b64 s[40:41], exec, s[90:91]
; %bb.1333:                             ;   in Loop: Header=BB4_816 Depth=2
	v_bfe_u32 v21, v24, 16, 1
	v_add3_u32 v21, v24, v21, s46
                                        ; implicit-def: $vgpr24
; %bb.1334:                             ;   in Loop: Header=BB4_816 Depth=2
	s_andn2_saveexec_b64 s[90:91], s[40:41]
; %bb.1335:                             ;   in Loop: Header=BB4_816 Depth=2
	v_or_b32_e32 v21, 0x10000, v24
	v_cmp_eq_u32_sdwa s[40:41], v24, v2 src0_sel:WORD_0 src1_sel:DWORD
	v_cndmask_b32_e64 v21, v21, v24, s[40:41]
; %bb.1336:                             ;   in Loop: Header=BB4_816 Depth=2
	s_or_b64 exec, exec, s[90:91]
	s_waitcnt vmcnt(0)
	v_lshlrev_b32_e32 v24, 16, v4
	v_lshlrev_b32_e32 v27, 16, v0
	v_max_f32_e32 v27, v27, v27
	v_max_f32_e32 v24, v24, v24
	v_min_f32_e32 v28, v24, v27
	v_max_f32_e32 v24, v24, v27
	v_cndmask_b32_e32 v27, v24, v28, vcc
	v_and_b32_e32 v24, 0x7f800000, v27
	v_cmp_ne_u32_e64 s[40:41], s57, v24
                                        ; implicit-def: $vgpr24
	s_and_saveexec_b64 s[90:91], s[40:41]
	s_xor_b64 s[40:41], exec, s[90:91]
; %bb.1337:                             ;   in Loop: Header=BB4_816 Depth=2
	v_bfe_u32 v24, v27, 16, 1
	v_add3_u32 v24, v27, v24, s46
                                        ; implicit-def: $vgpr27
; %bb.1338:                             ;   in Loop: Header=BB4_816 Depth=2
	s_andn2_saveexec_b64 s[90:91], s[40:41]
; %bb.1339:                             ;   in Loop: Header=BB4_816 Depth=2
	v_or_b32_e32 v24, 0x10000, v27
	v_cmp_eq_u32_sdwa s[40:41], v27, v2 src0_sel:WORD_0 src1_sel:DWORD
	v_cndmask_b32_e64 v24, v24, v27, s[40:41]
; %bb.1340:                             ;   in Loop: Header=BB4_816 Depth=2
	s_or_b64 exec, exec, s[90:91]
	v_and_b32_e32 v4, 0xffff0000, v4
	v_and_b32_e32 v0, 0xffff0000, v0
	v_max_f32_e32 v0, v0, v0
	v_max_f32_e32 v4, v4, v4
	v_min_f32_e32 v27, v4, v0
	v_max_f32_e32 v0, v4, v0
	v_cndmask_b32_e32 v4, v0, v27, vcc
	v_and_b32_e32 v0, 0x7f800000, v4
	v_cmp_ne_u32_e32 vcc, s57, v0
                                        ; implicit-def: $vgpr0
	s_and_saveexec_b64 s[40:41], vcc
	s_xor_b64 s[40:41], exec, s[40:41]
; %bb.1341:                             ;   in Loop: Header=BB4_816 Depth=2
	v_bfe_u32 v0, v4, 16, 1
	v_add3_u32 v0, v4, v0, s46
                                        ; implicit-def: $vgpr4
; %bb.1342:                             ;   in Loop: Header=BB4_816 Depth=2
	s_andn2_saveexec_b64 s[40:41], s[40:41]
; %bb.1343:                             ;   in Loop: Header=BB4_816 Depth=2
	v_or_b32_e32 v0, 0x10000, v4
	v_cmp_eq_u32_sdwa vcc, v4, v2 src0_sel:WORD_0 src1_sel:DWORD
	v_cndmask_b32_e32 v0, v0, v4, vcc
; %bb.1344:                             ;   in Loop: Header=BB4_816 Depth=2
	s_or_b64 exec, exec, s[40:41]
	v_lshrrev_b32_e32 v3, 16, v3
	v_and_or_b32 v27, v13, s47, v3
	v_lshrrev_b32_e32 v3, 16, v26
	v_lshrrev_b32_e32 v4, 16, v20
	v_and_or_b32 v29, v21, s47, v3
	v_lshrrev_b32_e32 v3, 16, v24
	v_and_or_b32 v28, v25, s47, v4
	v_and_or_b32 v30, v0, s47, v3
	global_store_dwordx4 v[10:11], v[27:30], off glc slc
.LBB4_1345:                             ;   in Loop: Header=BB4_816 Depth=2
	s_or_b64 exec, exec, s[42:43]
	v_and_b32_e32 v3, 14, v42
	v_cndmask_b32_e64 v13, v22, v3, s[28:29]
	v_cmp_ne_u32_e32 vcc, 0, v13
                                        ; implicit-def: $vgpr42
                                        ; implicit-def: $vgpr26
                                        ; implicit-def: $vgpr0
                                        ; implicit-def: $vgpr27
	s_and_saveexec_b64 s[90:91], vcc
	s_cbranch_execz .LBB4_1460
; %bb.1346:                             ;   in Loop: Header=BB4_816 Depth=2
	v_sub_u32_e32 v0, v22, v3
	buffer_load_dword v3, off, s[0:3], s33 offset:188 ; 4-byte Folded Reload
	v_cndmask_b32_e64 v0, 0, v0, s[28:29]
	v_cmp_lt_i32_e32 vcc, 0, v23
	v_add_u32_e32 v15, v0, v15
	v_cndmask_b32_e32 v0, 0, v57, vcc
	v_sub_u32_e32 v0, v0, v23
	s_mov_b64 s[40:41], 0
	s_waitcnt vmcnt(0)
	v_lshl_or_b32 v0, v0, 6, v3
	v_ashrrev_i32_e32 v3, 31, v0
	v_lshrrev_b32_e32 v3, 26, v3
	v_add_u32_e32 v3, v0, v3
	v_ashrrev_i32_e32 v10, 6, v3
	v_and_b32_e32 v3, 0xffffffc0, v3
	v_sub_u32_e32 v22, v0, v3
	v_lshlrev_b32_e32 v0, 4, v22
	v_lshl_add_u32 v3, v10, 10, v0
	v_add_u32_e32 v0, v3, v15
	v_sub_u32_e32 v4, v13, v3
	v_ashrrev_i32_e32 v3, 31, v13
	v_lshrrev_b32_e32 v3, 22, v3
	v_add_u32_e32 v3, v13, v3
	v_and_b32_e32 v23, 0xfffffc00, v3
	s_waitcnt lgkmcnt(0)
	v_sub_u32_e32 v24, v13, v23
	v_ashrrev_i32_e32 v11, 10, v3
	v_cmp_lt_i32_e64 s[28:29], 15, v24
	v_addc_co_u32_e64 v11, vcc, 0, v11, s[28:29]
	v_sub_u32_e32 v25, v11, v10
	buffer_load_dword v10, off, s[0:3], s33 offset:232 ; 4-byte Folded Reload
	buffer_load_dword v11, off, s[0:3], s33 offset:236 ; 4-byte Folded Reload
	v_ashrrev_i32_e32 v3, 31, v0
	s_waitcnt vmcnt(1)
	v_add_co_u32_e32 v10, vcc, v0, v10
	s_waitcnt vmcnt(0)
	v_addc_co_u32_e32 v11, vcc, v3, v11, vcc
	v_cmp_lt_i32_e32 vcc, 15, v4
	s_and_saveexec_b64 s[92:93], vcc
	s_cbranch_execz .LBB4_1423
; %bb.1347:                             ;   in Loop: Header=BB4_816 Depth=2
	v_add_co_u32_e32 v26, vcc, v0, v18
	v_addc_co_u32_e32 v27, vcc, v3, v19, vcc
	s_and_b32 s9, 0xffff, s8
	v_add_co_u32_e32 v8, vcc, v0, v8
	s_cmp_eq_u32 s9, 0
	v_addc_co_u32_e32 v9, vcc, v3, v9, vcc
	s_mov_b64 s[34:35], 0
	s_mov_b64 s[94:95], 0
	s_cselect_b64 s[40:41], -1, 0
                                        ; implicit-def: $sgpr30_sgpr31
	s_branch .LBB4_1349
.LBB4_1348:                             ;   in Loop: Header=BB4_1349 Depth=3
	s_or_b64 exec, exec, s[42:43]
	v_cmp_gt_i32_e32 vcc, 16, v4
	s_or_b64 s[94:95], vcc, s[94:95]
	s_andn2_b64 s[42:43], s[30:31], exec
	s_and_b64 vcc, s[34:35], exec
	s_or_b64 s[30:31], s[42:43], vcc
	s_andn2_b64 exec, exec, s[94:95]
	s_cbranch_execz .LBB4_1422
.LBB4_1349:                             ;   Parent Loop BB4_47 Depth=1
                                        ;     Parent Loop BB4_816 Depth=2
                                        ; =>    This Loop Header: Depth=3
                                        ;         Child Loop BB4_1350 Depth 4
                                        ;         Child Loop BB4_1387 Depth 4
	s_lshr_b32 s9, s33, 6
	s_add_i32 s9, s9, 64
	s_mov_b64 s[36:37], -1
	s_mov_b64 s[38:39], 0
.LBB4_1350:                             ;   Parent Loop BB4_47 Depth=1
                                        ;     Parent Loop BB4_816 Depth=2
                                        ;       Parent Loop BB4_1349 Depth=3
                                        ; =>      This Inner Loop Header: Depth=4
	s_cmp_eq_u32 s38, 1
	s_cselect_b64 s[42:43], -1, 0
	v_cndmask_b32_e64 v21, v27, v9, s[42:43]
	v_cndmask_b32_e64 v20, v26, v8, s[42:43]
	global_load_dwordx4 v[28:31], v[20:21], off glc slc
	v_mov_b32_e32 v0, s9
	s_cmp_eq_u32 s38, 0
	s_mov_b64 s[38:39], 1
	s_mov_b32 s9, s86
	s_waitcnt vmcnt(0)
	buffer_store_dword v29, v0, s[0:3], 0 offen offset:4
	buffer_store_dword v28, v0, s[0:3], 0 offen
	buffer_store_dword v31, v0, s[0:3], 0 offen offset:12
	buffer_store_dword v30, v0, s[0:3], 0 offen offset:8
	v_add_co_u32_e32 v0, vcc, s52, v20
	v_addc_co_u32_e32 v3, vcc, 0, v21, vcc
	s_cselect_b64 vcc, -1, 0
	v_cndmask_b32_e32 v27, v27, v3, vcc
	v_cndmask_b32_e32 v26, v26, v0, vcc
	v_cndmask_b32_e64 v9, v9, v3, s[42:43]
	v_cndmask_b32_e64 v8, v8, v0, s[42:43]
	s_and_b64 vcc, exec, s[36:37]
	s_mov_b64 s[36:37], 0
	s_cbranch_vccnz .LBB4_1350
; %bb.1351:                             ;   in Loop: Header=BB4_1349 Depth=3
	s_and_saveexec_b64 s[42:43], s[34:35]
	s_cbranch_execz .LBB4_1385
; %bb.1352:                             ;   in Loop: Header=BB4_1349 Depth=3
	buffer_load_dword v21, off, s[0:3], s33 offset:96
	buffer_load_dword v28, off, s[0:3], s33 offset:112
	;; [unrolled: 1-line block ×8, first 2 shown]
	s_waitcnt vmcnt(7)
	v_lshlrev_b32_e32 v3, 16, v21
	s_waitcnt vmcnt(6)
	v_lshlrev_b32_e32 v35, 16, v28
	v_max_f32_e32 v35, v35, v35
	v_max_f32_e32 v3, v3, v3
	v_min_f32_e32 v50, v3, v35
	v_max_f32_e32 v3, v3, v35
	v_cndmask_b32_e64 v35, v3, v50, s[40:41]
	v_and_b32_e32 v3, 0x7f800000, v35
	v_cmp_ne_u32_e32 vcc, s57, v3
                                        ; implicit-def: $vgpr3
	s_and_saveexec_b64 s[34:35], vcc
	s_xor_b64 vcc, exec, s[34:35]
; %bb.1353:                             ;   in Loop: Header=BB4_1349 Depth=3
	v_bfe_u32 v3, v35, 16, 1
	v_add3_u32 v3, v35, v3, s46
                                        ; implicit-def: $vgpr35
; %bb.1354:                             ;   in Loop: Header=BB4_1349 Depth=3
	s_andn2_saveexec_b64 s[34:35], vcc
; %bb.1355:                             ;   in Loop: Header=BB4_1349 Depth=3
	v_or_b32_e32 v3, 0x10000, v35
	v_cmp_eq_u32_sdwa vcc, v35, v2 src0_sel:WORD_0 src1_sel:DWORD
	v_cndmask_b32_e32 v3, v3, v35, vcc
; %bb.1356:                             ;   in Loop: Header=BB4_1349 Depth=3
	s_or_b64 exec, exec, s[34:35]
	v_and_b32_e32 v21, 0xffff0000, v21
	v_and_b32_e32 v28, 0xffff0000, v28
	v_max_f32_e32 v28, v28, v28
	v_max_f32_e32 v21, v21, v21
	v_min_f32_e32 v35, v21, v28
	v_max_f32_e32 v21, v21, v28
	v_cndmask_b32_e64 v28, v21, v35, s[40:41]
	v_and_b32_e32 v21, 0x7f800000, v28
	v_cmp_ne_u32_e32 vcc, s57, v21
                                        ; implicit-def: $vgpr21
	s_and_saveexec_b64 s[34:35], vcc
	s_xor_b64 vcc, exec, s[34:35]
; %bb.1357:                             ;   in Loop: Header=BB4_1349 Depth=3
	v_bfe_u32 v21, v28, 16, 1
	v_add3_u32 v21, v28, v21, s46
                                        ; implicit-def: $vgpr28
; %bb.1358:                             ;   in Loop: Header=BB4_1349 Depth=3
	s_andn2_saveexec_b64 s[34:35], vcc
; %bb.1359:                             ;   in Loop: Header=BB4_1349 Depth=3
	v_or_b32_e32 v21, 0x10000, v28
	v_cmp_eq_u32_sdwa vcc, v28, v2 src0_sel:WORD_0 src1_sel:DWORD
	v_cndmask_b32_e32 v21, v21, v28, vcc
; %bb.1360:                             ;   in Loop: Header=BB4_1349 Depth=3
	s_or_b64 exec, exec, s[34:35]
	s_waitcnt vmcnt(5)
	v_lshlrev_b32_e32 v28, 16, v31
	s_waitcnt vmcnt(3)
	v_lshlrev_b32_e32 v35, 16, v34
	v_max_f32_e32 v35, v35, v35
	v_max_f32_e32 v28, v28, v28
	v_min_f32_e32 v50, v28, v35
	v_max_f32_e32 v28, v28, v35
	v_cndmask_b32_e64 v35, v28, v50, s[40:41]
	v_and_b32_e32 v28, 0x7f800000, v35
	v_cmp_ne_u32_e32 vcc, s57, v28
                                        ; implicit-def: $vgpr28
	s_and_saveexec_b64 s[34:35], vcc
	s_xor_b64 vcc, exec, s[34:35]
; %bb.1361:                             ;   in Loop: Header=BB4_1349 Depth=3
	v_bfe_u32 v28, v35, 16, 1
	v_add3_u32 v28, v35, v28, s46
                                        ; implicit-def: $vgpr35
; %bb.1362:                             ;   in Loop: Header=BB4_1349 Depth=3
	s_andn2_saveexec_b64 s[34:35], vcc
; %bb.1363:                             ;   in Loop: Header=BB4_1349 Depth=3
	v_or_b32_e32 v28, 0x10000, v35
	v_cmp_eq_u32_sdwa vcc, v35, v2 src0_sel:WORD_0 src1_sel:DWORD
	v_cndmask_b32_e32 v28, v28, v35, vcc
; %bb.1364:                             ;   in Loop: Header=BB4_1349 Depth=3
	s_or_b64 exec, exec, s[34:35]
	v_and_b32_e32 v31, 0xffff0000, v31
	v_and_b32_e32 v34, 0xffff0000, v34
	v_max_f32_e32 v34, v34, v34
	v_max_f32_e32 v31, v31, v31
	v_min_f32_e32 v35, v31, v34
	v_max_f32_e32 v31, v31, v34
	v_cndmask_b32_e64 v34, v31, v35, s[40:41]
	v_and_b32_e32 v31, 0x7f800000, v34
	v_cmp_ne_u32_e32 vcc, s57, v31
                                        ; implicit-def: $vgpr31
	s_and_saveexec_b64 s[34:35], vcc
	s_xor_b64 vcc, exec, s[34:35]
; %bb.1365:                             ;   in Loop: Header=BB4_1349 Depth=3
	v_bfe_u32 v31, v34, 16, 1
	v_add3_u32 v31, v34, v31, s46
                                        ; implicit-def: $vgpr34
; %bb.1366:                             ;   in Loop: Header=BB4_1349 Depth=3
	s_andn2_saveexec_b64 s[34:35], vcc
; %bb.1367:                             ;   in Loop: Header=BB4_1349 Depth=3
	v_or_b32_e32 v31, 0x10000, v34
	v_cmp_eq_u32_sdwa vcc, v34, v2 src0_sel:WORD_0 src1_sel:DWORD
	v_cndmask_b32_e32 v31, v31, v34, vcc
; %bb.1368:                             ;   in Loop: Header=BB4_1349 Depth=3
	s_or_b64 exec, exec, s[34:35]
	v_lshlrev_b32_e32 v34, 16, v29
	s_waitcnt vmcnt(2)
	v_lshlrev_b32_e32 v35, 16, v30
	v_max_f32_e32 v35, v35, v35
	v_max_f32_e32 v34, v34, v34
	v_min_f32_e32 v50, v34, v35
	v_max_f32_e32 v34, v34, v35
	v_cndmask_b32_e64 v35, v34, v50, s[40:41]
	v_and_b32_e32 v34, 0x7f800000, v35
	v_cmp_ne_u32_e32 vcc, s57, v34
                                        ; implicit-def: $vgpr34
	s_and_saveexec_b64 s[34:35], vcc
	s_xor_b64 vcc, exec, s[34:35]
; %bb.1369:                             ;   in Loop: Header=BB4_1349 Depth=3
	v_bfe_u32 v34, v35, 16, 1
	v_add3_u32 v34, v35, v34, s46
                                        ; implicit-def: $vgpr35
; %bb.1370:                             ;   in Loop: Header=BB4_1349 Depth=3
	s_andn2_saveexec_b64 s[34:35], vcc
; %bb.1371:                             ;   in Loop: Header=BB4_1349 Depth=3
	v_or_b32_e32 v34, 0x10000, v35
	v_cmp_eq_u32_sdwa vcc, v35, v2 src0_sel:WORD_0 src1_sel:DWORD
	v_cndmask_b32_e32 v34, v34, v35, vcc
; %bb.1372:                             ;   in Loop: Header=BB4_1349 Depth=3
	s_or_b64 exec, exec, s[34:35]
	v_and_b32_e32 v29, 0xffff0000, v29
	v_and_b32_e32 v30, 0xffff0000, v30
	v_max_f32_e32 v30, v30, v30
	v_max_f32_e32 v29, v29, v29
	v_min_f32_e32 v35, v29, v30
	v_max_f32_e32 v29, v29, v30
	v_cndmask_b32_e64 v30, v29, v35, s[40:41]
	v_and_b32_e32 v29, 0x7f800000, v30
	v_cmp_ne_u32_e32 vcc, s57, v29
                                        ; implicit-def: $vgpr29
	s_and_saveexec_b64 s[34:35], vcc
	s_xor_b64 vcc, exec, s[34:35]
; %bb.1373:                             ;   in Loop: Header=BB4_1349 Depth=3
	v_bfe_u32 v29, v30, 16, 1
	v_add3_u32 v29, v30, v29, s46
                                        ; implicit-def: $vgpr30
; %bb.1374:                             ;   in Loop: Header=BB4_1349 Depth=3
	s_andn2_saveexec_b64 s[34:35], vcc
; %bb.1375:                             ;   in Loop: Header=BB4_1349 Depth=3
	v_or_b32_e32 v29, 0x10000, v30
	v_cmp_eq_u32_sdwa vcc, v30, v2 src0_sel:WORD_0 src1_sel:DWORD
	v_cndmask_b32_e32 v29, v29, v30, vcc
; %bb.1376:                             ;   in Loop: Header=BB4_1349 Depth=3
	s_or_b64 exec, exec, s[34:35]
	s_waitcnt vmcnt(0)
	v_lshlrev_b32_e32 v30, 16, v20
	v_lshlrev_b32_e32 v35, 16, v0
	v_max_f32_e32 v35, v35, v35
	v_max_f32_e32 v30, v30, v30
	v_min_f32_e32 v50, v30, v35
	v_max_f32_e32 v30, v30, v35
	v_cndmask_b32_e64 v35, v30, v50, s[40:41]
	v_and_b32_e32 v30, 0x7f800000, v35
	v_cmp_ne_u32_e32 vcc, s57, v30
                                        ; implicit-def: $vgpr30
	s_and_saveexec_b64 s[34:35], vcc
	s_xor_b64 vcc, exec, s[34:35]
; %bb.1377:                             ;   in Loop: Header=BB4_1349 Depth=3
	v_bfe_u32 v30, v35, 16, 1
	v_add3_u32 v30, v35, v30, s46
                                        ; implicit-def: $vgpr35
; %bb.1378:                             ;   in Loop: Header=BB4_1349 Depth=3
	s_andn2_saveexec_b64 s[34:35], vcc
; %bb.1379:                             ;   in Loop: Header=BB4_1349 Depth=3
	v_or_b32_e32 v30, 0x10000, v35
	v_cmp_eq_u32_sdwa vcc, v35, v2 src0_sel:WORD_0 src1_sel:DWORD
	v_cndmask_b32_e32 v30, v30, v35, vcc
; %bb.1380:                             ;   in Loop: Header=BB4_1349 Depth=3
	s_or_b64 exec, exec, s[34:35]
	v_and_b32_e32 v20, 0xffff0000, v20
	v_and_b32_e32 v0, 0xffff0000, v0
	v_max_f32_e32 v0, v0, v0
	v_max_f32_e32 v20, v20, v20
	v_min_f32_e32 v35, v20, v0
	v_max_f32_e32 v0, v20, v0
	v_cndmask_b32_e64 v20, v0, v35, s[40:41]
	v_and_b32_e32 v0, 0x7f800000, v20
	v_cmp_ne_u32_e32 vcc, s57, v0
                                        ; implicit-def: $vgpr0
	s_and_saveexec_b64 s[34:35], vcc
	s_xor_b64 vcc, exec, s[34:35]
; %bb.1381:                             ;   in Loop: Header=BB4_1349 Depth=3
	v_bfe_u32 v0, v20, 16, 1
	v_add3_u32 v0, v20, v0, s46
                                        ; implicit-def: $vgpr20
; %bb.1382:                             ;   in Loop: Header=BB4_1349 Depth=3
	s_andn2_saveexec_b64 s[34:35], vcc
; %bb.1383:                             ;   in Loop: Header=BB4_1349 Depth=3
	v_or_b32_e32 v0, 0x10000, v20
	v_cmp_eq_u32_sdwa vcc, v20, v2 src0_sel:WORD_0 src1_sel:DWORD
	v_cndmask_b32_e32 v0, v0, v20, vcc
; %bb.1384:                             ;   in Loop: Header=BB4_1349 Depth=3
	s_or_b64 exec, exec, s[34:35]
	v_lshrrev_b32_e32 v3, 16, v3
	v_and_or_b32 v50, v21, s47, v3
	v_lshrrev_b32_e32 v3, 16, v34
	v_lshrrev_b32_e32 v20, 16, v28
	v_and_or_b32 v52, v29, s47, v3
	v_lshrrev_b32_e32 v3, 16, v30
	v_and_or_b32 v51, v31, s47, v20
	v_and_or_b32 v53, v0, s47, v3
	buffer_store_dword v51, off, s[0:3], s33 offset:100
	buffer_store_dword v50, off, s[0:3], s33 offset:96
	;; [unrolled: 1-line block ×4, first 2 shown]
	global_store_dwordx4 v[10:11], v[50:53], off glc slc
	v_add_co_u32_e32 v10, vcc, v36, v10
	v_addc_co_u32_e32 v11, vcc, v37, v11, vcc
.LBB4_1385:                             ;   in Loop: Header=BB4_1349 Depth=3
	s_or_b64 exec, exec, s[42:43]
	v_add_co_u32_e32 v26, vcc, v26, v6
	v_addc_co_u32_e32 v27, vcc, v27, v43, vcc
	v_add_co_u32_e32 v8, vcc, v8, v6
	v_sub_u32_e32 v4, v4, v1
	v_addc_co_u32_e32 v9, vcc, v9, v43, vcc
	v_cmp_lt_i32_e64 s[34:35], 15, v4
	s_and_saveexec_b64 s[36:37], s[34:35]
	s_cbranch_execz .LBB4_1388
; %bb.1386:                             ;   in Loop: Header=BB4_1349 Depth=3
	s_lshr_b32 s9, s33, 6
	s_addk_i32 s9, 0x60
	s_mov_b64 s[48:49], 0
	s_mov_b64 s[38:39], -1
.LBB4_1387:                             ;   Parent Loop BB4_47 Depth=1
                                        ;     Parent Loop BB4_816 Depth=2
                                        ;       Parent Loop BB4_1349 Depth=3
                                        ; =>      This Inner Loop Header: Depth=4
	s_cmp_eq_u32 s48, 1
	s_cselect_b64 s[42:43], -1, 0
	v_cndmask_b32_e64 v21, v27, v9, s[42:43]
	v_cndmask_b32_e64 v20, v26, v8, s[42:43]
	global_load_dwordx4 v[28:31], v[20:21], off glc slc
	v_mov_b32_e32 v0, s9
	s_cmp_eq_u32 s48, 0
	s_mov_b64 s[48:49], 1
	s_mov_b32 s9, s85
	s_waitcnt vmcnt(0)
	buffer_store_dword v29, v0, s[0:3], 0 offen offset:4
	buffer_store_dword v28, v0, s[0:3], 0 offen
	buffer_store_dword v31, v0, s[0:3], 0 offen offset:12
	buffer_store_dword v30, v0, s[0:3], 0 offen offset:8
	v_add_co_u32_e32 v0, vcc, s52, v20
	v_addc_co_u32_e32 v3, vcc, 0, v21, vcc
	s_cselect_b64 vcc, -1, 0
	v_cndmask_b32_e32 v27, v27, v3, vcc
	v_cndmask_b32_e32 v26, v26, v0, vcc
	v_cndmask_b32_e64 v9, v9, v3, s[42:43]
	v_cndmask_b32_e64 v8, v8, v0, s[42:43]
	s_and_b64 vcc, exec, s[38:39]
	s_mov_b64 s[38:39], 0
	s_cbranch_vccnz .LBB4_1387
.LBB4_1388:                             ;   in Loop: Header=BB4_1349 Depth=3
	s_or_b64 exec, exec, s[36:37]
	buffer_load_dword v21, off, s[0:3], s33 offset:64
	buffer_load_dword v28, off, s[0:3], s33 offset:80
	;; [unrolled: 1-line block ×8, first 2 shown]
	s_waitcnt vmcnt(7)
	v_lshlrev_b32_e32 v3, 16, v21
	s_waitcnt vmcnt(6)
	v_lshlrev_b32_e32 v35, 16, v28
	v_max_f32_e32 v35, v35, v35
	v_max_f32_e32 v3, v3, v3
	v_min_f32_e32 v50, v3, v35
	v_max_f32_e32 v3, v3, v35
	v_cndmask_b32_e64 v35, v3, v50, s[40:41]
	v_and_b32_e32 v3, 0x7f800000, v35
	v_cmp_ne_u32_e32 vcc, s57, v3
                                        ; implicit-def: $vgpr3
	s_and_saveexec_b64 s[42:43], vcc
	s_xor_b64 s[42:43], exec, s[42:43]
; %bb.1389:                             ;   in Loop: Header=BB4_1349 Depth=3
	v_bfe_u32 v3, v35, 16, 1
	v_add3_u32 v3, v35, v3, s46
                                        ; implicit-def: $vgpr35
; %bb.1390:                             ;   in Loop: Header=BB4_1349 Depth=3
	s_andn2_saveexec_b64 s[42:43], s[42:43]
; %bb.1391:                             ;   in Loop: Header=BB4_1349 Depth=3
	v_or_b32_e32 v3, 0x10000, v35
	v_cmp_eq_u32_sdwa vcc, v35, v2 src0_sel:WORD_0 src1_sel:DWORD
	v_cndmask_b32_e32 v3, v3, v35, vcc
; %bb.1392:                             ;   in Loop: Header=BB4_1349 Depth=3
	s_or_b64 exec, exec, s[42:43]
	v_and_b32_e32 v21, 0xffff0000, v21
	v_and_b32_e32 v28, 0xffff0000, v28
	v_max_f32_e32 v28, v28, v28
	v_max_f32_e32 v21, v21, v21
	v_min_f32_e32 v35, v21, v28
	v_max_f32_e32 v21, v21, v28
	v_cndmask_b32_e64 v28, v21, v35, s[40:41]
	v_and_b32_e32 v21, 0x7f800000, v28
	v_cmp_ne_u32_e32 vcc, s57, v21
                                        ; implicit-def: $vgpr21
	s_and_saveexec_b64 s[42:43], vcc
	s_xor_b64 s[42:43], exec, s[42:43]
; %bb.1393:                             ;   in Loop: Header=BB4_1349 Depth=3
	v_bfe_u32 v21, v28, 16, 1
	v_add3_u32 v21, v28, v21, s46
                                        ; implicit-def: $vgpr28
; %bb.1394:                             ;   in Loop: Header=BB4_1349 Depth=3
	s_andn2_saveexec_b64 s[42:43], s[42:43]
; %bb.1395:                             ;   in Loop: Header=BB4_1349 Depth=3
	v_or_b32_e32 v21, 0x10000, v28
	v_cmp_eq_u32_sdwa vcc, v28, v2 src0_sel:WORD_0 src1_sel:DWORD
	v_cndmask_b32_e32 v21, v21, v28, vcc
; %bb.1396:                             ;   in Loop: Header=BB4_1349 Depth=3
	s_or_b64 exec, exec, s[42:43]
	s_waitcnt vmcnt(5)
	v_lshlrev_b32_e32 v28, 16, v31
	s_waitcnt vmcnt(3)
	v_lshlrev_b32_e32 v35, 16, v34
	v_max_f32_e32 v35, v35, v35
	v_max_f32_e32 v28, v28, v28
	v_min_f32_e32 v50, v28, v35
	v_max_f32_e32 v28, v28, v35
	v_cndmask_b32_e64 v35, v28, v50, s[40:41]
	v_and_b32_e32 v28, 0x7f800000, v35
	v_cmp_ne_u32_e32 vcc, s57, v28
                                        ; implicit-def: $vgpr28
	s_and_saveexec_b64 s[42:43], vcc
	s_xor_b64 s[42:43], exec, s[42:43]
; %bb.1397:                             ;   in Loop: Header=BB4_1349 Depth=3
	v_bfe_u32 v28, v35, 16, 1
	v_add3_u32 v28, v35, v28, s46
                                        ; implicit-def: $vgpr35
; %bb.1398:                             ;   in Loop: Header=BB4_1349 Depth=3
	s_andn2_saveexec_b64 s[42:43], s[42:43]
; %bb.1399:                             ;   in Loop: Header=BB4_1349 Depth=3
	v_or_b32_e32 v28, 0x10000, v35
	v_cmp_eq_u32_sdwa vcc, v35, v2 src0_sel:WORD_0 src1_sel:DWORD
	v_cndmask_b32_e32 v28, v28, v35, vcc
; %bb.1400:                             ;   in Loop: Header=BB4_1349 Depth=3
	s_or_b64 exec, exec, s[42:43]
	v_and_b32_e32 v31, 0xffff0000, v31
	v_and_b32_e32 v34, 0xffff0000, v34
	v_max_f32_e32 v34, v34, v34
	v_max_f32_e32 v31, v31, v31
	v_min_f32_e32 v35, v31, v34
	v_max_f32_e32 v31, v31, v34
	v_cndmask_b32_e64 v34, v31, v35, s[40:41]
	v_and_b32_e32 v31, 0x7f800000, v34
	v_cmp_ne_u32_e32 vcc, s57, v31
                                        ; implicit-def: $vgpr31
	s_and_saveexec_b64 s[42:43], vcc
	s_xor_b64 s[42:43], exec, s[42:43]
; %bb.1401:                             ;   in Loop: Header=BB4_1349 Depth=3
	v_bfe_u32 v31, v34, 16, 1
	v_add3_u32 v31, v34, v31, s46
                                        ; implicit-def: $vgpr34
; %bb.1402:                             ;   in Loop: Header=BB4_1349 Depth=3
	s_andn2_saveexec_b64 s[42:43], s[42:43]
; %bb.1403:                             ;   in Loop: Header=BB4_1349 Depth=3
	v_or_b32_e32 v31, 0x10000, v34
	v_cmp_eq_u32_sdwa vcc, v34, v2 src0_sel:WORD_0 src1_sel:DWORD
	v_cndmask_b32_e32 v31, v31, v34, vcc
; %bb.1404:                             ;   in Loop: Header=BB4_1349 Depth=3
	s_or_b64 exec, exec, s[42:43]
	v_lshlrev_b32_e32 v34, 16, v29
	s_waitcnt vmcnt(2)
	v_lshlrev_b32_e32 v35, 16, v30
	v_max_f32_e32 v35, v35, v35
	v_max_f32_e32 v34, v34, v34
	v_min_f32_e32 v50, v34, v35
	v_max_f32_e32 v34, v34, v35
	v_cndmask_b32_e64 v35, v34, v50, s[40:41]
	v_and_b32_e32 v34, 0x7f800000, v35
	v_cmp_ne_u32_e32 vcc, s57, v34
                                        ; implicit-def: $vgpr34
	s_and_saveexec_b64 s[42:43], vcc
	s_xor_b64 s[42:43], exec, s[42:43]
; %bb.1405:                             ;   in Loop: Header=BB4_1349 Depth=3
	v_bfe_u32 v34, v35, 16, 1
	v_add3_u32 v34, v35, v34, s46
                                        ; implicit-def: $vgpr35
; %bb.1406:                             ;   in Loop: Header=BB4_1349 Depth=3
	s_andn2_saveexec_b64 s[42:43], s[42:43]
; %bb.1407:                             ;   in Loop: Header=BB4_1349 Depth=3
	v_or_b32_e32 v34, 0x10000, v35
	v_cmp_eq_u32_sdwa vcc, v35, v2 src0_sel:WORD_0 src1_sel:DWORD
	v_cndmask_b32_e32 v34, v34, v35, vcc
; %bb.1408:                             ;   in Loop: Header=BB4_1349 Depth=3
	s_or_b64 exec, exec, s[42:43]
	v_and_b32_e32 v29, 0xffff0000, v29
	v_and_b32_e32 v30, 0xffff0000, v30
	v_max_f32_e32 v30, v30, v30
	v_max_f32_e32 v29, v29, v29
	v_min_f32_e32 v35, v29, v30
	v_max_f32_e32 v29, v29, v30
	v_cndmask_b32_e64 v30, v29, v35, s[40:41]
	v_and_b32_e32 v29, 0x7f800000, v30
	v_cmp_ne_u32_e32 vcc, s57, v29
                                        ; implicit-def: $vgpr29
	s_and_saveexec_b64 s[42:43], vcc
	s_xor_b64 s[42:43], exec, s[42:43]
; %bb.1409:                             ;   in Loop: Header=BB4_1349 Depth=3
	v_bfe_u32 v29, v30, 16, 1
	v_add3_u32 v29, v30, v29, s46
                                        ; implicit-def: $vgpr30
; %bb.1410:                             ;   in Loop: Header=BB4_1349 Depth=3
	s_andn2_saveexec_b64 s[42:43], s[42:43]
; %bb.1411:                             ;   in Loop: Header=BB4_1349 Depth=3
	v_or_b32_e32 v29, 0x10000, v30
	v_cmp_eq_u32_sdwa vcc, v30, v2 src0_sel:WORD_0 src1_sel:DWORD
	v_cndmask_b32_e32 v29, v29, v30, vcc
; %bb.1412:                             ;   in Loop: Header=BB4_1349 Depth=3
	s_or_b64 exec, exec, s[42:43]
	s_waitcnt vmcnt(0)
	v_lshlrev_b32_e32 v30, 16, v20
	v_lshlrev_b32_e32 v35, 16, v0
	v_max_f32_e32 v35, v35, v35
	v_max_f32_e32 v30, v30, v30
	v_min_f32_e32 v50, v30, v35
	v_max_f32_e32 v30, v30, v35
	v_cndmask_b32_e64 v35, v30, v50, s[40:41]
	v_and_b32_e32 v30, 0x7f800000, v35
	v_cmp_ne_u32_e32 vcc, s57, v30
                                        ; implicit-def: $vgpr30
	s_and_saveexec_b64 s[42:43], vcc
	s_xor_b64 s[42:43], exec, s[42:43]
; %bb.1413:                             ;   in Loop: Header=BB4_1349 Depth=3
	v_bfe_u32 v30, v35, 16, 1
	v_add3_u32 v30, v35, v30, s46
                                        ; implicit-def: $vgpr35
; %bb.1414:                             ;   in Loop: Header=BB4_1349 Depth=3
	s_andn2_saveexec_b64 s[42:43], s[42:43]
; %bb.1415:                             ;   in Loop: Header=BB4_1349 Depth=3
	v_or_b32_e32 v30, 0x10000, v35
	v_cmp_eq_u32_sdwa vcc, v35, v2 src0_sel:WORD_0 src1_sel:DWORD
	v_cndmask_b32_e32 v30, v30, v35, vcc
; %bb.1416:                             ;   in Loop: Header=BB4_1349 Depth=3
	s_or_b64 exec, exec, s[42:43]
	v_and_b32_e32 v20, 0xffff0000, v20
	v_and_b32_e32 v0, 0xffff0000, v0
	v_max_f32_e32 v0, v0, v0
	v_max_f32_e32 v20, v20, v20
	v_min_f32_e32 v35, v20, v0
	v_max_f32_e32 v0, v20, v0
	v_cndmask_b32_e64 v20, v0, v35, s[40:41]
	v_and_b32_e32 v0, 0x7f800000, v20
	v_cmp_ne_u32_e32 vcc, s57, v0
                                        ; implicit-def: $vgpr0
	s_and_saveexec_b64 s[42:43], vcc
	s_xor_b64 s[42:43], exec, s[42:43]
; %bb.1417:                             ;   in Loop: Header=BB4_1349 Depth=3
	v_bfe_u32 v0, v20, 16, 1
	v_add3_u32 v0, v20, v0, s46
                                        ; implicit-def: $vgpr20
; %bb.1418:                             ;   in Loop: Header=BB4_1349 Depth=3
	s_andn2_saveexec_b64 s[42:43], s[42:43]
; %bb.1419:                             ;   in Loop: Header=BB4_1349 Depth=3
	v_or_b32_e32 v0, 0x10000, v20
	v_cmp_eq_u32_sdwa vcc, v20, v2 src0_sel:WORD_0 src1_sel:DWORD
	v_cndmask_b32_e32 v0, v0, v20, vcc
; %bb.1420:                             ;   in Loop: Header=BB4_1349 Depth=3
	s_or_b64 exec, exec, s[42:43]
	v_lshrrev_b32_e32 v3, 16, v3
	v_and_or_b32 v50, v21, s47, v3
	v_lshrrev_b32_e32 v3, 16, v34
	v_lshrrev_b32_e32 v20, 16, v28
	v_and_or_b32 v52, v29, s47, v3
	v_lshrrev_b32_e32 v3, 16, v30
	v_and_or_b32 v51, v31, s47, v20
	v_and_or_b32 v53, v0, s47, v3
	buffer_store_dword v51, off, s[0:3], s33 offset:68
	buffer_store_dword v50, off, s[0:3], s33 offset:64
	;; [unrolled: 1-line block ×4, first 2 shown]
	global_store_dwordx4 v[10:11], v[50:53], off glc slc
	v_add_co_u32_e32 v10, vcc, 0x400, v10
	v_sub_u32_e32 v25, v25, v57
	v_addc_co_u32_e32 v11, vcc, 0, v11, vcc
	s_and_saveexec_b64 s[42:43], s[34:35]
	s_cbranch_execz .LBB4_1348
; %bb.1421:                             ;   in Loop: Header=BB4_1349 Depth=3
	v_add_co_u32_e32 v26, vcc, v26, v6
	v_addc_co_u32_e32 v27, vcc, v27, v43, vcc
	v_add_co_u32_e32 v8, vcc, v8, v6
	v_addc_co_u32_e32 v9, vcc, v9, v43, vcc
	;; [unrolled: 2-line block ×3, first 2 shown]
	v_sub_u32_e32 v4, v4, v1
	v_sub_u32_e32 v25, v25, v57
	s_branch .LBB4_1348
.LBB4_1422:                             ;   in Loop: Header=BB4_816 Depth=2
	s_or_b64 exec, exec, s[94:95]
	s_and_b64 s[40:41], s[30:31], exec
.LBB4_1423:                             ;   in Loop: Header=BB4_816 Depth=2
	s_or_b64 exec, exec, s[92:93]
	s_and_saveexec_b64 s[42:43], s[40:41]
	s_cbranch_execz .LBB4_1457
; %bb.1424:                             ;   in Loop: Header=BB4_816 Depth=2
	buffer_load_dword v8, off, s[0:3], s33 offset:96
	buffer_load_dword v9, off, s[0:3], s33 offset:112
	buffer_load_dword v26, off, s[0:3], s33 offset:100
	buffer_load_dword v20, off, s[0:3], s33 offset:104
	buffer_load_dword v27, off, s[0:3], s33 offset:116
	buffer_load_dword v21, off, s[0:3], s33 offset:120
	buffer_load_dword v0, off, s[0:3], s33 offset:124
	buffer_load_dword v4, off, s[0:3], s33 offset:108
	s_and_b32 s9, 0xffff, s8
	s_cmp_eq_u32 s9, 0
	s_cselect_b64 vcc, -1, 0
	s_waitcnt vmcnt(7)
	v_lshlrev_b32_e32 v3, 16, v8
	s_waitcnt vmcnt(6)
	v_lshlrev_b32_e32 v28, 16, v9
	v_max_f32_e32 v28, v28, v28
	v_max_f32_e32 v3, v3, v3
	v_min_f32_e32 v29, v3, v28
	v_max_f32_e32 v3, v3, v28
	v_cndmask_b32_e32 v28, v3, v29, vcc
	v_and_b32_e32 v3, 0x7f800000, v28
	v_cmp_ne_u32_e64 s[40:41], s57, v3
                                        ; implicit-def: $vgpr3
	s_and_saveexec_b64 s[92:93], s[40:41]
	s_xor_b64 s[40:41], exec, s[92:93]
; %bb.1425:                             ;   in Loop: Header=BB4_816 Depth=2
	v_bfe_u32 v3, v28, 16, 1
	v_add3_u32 v3, v28, v3, s46
                                        ; implicit-def: $vgpr28
; %bb.1426:                             ;   in Loop: Header=BB4_816 Depth=2
	s_andn2_saveexec_b64 s[92:93], s[40:41]
; %bb.1427:                             ;   in Loop: Header=BB4_816 Depth=2
	v_or_b32_e32 v3, 0x10000, v28
	v_cmp_eq_u32_sdwa s[40:41], v28, v2 src0_sel:WORD_0 src1_sel:DWORD
	v_cndmask_b32_e64 v3, v3, v28, s[40:41]
; %bb.1428:                             ;   in Loop: Header=BB4_816 Depth=2
	s_or_b64 exec, exec, s[92:93]
	v_and_b32_e32 v8, 0xffff0000, v8
	v_and_b32_e32 v9, 0xffff0000, v9
	v_max_f32_e32 v9, v9, v9
	v_max_f32_e32 v8, v8, v8
	v_min_f32_e32 v28, v8, v9
	v_max_f32_e32 v8, v8, v9
	v_cndmask_b32_e32 v9, v8, v28, vcc
	v_and_b32_e32 v8, 0x7f800000, v9
	v_cmp_ne_u32_e64 s[40:41], s57, v8
                                        ; implicit-def: $vgpr8
	s_and_saveexec_b64 s[92:93], s[40:41]
	s_xor_b64 s[40:41], exec, s[92:93]
; %bb.1429:                             ;   in Loop: Header=BB4_816 Depth=2
	v_bfe_u32 v8, v9, 16, 1
	v_add3_u32 v8, v9, v8, s46
                                        ; implicit-def: $vgpr9
; %bb.1430:                             ;   in Loop: Header=BB4_816 Depth=2
	s_andn2_saveexec_b64 s[92:93], s[40:41]
; %bb.1431:                             ;   in Loop: Header=BB4_816 Depth=2
	v_or_b32_e32 v8, 0x10000, v9
	v_cmp_eq_u32_sdwa s[40:41], v9, v2 src0_sel:WORD_0 src1_sel:DWORD
	v_cndmask_b32_e64 v8, v8, v9, s[40:41]
; %bb.1432:                             ;   in Loop: Header=BB4_816 Depth=2
	s_or_b64 exec, exec, s[92:93]
	s_waitcnt vmcnt(5)
	v_lshlrev_b32_e32 v9, 16, v26
	s_waitcnt vmcnt(3)
	v_lshlrev_b32_e32 v28, 16, v27
	v_max_f32_e32 v28, v28, v28
	v_max_f32_e32 v9, v9, v9
	v_min_f32_e32 v29, v9, v28
	v_max_f32_e32 v9, v9, v28
	v_cndmask_b32_e32 v28, v9, v29, vcc
	v_and_b32_e32 v9, 0x7f800000, v28
	v_cmp_ne_u32_e64 s[40:41], s57, v9
                                        ; implicit-def: $vgpr9
	s_and_saveexec_b64 s[92:93], s[40:41]
	s_xor_b64 s[40:41], exec, s[92:93]
; %bb.1433:                             ;   in Loop: Header=BB4_816 Depth=2
	v_bfe_u32 v9, v28, 16, 1
	v_add3_u32 v9, v28, v9, s46
                                        ; implicit-def: $vgpr28
; %bb.1434:                             ;   in Loop: Header=BB4_816 Depth=2
	s_andn2_saveexec_b64 s[92:93], s[40:41]
; %bb.1435:                             ;   in Loop: Header=BB4_816 Depth=2
	v_or_b32_e32 v9, 0x10000, v28
	v_cmp_eq_u32_sdwa s[40:41], v28, v2 src0_sel:WORD_0 src1_sel:DWORD
	v_cndmask_b32_e64 v9, v9, v28, s[40:41]
; %bb.1436:                             ;   in Loop: Header=BB4_816 Depth=2
	s_or_b64 exec, exec, s[92:93]
	v_and_b32_e32 v26, 0xffff0000, v26
	v_and_b32_e32 v27, 0xffff0000, v27
	v_max_f32_e32 v27, v27, v27
	v_max_f32_e32 v26, v26, v26
	v_min_f32_e32 v28, v26, v27
	v_max_f32_e32 v26, v26, v27
	v_cndmask_b32_e32 v27, v26, v28, vcc
	v_and_b32_e32 v26, 0x7f800000, v27
	v_cmp_ne_u32_e64 s[40:41], s57, v26
                                        ; implicit-def: $vgpr26
	s_and_saveexec_b64 s[92:93], s[40:41]
	s_xor_b64 s[40:41], exec, s[92:93]
; %bb.1437:                             ;   in Loop: Header=BB4_816 Depth=2
	v_bfe_u32 v26, v27, 16, 1
	v_add3_u32 v26, v27, v26, s46
                                        ; implicit-def: $vgpr27
; %bb.1438:                             ;   in Loop: Header=BB4_816 Depth=2
	s_andn2_saveexec_b64 s[92:93], s[40:41]
; %bb.1439:                             ;   in Loop: Header=BB4_816 Depth=2
	v_or_b32_e32 v26, 0x10000, v27
	v_cmp_eq_u32_sdwa s[40:41], v27, v2 src0_sel:WORD_0 src1_sel:DWORD
	v_cndmask_b32_e64 v26, v26, v27, s[40:41]
; %bb.1440:                             ;   in Loop: Header=BB4_816 Depth=2
	s_or_b64 exec, exec, s[92:93]
	v_lshlrev_b32_e32 v27, 16, v20
	s_waitcnt vmcnt(2)
	v_lshlrev_b32_e32 v28, 16, v21
	v_max_f32_e32 v28, v28, v28
	v_max_f32_e32 v27, v27, v27
	v_min_f32_e32 v29, v27, v28
	v_max_f32_e32 v27, v27, v28
	v_cndmask_b32_e32 v28, v27, v29, vcc
	v_and_b32_e32 v27, 0x7f800000, v28
	v_cmp_ne_u32_e64 s[40:41], s57, v27
                                        ; implicit-def: $vgpr27
	s_and_saveexec_b64 s[92:93], s[40:41]
	s_xor_b64 s[40:41], exec, s[92:93]
; %bb.1441:                             ;   in Loop: Header=BB4_816 Depth=2
	v_bfe_u32 v27, v28, 16, 1
	v_add3_u32 v27, v28, v27, s46
                                        ; implicit-def: $vgpr28
; %bb.1442:                             ;   in Loop: Header=BB4_816 Depth=2
	s_andn2_saveexec_b64 s[92:93], s[40:41]
; %bb.1443:                             ;   in Loop: Header=BB4_816 Depth=2
	v_or_b32_e32 v27, 0x10000, v28
	v_cmp_eq_u32_sdwa s[40:41], v28, v2 src0_sel:WORD_0 src1_sel:DWORD
	v_cndmask_b32_e64 v27, v27, v28, s[40:41]
; %bb.1444:                             ;   in Loop: Header=BB4_816 Depth=2
	s_or_b64 exec, exec, s[92:93]
	v_and_b32_e32 v20, 0xffff0000, v20
	v_and_b32_e32 v21, 0xffff0000, v21
	v_max_f32_e32 v21, v21, v21
	v_max_f32_e32 v20, v20, v20
	v_min_f32_e32 v28, v20, v21
	v_max_f32_e32 v20, v20, v21
	v_cndmask_b32_e32 v21, v20, v28, vcc
	v_and_b32_e32 v20, 0x7f800000, v21
	v_cmp_ne_u32_e64 s[40:41], s57, v20
                                        ; implicit-def: $vgpr20
	s_and_saveexec_b64 s[92:93], s[40:41]
	s_xor_b64 s[40:41], exec, s[92:93]
; %bb.1445:                             ;   in Loop: Header=BB4_816 Depth=2
	v_bfe_u32 v20, v21, 16, 1
	v_add3_u32 v20, v21, v20, s46
                                        ; implicit-def: $vgpr21
; %bb.1446:                             ;   in Loop: Header=BB4_816 Depth=2
	s_andn2_saveexec_b64 s[92:93], s[40:41]
; %bb.1447:                             ;   in Loop: Header=BB4_816 Depth=2
	v_or_b32_e32 v20, 0x10000, v21
	v_cmp_eq_u32_sdwa s[40:41], v21, v2 src0_sel:WORD_0 src1_sel:DWORD
	v_cndmask_b32_e64 v20, v20, v21, s[40:41]
; %bb.1448:                             ;   in Loop: Header=BB4_816 Depth=2
	s_or_b64 exec, exec, s[92:93]
	s_waitcnt vmcnt(0)
	v_lshlrev_b32_e32 v21, 16, v4
	v_lshlrev_b32_e32 v28, 16, v0
	v_max_f32_e32 v28, v28, v28
	v_max_f32_e32 v21, v21, v21
	v_min_f32_e32 v29, v21, v28
	v_max_f32_e32 v21, v21, v28
	v_cndmask_b32_e32 v28, v21, v29, vcc
	v_and_b32_e32 v21, 0x7f800000, v28
	v_cmp_ne_u32_e64 s[40:41], s57, v21
                                        ; implicit-def: $vgpr21
	s_and_saveexec_b64 s[92:93], s[40:41]
	s_xor_b64 s[40:41], exec, s[92:93]
; %bb.1449:                             ;   in Loop: Header=BB4_816 Depth=2
	v_bfe_u32 v21, v28, 16, 1
	v_add3_u32 v21, v28, v21, s46
                                        ; implicit-def: $vgpr28
; %bb.1450:                             ;   in Loop: Header=BB4_816 Depth=2
	s_andn2_saveexec_b64 s[92:93], s[40:41]
; %bb.1451:                             ;   in Loop: Header=BB4_816 Depth=2
	v_or_b32_e32 v21, 0x10000, v28
	v_cmp_eq_u32_sdwa s[40:41], v28, v2 src0_sel:WORD_0 src1_sel:DWORD
	v_cndmask_b32_e64 v21, v21, v28, s[40:41]
; %bb.1452:                             ;   in Loop: Header=BB4_816 Depth=2
	s_or_b64 exec, exec, s[92:93]
	v_and_b32_e32 v4, 0xffff0000, v4
	v_and_b32_e32 v0, 0xffff0000, v0
	v_max_f32_e32 v0, v0, v0
	v_max_f32_e32 v4, v4, v4
	v_min_f32_e32 v28, v4, v0
	v_max_f32_e32 v0, v4, v0
	v_cndmask_b32_e32 v4, v0, v28, vcc
	v_and_b32_e32 v0, 0x7f800000, v4
	v_cmp_ne_u32_e32 vcc, s57, v0
                                        ; implicit-def: $vgpr0
	s_and_saveexec_b64 s[40:41], vcc
	s_xor_b64 s[40:41], exec, s[40:41]
; %bb.1453:                             ;   in Loop: Header=BB4_816 Depth=2
	v_bfe_u32 v0, v4, 16, 1
	v_add3_u32 v0, v4, v0, s46
                                        ; implicit-def: $vgpr4
; %bb.1454:                             ;   in Loop: Header=BB4_816 Depth=2
	s_andn2_saveexec_b64 s[40:41], s[40:41]
; %bb.1455:                             ;   in Loop: Header=BB4_816 Depth=2
	v_or_b32_e32 v0, 0x10000, v4
	v_cmp_eq_u32_sdwa vcc, v4, v2 src0_sel:WORD_0 src1_sel:DWORD
	v_cndmask_b32_e32 v0, v0, v4, vcc
; %bb.1456:                             ;   in Loop: Header=BB4_816 Depth=2
	s_or_b64 exec, exec, s[40:41]
	v_lshrrev_b32_e32 v3, 16, v3
	v_and_or_b32 v28, v8, s47, v3
	v_lshrrev_b32_e32 v3, 16, v27
	v_lshrrev_b32_e32 v4, 16, v9
	v_and_or_b32 v30, v20, s47, v3
	v_lshrrev_b32_e32 v3, 16, v21
	v_and_or_b32 v29, v26, s47, v4
	v_and_or_b32 v31, v0, s47, v3
	global_store_dwordx4 v[10:11], v[28:31], off glc slc
.LBB4_1457:                             ;   in Loop: Header=BB4_816 Depth=2
	s_or_b64 exec, exec, s[42:43]
	v_and_b32_e32 v3, 14, v13
	v_cndmask_b32_e64 v42, v24, v3, s[28:29]
	v_cmp_ne_u32_e32 vcc, 0, v42
	s_mov_b64 s[42:43], s[44:45]
                                        ; implicit-def: $vgpr26
                                        ; implicit-def: $vgpr0
                                        ; implicit-def: $vgpr27
	s_and_saveexec_b64 s[40:41], vcc
	s_cbranch_execz .LBB4_1459
; %bb.1458:                             ;   in Loop: Header=BB4_816 Depth=2
	v_sub_u32_e32 v0, v24, v3
	v_cndmask_b32_e64 v0, 0, v0, s[28:29]
	v_cmp_lt_i32_e32 vcc, 0, v25
	v_add3_u32 v26, v23, v15, v0
	v_cndmask_b32_e32 v0, 0, v57, vcc
	v_sub_u32_e32 v0, v0, v25
	v_lshl_add_u32 v0, v0, 6, v22
	v_ashrrev_i32_e32 v3, 31, v0
	v_lshrrev_b32_e32 v3, 26, v3
	v_add_u32_e32 v3, v0, v3
	v_and_b32_e32 v3, 0xffffffc0, v3
	v_sub_u32_e32 v27, v0, v3
	s_or_b64 s[42:43], s[44:45], exec
.LBB4_1459:                             ;   in Loop: Header=BB4_816 Depth=2
	s_or_b64 exec, exec, s[40:41]
	s_andn2_b64 s[28:29], s[44:45], exec
	s_and_b64 s[40:41], s[42:43], exec
	s_or_b64 s[44:45], s[28:29], s[40:41]
.LBB4_1460:                             ;   in Loop: Header=BB4_816 Depth=2
	s_or_b64 exec, exec, s[90:91]
	s_and_saveexec_b64 s[42:43], s[44:45]
	s_cbranch_execz .LBB4_1544
.LBB4_1461:                             ;   in Loop: Header=BB4_816 Depth=2
	s_waitcnt vmcnt(0)
	v_ashrrev_i32_e32 v3, 31, v0
	v_lshrrev_b32_e32 v3, 26, v3
	v_add_u32_e32 v0, v0, v3
	v_ashrrev_i32_e32 v0, 6, v0
	v_lshlrev_b32_e32 v3, 9, v0
	v_lshlrev_b32_e32 v4, 1, v27
	v_add3_u32 v23, v26, v4, v3
	v_ashrrev_i32_e32 v3, 31, v42
	v_lshrrev_b32_e32 v3, 23, v3
	v_add_u32_e32 v3, v42, v3
	v_ashrrev_i32_e32 v13, 9, v3
	buffer_load_dword v3, off, s[0:3], s33 offset:232 ; 4-byte Folded Reload
	buffer_load_dword v4, off, s[0:3], s33 offset:236 ; 4-byte Folded Reload
	s_waitcnt lgkmcnt(0)
	v_ashrrev_i32_e32 v24, 31, v23
	v_sub_u32_e32 v15, v13, v0
	s_mov_b64 s[28:29], 0
	v_mov_b32_e32 v20, 0
	v_mov_b32_e32 v10, 0
	;; [unrolled: 1-line block ×6, first 2 shown]
	s_waitcnt vmcnt(1)
	v_add_co_u32_e32 v8, vcc, v3, v23
	s_waitcnt vmcnt(0)
	v_addc_co_u32_e32 v9, vcc, v4, v24, vcc
	v_cmp_lt_i32_e32 vcc, 0, v15
	v_mov_b32_e32 v4, 0
	v_mov_b32_e32 v3, 0
	s_and_saveexec_b64 s[40:41], vcc
	s_cbranch_execz .LBB4_1501
; %bb.1462:                             ;   in Loop: Header=BB4_816 Depth=2
	s_trap 2
	ds_read_b64 v[3:4], v0
	v_add_co_u32_e32 v10, vcc, v23, v18
	v_addc_co_u32_e32 v11, vcc, v24, v19, vcc
	s_and_b32 s9, s8, 0xff
	s_waitcnt lgkmcnt(0)
	v_add_co_u32_e32 v22, vcc, v3, v23
	s_cmp_eq_u32 s9, 0
	v_mov_b32_e32 v56, v42
	v_addc_co_u32_e32 v23, vcc, v4, v24, vcc
	s_mov_b64 s[92:93], 0
	s_mov_b64 s[90:91], 0
	s_cselect_b64 s[28:29], -1, 0
                                        ; implicit-def: $sgpr44_sgpr45
                                        ; implicit-def: $vgpr4
                                        ; implicit-def: $vgpr28
                                        ; implicit-def: $vgpr50
                                        ; implicit-def: $vgpr31
                                        ; implicit-def: $vgpr24
                                        ; implicit-def: $vgpr25
                                        ; implicit-def: $vgpr29
                                        ; implicit-def: $vgpr30
	s_branch .LBB4_1464
.LBB4_1463:                             ;   in Loop: Header=BB4_1464 Depth=3
	s_or_b64 exec, exec, s[94:95]
	flat_store_short_d16_hi v[8:9], v0 glc slc
	flat_store_short_d16_hi v[8:9], v34 offset:128 glc slc
	flat_store_short_d16_hi v[8:9], v20 offset:256 glc slc
	flat_store_short_d16_hi v[8:9], v3 offset:384 glc slc
	v_add_co_u32_e32 v0, vcc, v10, v54
	v_addc_co_u32_e32 v3, vcc, v11, v55, vcc
	v_add_co_u32_e32 v20, vcc, v22, v54
	v_mov_b32_e32 v35, 0x200
	v_addc_co_u32_e32 v21, vcc, v23, v55, vcc
	v_cndmask_b32_e64 v35, v35, v44, s[92:93]
	v_cndmask_b32_e64 v34, 0, v45, s[92:93]
	v_add_co_u32_e32 v8, vcc, v8, v35
	v_cndmask_b32_e64 v10, v10, v0, s[92:93]
	v_cndmask_b32_e64 v0, 0, v57, s[92:93]
	v_addc_co_u32_e32 v9, vcc, v9, v34, vcc
	v_sub_u32_e32 v15, v15, v0
	v_cmp_gt_i32_e32 vcc, 1, v15
	s_or_b64 s[90:91], vcc, s[90:91]
	s_andn2_b64 s[44:45], s[44:45], exec
	s_and_b64 s[94:95], s[92:93], exec
	v_cndmask_b32_e64 v11, v11, v3, s[92:93]
	v_cndmask_b32_e64 v23, v23, v21, s[92:93]
	;; [unrolled: 1-line block ×3, first 2 shown]
	s_or_b64 s[44:45], s[44:45], s[94:95]
	s_andn2_b64 exec, exec, s[90:91]
	s_cbranch_execz .LBB4_1500
.LBB4_1464:                             ;   Parent Loop BB4_47 Depth=1
                                        ;     Parent Loop BB4_816 Depth=2
                                        ; =>    This Inner Loop Header: Depth=3
	flat_load_ushort v42, v[10:11] glc slc
	flat_load_ushort v52, v[10:11] offset:128 glc slc
	flat_load_ushort v20, v[10:11] offset:256 glc slc
	;; [unrolled: 1-line block ×3, first 2 shown]
	flat_load_ushort v0, v[22:23] glc slc
	flat_load_ushort v53, v[22:23] offset:128 glc slc
	flat_load_ushort v21, v[22:23] offset:256 glc slc
	;; [unrolled: 1-line block ×3, first 2 shown]
	s_and_saveexec_b64 s[94:95], s[92:93]
	s_cbranch_execz .LBB4_1482
; %bb.1465:                             ;   in Loop: Header=BB4_1464 Depth=3
	v_lshlrev_b32_e32 v4, 16, v4
	v_lshlrev_b32_e32 v34, 16, v24
	v_max_f32_e32 v34, v34, v34
	v_max_f32_e32 v4, v4, v4
	v_min_f32_e32 v35, v4, v34
	v_max_f32_e32 v4, v4, v34
	v_cndmask_b32_e64 v34, v4, v35, s[28:29]
	v_and_b32_e32 v4, 0x7f800000, v34
	v_cmp_ne_u32_e32 vcc, s57, v4
                                        ; implicit-def: $vgpr4
	s_and_saveexec_b64 s[92:93], vcc
	s_xor_b64 s[92:93], exec, s[92:93]
; %bb.1466:                             ;   in Loop: Header=BB4_1464 Depth=3
	v_bfe_u32 v4, v34, 16, 1
	v_add3_u32 v4, v34, v4, s46
                                        ; implicit-def: $vgpr34
; %bb.1467:                             ;   in Loop: Header=BB4_1464 Depth=3
	s_andn2_saveexec_b64 s[92:93], s[92:93]
; %bb.1468:                             ;   in Loop: Header=BB4_1464 Depth=3
	v_or_b32_e32 v4, 0x10000, v34
	v_cmp_eq_u32_sdwa vcc, v34, v2 src0_sel:WORD_0 src1_sel:DWORD
	v_cndmask_b32_e32 v4, v4, v34, vcc
; %bb.1469:                             ;   in Loop: Header=BB4_1464 Depth=3
	s_or_b64 exec, exec, s[92:93]
	v_lshlrev_b32_e32 v28, 16, v28
	v_lshlrev_b32_e32 v34, 16, v25
	v_max_f32_e32 v34, v34, v34
	v_max_f32_e32 v28, v28, v28
	v_min_f32_e32 v35, v28, v34
	v_max_f32_e32 v28, v28, v34
	v_cndmask_b32_e64 v34, v28, v35, s[28:29]
	v_and_b32_e32 v28, 0x7f800000, v34
	v_cmp_ne_u32_e32 vcc, s57, v28
                                        ; implicit-def: $vgpr28
	s_and_saveexec_b64 s[92:93], vcc
	s_xor_b64 s[92:93], exec, s[92:93]
; %bb.1470:                             ;   in Loop: Header=BB4_1464 Depth=3
	v_bfe_u32 v28, v34, 16, 1
	v_add3_u32 v28, v34, v28, s46
                                        ; implicit-def: $vgpr34
; %bb.1471:                             ;   in Loop: Header=BB4_1464 Depth=3
	s_andn2_saveexec_b64 s[92:93], s[92:93]
; %bb.1472:                             ;   in Loop: Header=BB4_1464 Depth=3
	v_or_b32_e32 v28, 0x10000, v34
	v_cmp_eq_u32_sdwa vcc, v34, v2 src0_sel:WORD_0 src1_sel:DWORD
	v_cndmask_b32_e32 v28, v28, v34, vcc
; %bb.1473:                             ;   in Loop: Header=BB4_1464 Depth=3
	s_or_b64 exec, exec, s[92:93]
	v_lshlrev_b32_e32 v34, 16, v50
	v_lshlrev_b32_e32 v35, 16, v29
	v_max_f32_e32 v35, v35, v35
	v_max_f32_e32 v34, v34, v34
	v_min_f32_e32 v50, v34, v35
	v_max_f32_e32 v34, v34, v35
	v_cndmask_b32_e64 v35, v34, v50, s[28:29]
	v_and_b32_e32 v34, 0x7f800000, v35
	v_cmp_ne_u32_e32 vcc, s57, v34
                                        ; implicit-def: $vgpr34
	s_and_saveexec_b64 s[92:93], vcc
	s_xor_b64 s[92:93], exec, s[92:93]
; %bb.1474:                             ;   in Loop: Header=BB4_1464 Depth=3
	v_bfe_u32 v34, v35, 16, 1
	v_add3_u32 v34, v35, v34, s46
                                        ; implicit-def: $vgpr35
; %bb.1475:                             ;   in Loop: Header=BB4_1464 Depth=3
	s_andn2_saveexec_b64 s[92:93], s[92:93]
; %bb.1476:                             ;   in Loop: Header=BB4_1464 Depth=3
	v_or_b32_e32 v34, 0x10000, v35
	v_cmp_eq_u32_sdwa vcc, v35, v2 src0_sel:WORD_0 src1_sel:DWORD
	v_cndmask_b32_e32 v34, v34, v35, vcc
; %bb.1477:                             ;   in Loop: Header=BB4_1464 Depth=3
	s_or_b64 exec, exec, s[92:93]
	v_lshlrev_b32_e32 v31, 16, v31
	v_lshlrev_b32_e32 v35, 16, v30
	v_max_f32_e32 v35, v35, v35
	v_max_f32_e32 v31, v31, v31
	v_min_f32_e32 v50, v31, v35
	v_max_f32_e32 v31, v31, v35
	v_cndmask_b32_e64 v35, v31, v50, s[28:29]
	v_and_b32_e32 v31, 0x7f800000, v35
	v_cmp_ne_u32_e32 vcc, s57, v31
                                        ; implicit-def: $vgpr31
	s_and_saveexec_b64 s[92:93], vcc
	s_xor_b64 s[92:93], exec, s[92:93]
; %bb.1478:                             ;   in Loop: Header=BB4_1464 Depth=3
	v_bfe_u32 v31, v35, 16, 1
	v_add3_u32 v31, v35, v31, s46
                                        ; implicit-def: $vgpr35
; %bb.1479:                             ;   in Loop: Header=BB4_1464 Depth=3
	s_andn2_saveexec_b64 s[92:93], s[92:93]
; %bb.1480:                             ;   in Loop: Header=BB4_1464 Depth=3
	v_or_b32_e32 v31, 0x10000, v35
	v_cmp_eq_u32_sdwa vcc, v35, v2 src0_sel:WORD_0 src1_sel:DWORD
	v_cndmask_b32_e32 v31, v31, v35, vcc
; %bb.1481:                             ;   in Loop: Header=BB4_1464 Depth=3
	s_or_b64 exec, exec, s[92:93]
	v_lshrrev_b32_e32 v4, 16, v4
	v_lshrrev_b32_e32 v50, 16, v34
	;; [unrolled: 1-line block ×4, first 2 shown]
	flat_store_short v[8:9], v4 glc slc
	flat_store_short v[8:9], v28 offset:128 glc slc
	flat_store_short v[8:9], v50 offset:256 glc slc
	;; [unrolled: 1-line block ×3, first 2 shown]
	v_add_co_u32_e32 v8, vcc, v8, v44
	v_addc_co_u32_e32 v9, vcc, v9, v45, vcc
.LBB4_1482:                             ;   in Loop: Header=BB4_1464 Depth=3
	s_or_b64 exec, exec, s[94:95]
	v_add_co_u32_e32 v10, vcc, v10, v44
	v_addc_co_u32_e32 v11, vcc, v11, v45, vcc
	v_add_co_u32_e32 v22, vcc, v22, v44
	v_sub_u32_e32 v15, v15, v57
	v_addc_co_u32_e32 v23, vcc, v23, v45, vcc
	v_cmp_lt_i32_e64 s[92:93], 0, v15
	s_and_saveexec_b64 s[94:95], s[92:93]
	s_cbranch_execz .LBB4_1484
; %bb.1483:                             ;   in Loop: Header=BB4_1464 Depth=3
	flat_load_ushort v4, v[10:11] glc slc
	flat_load_ushort v28, v[10:11] offset:128 glc slc
	flat_load_ushort v50, v[10:11] offset:256 glc slc
	;; [unrolled: 1-line block ×3, first 2 shown]
	flat_load_ushort v24, v[22:23] glc slc
	flat_load_ushort v25, v[22:23] offset:128 glc slc
	flat_load_ushort v29, v[22:23] offset:256 glc slc
	;; [unrolled: 1-line block ×3, first 2 shown]
	v_add_co_u32_e32 v10, vcc, 0x200, v10
	v_addc_co_u32_e32 v11, vcc, 0, v11, vcc
	v_add_co_u32_e32 v22, vcc, 0x200, v22
	v_addc_co_u32_e32 v23, vcc, 0, v23, vcc
.LBB4_1484:                             ;   in Loop: Header=BB4_1464 Depth=3
	s_or_b64 exec, exec, s[94:95]
	s_waitcnt vmcnt(0) lgkmcnt(0)
	v_lshlrev_b32_e32 v34, 16, v42
	v_lshlrev_b32_e32 v0, 16, v0
	v_max_f32_e32 v0, v0, v0
	v_max_f32_e32 v34, v34, v34
	v_min_f32_e32 v35, v34, v0
	v_max_f32_e32 v0, v34, v0
	v_cndmask_b32_e64 v34, v0, v35, s[28:29]
	v_and_b32_e32 v0, 0x7f800000, v34
	v_cmp_ne_u32_e32 vcc, s57, v0
                                        ; implicit-def: $vgpr0
	s_and_saveexec_b64 s[94:95], vcc
	s_xor_b64 s[94:95], exec, s[94:95]
; %bb.1485:                             ;   in Loop: Header=BB4_1464 Depth=3
	v_bfe_u32 v0, v34, 16, 1
	v_add3_u32 v0, v34, v0, s46
                                        ; implicit-def: $vgpr34
; %bb.1486:                             ;   in Loop: Header=BB4_1464 Depth=3
	s_andn2_saveexec_b64 s[94:95], s[94:95]
; %bb.1487:                             ;   in Loop: Header=BB4_1464 Depth=3
	v_or_b32_e32 v0, 0x10000, v34
	v_cmp_eq_u32_sdwa vcc, v34, v2 src0_sel:WORD_0 src1_sel:DWORD
	v_cndmask_b32_e32 v0, v0, v34, vcc
; %bb.1488:                             ;   in Loop: Header=BB4_1464 Depth=3
	s_or_b64 exec, exec, s[94:95]
	v_lshlrev_b32_e32 v34, 16, v52
	v_lshlrev_b32_e32 v35, 16, v53
	v_max_f32_e32 v35, v35, v35
	v_max_f32_e32 v34, v34, v34
	v_min_f32_e32 v52, v34, v35
	v_max_f32_e32 v34, v34, v35
	v_cndmask_b32_e64 v35, v34, v52, s[28:29]
	v_and_b32_e32 v34, 0x7f800000, v35
	v_cmp_ne_u32_e32 vcc, s57, v34
                                        ; implicit-def: $vgpr34
	s_and_saveexec_b64 s[94:95], vcc
	s_xor_b64 s[94:95], exec, s[94:95]
; %bb.1489:                             ;   in Loop: Header=BB4_1464 Depth=3
	v_bfe_u32 v34, v35, 16, 1
	v_add3_u32 v34, v35, v34, s46
                                        ; implicit-def: $vgpr35
; %bb.1490:                             ;   in Loop: Header=BB4_1464 Depth=3
	s_andn2_saveexec_b64 s[94:95], s[94:95]
; %bb.1491:                             ;   in Loop: Header=BB4_1464 Depth=3
	v_or_b32_e32 v34, 0x10000, v35
	v_cmp_eq_u32_sdwa vcc, v35, v2 src0_sel:WORD_0 src1_sel:DWORD
	v_cndmask_b32_e32 v34, v34, v35, vcc
; %bb.1492:                             ;   in Loop: Header=BB4_1464 Depth=3
	s_or_b64 exec, exec, s[94:95]
	v_lshlrev_b32_e32 v20, 16, v20
	v_lshlrev_b32_e32 v21, 16, v21
	v_max_f32_e32 v21, v21, v21
	v_max_f32_e32 v20, v20, v20
	v_min_f32_e32 v35, v20, v21
	v_max_f32_e32 v20, v20, v21
	v_cndmask_b32_e64 v21, v20, v35, s[28:29]
	v_and_b32_e32 v20, 0x7f800000, v21
	v_cmp_ne_u32_e32 vcc, s57, v20
                                        ; implicit-def: $vgpr20
	s_and_saveexec_b64 s[94:95], vcc
	s_xor_b64 s[94:95], exec, s[94:95]
; %bb.1493:                             ;   in Loop: Header=BB4_1464 Depth=3
	v_bfe_u32 v20, v21, 16, 1
	v_add3_u32 v20, v21, v20, s46
                                        ; implicit-def: $vgpr21
; %bb.1494:                             ;   in Loop: Header=BB4_1464 Depth=3
	s_andn2_saveexec_b64 s[94:95], s[94:95]
; %bb.1495:                             ;   in Loop: Header=BB4_1464 Depth=3
	v_or_b32_e32 v20, 0x10000, v21
	v_cmp_eq_u32_sdwa vcc, v21, v2 src0_sel:WORD_0 src1_sel:DWORD
	v_cndmask_b32_e32 v20, v20, v21, vcc
; %bb.1496:                             ;   in Loop: Header=BB4_1464 Depth=3
	s_or_b64 exec, exec, s[94:95]
	v_lshlrev_b32_e32 v21, 16, v51
	v_lshlrev_b32_e32 v3, 16, v3
	v_max_f32_e32 v3, v3, v3
	v_max_f32_e32 v21, v21, v21
	v_min_f32_e32 v35, v21, v3
	v_max_f32_e32 v3, v21, v3
	v_cndmask_b32_e64 v21, v3, v35, s[28:29]
	v_and_b32_e32 v3, 0x7f800000, v21
	v_cmp_ne_u32_e32 vcc, s57, v3
                                        ; implicit-def: $vgpr3
	s_and_saveexec_b64 s[94:95], vcc
	s_xor_b64 s[94:95], exec, s[94:95]
; %bb.1497:                             ;   in Loop: Header=BB4_1464 Depth=3
	v_bfe_u32 v3, v21, 16, 1
	v_add3_u32 v3, v21, v3, s46
                                        ; implicit-def: $vgpr21
; %bb.1498:                             ;   in Loop: Header=BB4_1464 Depth=3
	s_andn2_saveexec_b64 s[94:95], s[94:95]
	s_cbranch_execz .LBB4_1463
; %bb.1499:                             ;   in Loop: Header=BB4_1464 Depth=3
	v_or_b32_e32 v3, 0x10000, v21
	v_cmp_eq_u32_sdwa vcc, v21, v2 src0_sel:WORD_0 src1_sel:DWORD
	v_cndmask_b32_e32 v3, v3, v21, vcc
	s_branch .LBB4_1463
.LBB4_1500:                             ;   in Loop: Header=BB4_816 Depth=2
	s_or_b64 exec, exec, s[90:91]
	v_lshlrev_b32_e32 v4, 16, v4
	v_lshlrev_b32_e32 v22, 16, v24
	;; [unrolled: 1-line block ×8, first 2 shown]
	s_and_b64 s[28:29], s[44:45], exec
	v_mov_b32_e32 v42, v56
.LBB4_1501:                             ;   in Loop: Header=BB4_816 Depth=2
	s_or_b64 exec, exec, s[40:41]
	s_and_saveexec_b64 s[40:41], s[28:29]
	s_cbranch_execz .LBB4_1519
; %bb.1502:                             ;   in Loop: Header=BB4_816 Depth=2
	s_and_b32 s9, s8, 0xff
	s_cmp_eq_u32 s9, 0
	v_max_f32_e32 v22, v22, v22
	v_max_f32_e32 v4, v4, v4
	v_min_f32_e32 v23, v4, v22
	v_max_f32_e32 v4, v4, v22
	s_cselect_b64 vcc, -1, 0
	v_cndmask_b32_e32 v22, v4, v23, vcc
	v_and_b32_e32 v4, 0x7f800000, v22
	v_cmp_ne_u32_e64 s[28:29], s57, v4
                                        ; implicit-def: $vgpr4
	s_and_saveexec_b64 s[44:45], s[28:29]
	s_xor_b64 s[28:29], exec, s[44:45]
; %bb.1503:                             ;   in Loop: Header=BB4_816 Depth=2
	v_bfe_u32 v4, v22, 16, 1
	v_add3_u32 v4, v22, v4, s46
                                        ; implicit-def: $vgpr22
; %bb.1504:                             ;   in Loop: Header=BB4_816 Depth=2
	s_andn2_saveexec_b64 s[44:45], s[28:29]
; %bb.1505:                             ;   in Loop: Header=BB4_816 Depth=2
	v_or_b32_e32 v4, 0x10000, v22
	v_cmp_eq_u32_sdwa s[28:29], v22, v2 src0_sel:WORD_0 src1_sel:DWORD
	v_cndmask_b32_e64 v4, v4, v22, s[28:29]
; %bb.1506:                             ;   in Loop: Header=BB4_816 Depth=2
	s_or_b64 exec, exec, s[44:45]
	v_max_f32_e32 v21, v21, v21
	v_max_f32_e32 v20, v20, v20
	v_min_f32_e32 v22, v20, v21
	v_max_f32_e32 v20, v20, v21
	v_cndmask_b32_e32 v21, v20, v22, vcc
	v_and_b32_e32 v20, 0x7f800000, v21
	v_cmp_ne_u32_e64 s[28:29], s57, v20
                                        ; implicit-def: $vgpr20
	s_and_saveexec_b64 s[44:45], s[28:29]
	s_xor_b64 s[28:29], exec, s[44:45]
; %bb.1507:                             ;   in Loop: Header=BB4_816 Depth=2
	v_bfe_u32 v20, v21, 16, 1
	v_add3_u32 v20, v21, v20, s46
                                        ; implicit-def: $vgpr21
; %bb.1508:                             ;   in Loop: Header=BB4_816 Depth=2
	s_andn2_saveexec_b64 s[44:45], s[28:29]
; %bb.1509:                             ;   in Loop: Header=BB4_816 Depth=2
	v_or_b32_e32 v20, 0x10000, v21
	v_cmp_eq_u32_sdwa s[28:29], v21, v2 src0_sel:WORD_0 src1_sel:DWORD
	v_cndmask_b32_e64 v20, v20, v21, s[28:29]
; %bb.1510:                             ;   in Loop: Header=BB4_816 Depth=2
	s_or_b64 exec, exec, s[44:45]
	v_max_f32_e32 v11, v11, v11
	v_max_f32_e32 v10, v10, v10
	v_min_f32_e32 v21, v10, v11
	v_max_f32_e32 v10, v10, v11
	v_cndmask_b32_e32 v11, v10, v21, vcc
	v_and_b32_e32 v10, 0x7f800000, v11
	v_cmp_ne_u32_e64 s[28:29], s57, v10
                                        ; implicit-def: $vgpr10
	s_and_saveexec_b64 s[44:45], s[28:29]
	s_xor_b64 s[28:29], exec, s[44:45]
; %bb.1511:                             ;   in Loop: Header=BB4_816 Depth=2
	v_bfe_u32 v10, v11, 16, 1
	v_add3_u32 v10, v11, v10, s46
                                        ; implicit-def: $vgpr11
; %bb.1512:                             ;   in Loop: Header=BB4_816 Depth=2
	s_andn2_saveexec_b64 s[44:45], s[28:29]
; %bb.1513:                             ;   in Loop: Header=BB4_816 Depth=2
	v_or_b32_e32 v10, 0x10000, v11
	v_cmp_eq_u32_sdwa s[28:29], v11, v2 src0_sel:WORD_0 src1_sel:DWORD
	v_cndmask_b32_e64 v10, v10, v11, s[28:29]
; %bb.1514:                             ;   in Loop: Header=BB4_816 Depth=2
	s_or_b64 exec, exec, s[44:45]
	v_max_f32_e32 v3, v3, v3
	v_max_f32_e32 v0, v0, v0
	v_min_f32_e32 v11, v0, v3
	v_max_f32_e32 v0, v0, v3
	v_cndmask_b32_e32 v3, v0, v11, vcc
	v_and_b32_e32 v0, 0x7f800000, v3
	v_cmp_ne_u32_e32 vcc, s57, v0
                                        ; implicit-def: $vgpr0
	s_and_saveexec_b64 s[28:29], vcc
	s_xor_b64 s[28:29], exec, s[28:29]
; %bb.1515:                             ;   in Loop: Header=BB4_816 Depth=2
	v_bfe_u32 v0, v3, 16, 1
	v_add3_u32 v0, v3, v0, s46
                                        ; implicit-def: $vgpr3
; %bb.1516:                             ;   in Loop: Header=BB4_816 Depth=2
	s_andn2_saveexec_b64 s[28:29], s[28:29]
; %bb.1517:                             ;   in Loop: Header=BB4_816 Depth=2
	v_or_b32_e32 v0, 0x10000, v3
	v_cmp_eq_u32_sdwa vcc, v3, v2 src0_sel:WORD_0 src1_sel:DWORD
	v_cndmask_b32_e32 v0, v0, v3, vcc
; %bb.1518:                             ;   in Loop: Header=BB4_816 Depth=2
	s_or_b64 exec, exec, s[28:29]
	flat_store_short_d16_hi v[8:9], v4 glc slc
	flat_store_short_d16_hi v[8:9], v20 offset:128 glc slc
	flat_store_short_d16_hi v[8:9], v10 offset:256 glc slc
	;; [unrolled: 1-line block ×3, first 2 shown]
.LBB4_1519:                             ;   in Loop: Header=BB4_816 Depth=2
	s_or_b64 exec, exec, s[40:41]
	v_lshlrev_b32_e32 v0, 9, v13
	v_cmp_ne_u32_e32 vcc, v42, v0
	s_and_b64 exec, exec, vcc
	s_cbranch_execz .LBB4_1544
; %bb.1520:                             ;   in Loop: Header=BB4_816 Depth=2
	v_lshlrev_b32_e32 v3, 6, v15
	v_sub_u32_e32 v3, v27, v3
	v_ashrrev_i32_e32 v4, 31, v3
	v_lshrrev_b32_e32 v4, 26, v4
	v_add_u32_e32 v4, v3, v4
	v_and_b32_e32 v8, 0x7fffffc0, v4
	v_sub_u32_e32 v3, v3, v8
	v_lshlrev_b32_e32 v4, 1, v4
	v_and_b32_e32 v4, 0xffffff80, v4
	v_lshlrev_b32_e32 v3, 1, v3
	v_add3_u32 v3, v4, v3, v0
	v_sub_u32_e32 v0, v42, v3
	v_cmp_lt_i32_e32 vcc, 1, v0
	s_and_b64 exec, exec, vcc
	s_cbranch_execz .LBB4_1544
; %bb.1521:                             ;   in Loop: Header=BB4_816 Depth=2
	s_trap 2
	ds_read_b64 v[20:21], v0
	buffer_load_dword v8, off, s[0:3], s33 offset:232 ; 4-byte Folded Reload
	buffer_load_dword v9, off, s[0:3], s33 offset:236 ; 4-byte Folded Reload
	v_add_u32_e32 v3, v3, v26
	v_ashrrev_i32_e32 v13, 31, v3
	s_and_b32 s8, s8, 0xff
	s_cmp_eq_u32 s8, 0
	s_mov_b64 s[92:93], 0
	s_mov_b64 s[44:45], 0
	s_cselect_b64 s[28:29], -1, 0
                                        ; implicit-def: $sgpr90_sgpr91
	s_waitcnt vmcnt(0)
	v_add_co_u32_e32 v8, vcc, v8, v3
	v_addc_co_u32_e32 v9, vcc, v9, v13, vcc
	v_add_co_u32_e32 v11, vcc, v3, v18
	v_addc_co_u32_e32 v10, vcc, v13, v19, vcc
	s_waitcnt lgkmcnt(0)
	v_add_co_u32_e32 v4, vcc, v20, v3
	v_addc_co_u32_e32 v3, vcc, v21, v13, vcc
	s_branch .LBB4_1523
.LBB4_1522:                             ;   in Loop: Header=BB4_1523 Depth=3
	s_or_b64 exec, exec, s[40:41]
	buffer_load_dword v21, off, s[0:3], s33 offset:128 ; 4-byte Folded Reload
	v_lshrrev_b32_e32 v13, 16, v15
	buffer_store_short v13, off, s[0:3], s33 offset:64
	flat_store_short v[8:9], v13 glc slc
	v_add_co_u32_e32 v13, vcc, v11, v40
	v_addc_co_u32_e32 v15, vcc, v10, v41, vcc
	v_add_co_u32_e32 v18, vcc, v4, v40
	v_mov_b32_e32 v22, 0x80
	v_addc_co_u32_e32 v19, vcc, v3, v41, vcc
	v_cndmask_b32_e64 v11, v11, v13, s[92:93]
	v_lshlrev_b32_e32 v13, 7, v57
	v_cndmask_b32_e64 v20, 0, v7, s[92:93]
	v_cndmask_b32_e64 v13, 0, v13, s[92:93]
	v_sub_u32_e32 v0, v0, v13
	v_cndmask_b32_e64 v3, v3, v19, s[92:93]
	v_cndmask_b32_e64 v4, v4, v18, s[92:93]
	;; [unrolled: 1-line block ×3, first 2 shown]
	s_waitcnt vmcnt(0)
	v_cndmask_b32_e64 v21, v22, v21, s[92:93]
	v_add_co_u32_e32 v8, vcc, v8, v21
	v_addc_co_u32_e32 v9, vcc, v9, v20, vcc
	v_cmp_gt_i32_e32 vcc, 2, v0
	s_or_b64 s[44:45], vcc, s[44:45]
	s_andn2_b64 s[8:9], s[90:91], exec
	s_and_b64 s[40:41], s[92:93], exec
	s_or_b64 s[90:91], s[8:9], s[40:41]
	s_andn2_b64 exec, exec, s[44:45]
	s_cbranch_execz .LBB4_1538
.LBB4_1523:                             ;   Parent Loop BB4_47 Depth=1
                                        ;     Parent Loop BB4_816 Depth=2
                                        ; =>    This Loop Header: Depth=3
                                        ;         Child Loop BB4_1524 Depth 4
                                        ;         Child Loop BB4_1533 Depth 4
	s_lshr_b32 s8, s33, 6
	s_add_i32 s8, s8, 64
	s_mov_b64 s[94:95], -1
	s_mov_b64 s[30:31], 0
.LBB4_1524:                             ;   Parent Loop BB4_47 Depth=1
                                        ;     Parent Loop BB4_816 Depth=2
                                        ;       Parent Loop BB4_1523 Depth=3
                                        ; =>      This Inner Loop Header: Depth=4
	s_cmp_eq_u32 s30, 1
	s_cselect_b64 s[40:41], -1, 0
	v_cndmask_b32_e64 v19, v10, v3, s[40:41]
	v_cndmask_b32_e64 v18, v11, v4, s[40:41]
	flat_load_ushort v13, v[18:19] glc slc
	v_mov_b32_e32 v15, s8
	s_cmp_eq_u32 s30, 0
	s_mov_b64 s[30:31], 1
	s_waitcnt vmcnt(0) lgkmcnt(0)
	buffer_store_short v13, v15, s[0:3], 0 offen
	v_add_co_u32_e32 v13, vcc, 0x80, v18
	v_addc_co_u32_e32 v15, vcc, 0, v19, vcc
	s_cselect_b64 vcc, -1, 0
	s_lshr_b32 s8, s33, 6
	s_addk_i32 s8, 0x60
	v_cndmask_b32_e64 v3, v3, v15, s[40:41]
	v_cndmask_b32_e64 v4, v4, v13, s[40:41]
	v_cndmask_b32_e32 v10, v10, v15, vcc
	v_cndmask_b32_e32 v11, v11, v13, vcc
	s_and_b64 vcc, exec, s[94:95]
	s_mov_b64 s[94:95], 0
	s_cbranch_vccnz .LBB4_1524
; %bb.1525:                             ;   in Loop: Header=BB4_1523 Depth=3
	s_and_saveexec_b64 s[40:41], s[92:93]
	s_cbranch_execz .LBB4_1531
; %bb.1526:                             ;   in Loop: Header=BB4_1523 Depth=3
	buffer_load_ushort v13, off, s[0:3], s33 offset:56
	buffer_load_ushort v15, off, s[0:3], s33 offset:58
	s_waitcnt vmcnt(1)
	v_lshlrev_b32_e32 v13, 16, v13
	s_waitcnt vmcnt(0)
	v_lshlrev_b32_e32 v15, 16, v15
	v_max_f32_e32 v15, v15, v15
	v_max_f32_e32 v13, v13, v13
	v_min_f32_e32 v18, v13, v15
	v_max_f32_e32 v13, v13, v15
	v_cndmask_b32_e64 v13, v13, v18, s[28:29]
	v_and_b32_e32 v15, 0x7f800000, v13
	v_cmp_ne_u32_e32 vcc, s57, v15
                                        ; implicit-def: $vgpr15
	s_and_saveexec_b64 s[8:9], vcc
	s_xor_b64 s[92:93], exec, s[8:9]
; %bb.1527:                             ;   in Loop: Header=BB4_1523 Depth=3
	v_bfe_u32 v15, v13, 16, 1
	v_add3_u32 v15, v13, v15, s46
                                        ; implicit-def: $vgpr13
; %bb.1528:                             ;   in Loop: Header=BB4_1523 Depth=3
	s_andn2_saveexec_b64 s[92:93], s[92:93]
; %bb.1529:                             ;   in Loop: Header=BB4_1523 Depth=3
	v_or_b32_e32 v15, 0x10000, v13
	v_cmp_eq_u32_sdwa vcc, v13, v2 src0_sel:WORD_0 src1_sel:DWORD
	v_cndmask_b32_e32 v15, v15, v13, vcc
; %bb.1530:                             ;   in Loop: Header=BB4_1523 Depth=3
	s_or_b64 exec, exec, s[92:93]
	v_lshrrev_b32_e32 v13, 16, v15
	buffer_store_short v13, off, s[0:3], s33 offset:56
	flat_store_short v[8:9], v13 glc slc
	buffer_load_dword v13, off, s[0:3], s33 offset:128 ; 4-byte Folded Reload
	s_waitcnt vmcnt(0)
	v_add_co_u32_e32 v8, vcc, v8, v13
	v_addc_co_u32_e32 v9, vcc, v9, v7, vcc
.LBB4_1531:                             ;   in Loop: Header=BB4_1523 Depth=3
	s_or_b64 exec, exec, s[40:41]
	v_add_co_u32_e32 v11, vcc, v11, v40
	v_addc_co_u32_e32 v10, vcc, v10, v41, vcc
	v_lshlrev_b32_e32 v13, 7, v57
	v_add_co_u32_e32 v4, vcc, v4, v40
	v_sub_u32_e32 v0, v0, v13
	v_addc_co_u32_e32 v3, vcc, v3, v41, vcc
	v_cmp_lt_i32_e64 s[92:93], 1, v0
	s_and_saveexec_b64 s[94:95], s[92:93]
	s_cbranch_execz .LBB4_1534
; %bb.1532:                             ;   in Loop: Header=BB4_1523 Depth=3
	s_lshr_b32 s8, s33, 6
	s_add_i32 s8, s8, 56
	s_mov_b64 s[34:35], 0
	s_mov_b64 s[30:31], -1
.LBB4_1533:                             ;   Parent Loop BB4_47 Depth=1
                                        ;     Parent Loop BB4_816 Depth=2
                                        ;       Parent Loop BB4_1523 Depth=3
                                        ; =>      This Inner Loop Header: Depth=4
	s_cmp_eq_u32 s34, 1
	s_cselect_b64 s[40:41], -1, 0
	v_cndmask_b32_e64 v19, v10, v3, s[40:41]
	v_cndmask_b32_e64 v18, v11, v4, s[40:41]
	flat_load_ushort v13, v[18:19] glc slc
	v_mov_b32_e32 v15, s8
	s_cmp_eq_u32 s34, 0
	s_mov_b64 s[34:35], 1
	s_waitcnt vmcnt(0) lgkmcnt(0)
	buffer_store_short v13, v15, s[0:3], 0 offen
	v_add_co_u32_e32 v13, vcc, 0x80, v18
	v_addc_co_u32_e32 v15, vcc, 0, v19, vcc
	s_cselect_b64 vcc, -1, 0
	s_lshr_b32 s8, s33, 6
	s_add_i32 s8, s8, 58
	v_cndmask_b32_e32 v10, v10, v15, vcc
	v_cndmask_b32_e32 v11, v11, v13, vcc
	v_cndmask_b32_e64 v3, v3, v15, s[40:41]
	v_cndmask_b32_e64 v4, v4, v13, s[40:41]
	s_and_b64 vcc, exec, s[30:31]
	s_mov_b64 s[30:31], 0
	s_cbranch_vccnz .LBB4_1533
.LBB4_1534:                             ;   in Loop: Header=BB4_1523 Depth=3
	s_or_b64 exec, exec, s[94:95]
	buffer_load_ushort v13, off, s[0:3], s33 offset:64
	buffer_load_ushort v15, off, s[0:3], s33 offset:96
	s_waitcnt vmcnt(0)
	v_lshlrev_b32_e32 v13, 16, v13
	v_lshlrev_b32_e32 v15, 16, v15
	v_max_f32_e32 v15, v15, v15
	v_max_f32_e32 v13, v13, v13
	v_min_f32_e32 v18, v13, v15
	v_max_f32_e32 v13, v13, v15
	v_cndmask_b32_e64 v13, v13, v18, s[28:29]
	v_and_b32_e32 v15, 0x7f800000, v13
	v_cmp_ne_u32_e32 vcc, s57, v15
                                        ; implicit-def: $vgpr15
	s_and_saveexec_b64 s[8:9], vcc
	s_xor_b64 s[40:41], exec, s[8:9]
; %bb.1535:                             ;   in Loop: Header=BB4_1523 Depth=3
	v_bfe_u32 v15, v13, 16, 1
	v_add3_u32 v15, v13, v15, s46
                                        ; implicit-def: $vgpr13
; %bb.1536:                             ;   in Loop: Header=BB4_1523 Depth=3
	s_andn2_saveexec_b64 s[40:41], s[40:41]
	s_cbranch_execz .LBB4_1522
; %bb.1537:                             ;   in Loop: Header=BB4_1523 Depth=3
	v_or_b32_e32 v15, 0x10000, v13
	v_cmp_eq_u32_sdwa vcc, v13, v2 src0_sel:WORD_0 src1_sel:DWORD
	v_cndmask_b32_e32 v15, v15, v13, vcc
	s_branch .LBB4_1522
.LBB4_1538:                             ;   in Loop: Header=BB4_816 Depth=2
	s_or_b64 exec, exec, s[44:45]
	s_and_b64 exec, exec, s[90:91]
	s_cbranch_execz .LBB4_1544
; %bb.1539:                             ;   in Loop: Header=BB4_816 Depth=2
	buffer_load_ushort v0, off, s[0:3], s33 offset:56
	buffer_load_ushort v3, off, s[0:3], s33 offset:58
	s_waitcnt vmcnt(0)
	v_lshlrev_b32_e32 v0, 16, v0
	v_lshlrev_b32_e32 v3, 16, v3
	v_max_f32_e32 v3, v3, v3
	v_max_f32_e32 v0, v0, v0
	v_min_f32_e32 v4, v0, v3
	v_max_f32_e32 v0, v0, v3
	v_cndmask_b32_e64 v0, v0, v4, s[28:29]
	v_and_b32_e32 v3, 0x7f800000, v0
	v_cmp_ne_u32_e32 vcc, s57, v3
                                        ; implicit-def: $vgpr3
	s_and_saveexec_b64 s[8:9], vcc
	s_xor_b64 s[28:29], exec, s[8:9]
; %bb.1540:                             ;   in Loop: Header=BB4_816 Depth=2
	v_bfe_u32 v3, v0, 16, 1
	v_add3_u32 v3, v0, v3, s46
                                        ; implicit-def: $vgpr0
; %bb.1541:                             ;   in Loop: Header=BB4_816 Depth=2
	s_andn2_saveexec_b64 s[28:29], s[28:29]
; %bb.1542:                             ;   in Loop: Header=BB4_816 Depth=2
	v_or_b32_e32 v3, 0x10000, v0
	v_cmp_eq_u32_sdwa vcc, v0, v2 src0_sel:WORD_0 src1_sel:DWORD
	v_cndmask_b32_e32 v3, v3, v0, vcc
; %bb.1543:                             ;   in Loop: Header=BB4_816 Depth=2
	s_or_b64 exec, exec, s[28:29]
	flat_store_short_d16_hi v[8:9], v3 glc slc
.LBB4_1544:                             ;   in Loop: Header=BB4_816 Depth=2
	s_or_b64 exec, exec, s[42:43]
	v_cmp_lt_i32_e64 s[28:29], 0, v59
	s_and_saveexec_b64 s[40:41], s[10:11]
	s_cbranch_execz .LBB4_1563
.LBB4_1545:                             ;   in Loop: Header=BB4_816 Depth=2
	s_and_saveexec_b64 s[8:9], s[58:59]
	s_xor_b64 s[42:43], exec, s[8:9]
	s_cbranch_execz .LBB4_1560
; %bb.1546:                             ;   in Loop: Header=BB4_816 Depth=2
	s_and_saveexec_b64 s[44:45], s[16:17]
	s_cbranch_execz .LBB4_1559
; %bb.1547:                             ;   in Loop: Header=BB4_816 Depth=2
	s_mov_b64 s[92:93], exec
	s_waitcnt vmcnt(0)
	v_mbcnt_lo_u32_b32 v0, s92, 0
	v_mbcnt_hi_u32_b32 v0, s93, v0
	v_cmp_eq_u32_e32 vcc, 0, v0
	s_waitcnt lgkmcnt(0)
	buffer_wbinvl1_vol
	s_and_saveexec_b64 s[90:91], vcc
	s_cbranch_execz .LBB4_1549
; %bb.1548:                             ;   in Loop: Header=BB4_816 Depth=2
	s_bcnt1_i32_b64 s8, s[92:93]
	v_mov_b32_e32 v3, s8
	v_mov_b32_e32 v4, v2
	ds_add_u64 v0, v[3:4]
	s_trap 2
.LBB4_1549:                             ;   in Loop: Header=BB4_816 Depth=2
	s_or_b64 exec, exec, s[90:91]
	s_trap 2
	ds_read_b64 v[3:4], v0
	s_waitcnt lgkmcnt(0)
	v_add_co_u32_e32 v48, vcc, v48, v57
	v_addc_co_u32_e32 v49, vcc, 0, v49, vcc
	v_cmp_lt_u64_e32 vcc, v[3:4], v[48:49]
	s_and_saveexec_b64 s[90:91], vcc
	s_cbranch_execz .LBB4_1558
; %bb.1550:                             ;   in Loop: Header=BB4_816 Depth=2
	s_mov_b32 s8, 0
	s_mov_b64 s[92:93], 0
                                        ; implicit-def: $sgpr94_sgpr95
                                        ; implicit-def: $sgpr30_sgpr31
	s_branch .LBB4_1552
.LBB4_1551:                             ;   in Loop: Header=BB4_1552 Depth=3
	s_or_b64 exec, exec, s[36:37]
	s_and_b64 vcc, exec, vcc
	s_or_b64 s[92:93], vcc, s[92:93]
	s_andn2_b64 s[94:95], s[94:95], exec
	s_and_b64 vcc, s[30:31], exec
	s_or_b64 s[94:95], s[94:95], vcc
	s_andn2_b64 exec, exec, s[92:93]
	s_cbranch_execz .LBB4_1556
.LBB4_1552:                             ;   Parent Loop BB4_47 Depth=1
                                        ;     Parent Loop BB4_816 Depth=2
                                        ; =>    This Inner Loop Header: Depth=3
	s_add_i32 s8, s8, 1
	s_cmpk_lg_i32 s8, 0x2710
	s_cselect_b64 s[34:35], -1, 0
	s_and_b64 vcc, exec, s[34:35]
	s_cbranch_vccz .LBB4_1554
; %bb.1553:                             ;   in Loop: Header=BB4_1552 Depth=3
	s_mov_b64 vcc, -1
	s_or_b64 s[30:31], s[30:31], exec
	s_and_saveexec_b64 s[36:37], s[34:35]
	s_cbranch_execz .LBB4_1551
	s_branch .LBB4_1555
.LBB4_1554:                             ;   in Loop: Header=BB4_1552 Depth=3
	s_trap 2
	ds_read_b64 v[3:4], v0
	s_andn2_b64 s[34:35], s[34:35], exec
	s_mov_b32 s8, 0
	s_waitcnt lgkmcnt(0)
	flat_load_dword v0, v[3:4] glc
	s_waitcnt vmcnt(0) lgkmcnt(0)
	buffer_wbinvl1_vol
	v_cmp_eq_u32_e32 vcc, 0, v0
	s_and_b64 vcc, vcc, exec
	s_or_b64 s[34:35], s[34:35], vcc
	s_mov_b64 vcc, -1
	s_or_b64 s[30:31], s[30:31], exec
	s_and_saveexec_b64 s[36:37], s[34:35]
	s_cbranch_execz .LBB4_1551
.LBB4_1555:                             ;   in Loop: Header=BB4_1552 Depth=3
	s_sleep 1
	s_trap 2
	ds_read_b64 v[3:4], v0
	s_waitcnt lgkmcnt(0)
	s_andn2_b64 s[30:31], s[30:31], exec
	v_cmp_ge_u64_e32 vcc, v[3:4], v[48:49]
	s_orn2_b64 vcc, vcc, exec
	s_branch .LBB4_1551
.LBB4_1556:                             ;   in Loop: Header=BB4_816 Depth=2
	s_or_b64 exec, exec, s[92:93]
	s_and_saveexec_b64 s[8:9], s[94:95]
	s_xor_b64 s[8:9], exec, s[8:9]
	s_cbranch_execz .LBB4_1558
; %bb.1557:                             ;   in Loop: Header=BB4_816 Depth=2
	v_mov_b32_e32 v0, 1
	ds_write_b32 v0, v0
	s_trap 2
.LBB4_1558:                             ;   in Loop: Header=BB4_816 Depth=2
	s_or_b64 exec, exec, s[90:91]
	;;#ASMSTART
	s_wakeup
	;;#ASMEND
.LBB4_1559:                             ;   in Loop: Header=BB4_816 Depth=2
	s_or_b64 exec, exec, s[44:45]
.LBB4_1560:                             ;   in Loop: Header=BB4_816 Depth=2
	s_andn2_saveexec_b64 s[42:43], s[42:43]
	s_cbranch_execz .LBB4_1562
; %bb.1561:                             ;   in Loop: Header=BB4_816 Depth=2
	s_waitcnt vmcnt(0) lgkmcnt(0)
	buffer_wbinvl1_vol
	s_barrier
.LBB4_1562:                             ;   in Loop: Header=BB4_816 Depth=2
	s_or_b64 exec, exec, s[42:43]
.LBB4_1563:                             ;   in Loop: Header=BB4_816 Depth=2
	s_or_b64 exec, exec, s[40:41]
	s_waitcnt vmcnt(0)
	v_and_b32_e32 v0, 16, v5
	s_and_saveexec_b64 s[8:9], s[24:25]
	s_xor_b64 s[40:41], exec, s[8:9]
	s_cbranch_execz .LBB4_1567
; %bb.1564:                             ;   in Loop: Header=BB4_816 Depth=2
	v_and_b32_e32 v3, 16, v5
	v_cmp_ne_u32_e32 vcc, 0, v3
	v_and_b32_e32 v0, 16, v5
	s_and_b64 s[8:9], vcc, s[28:29]
	s_and_saveexec_b64 s[28:29], s[8:9]
	s_cbranch_execz .LBB4_1566
; %bb.1565:                             ;   in Loop: Header=BB4_816 Depth=2
	v_mov_b32_e32 v0, 1
	s_waitcnt lgkmcnt(0)
	buffer_wbinvl1_vol
.LBB4_1566:                             ;   in Loop: Header=BB4_816 Depth=2
	s_or_b64 exec, exec, s[28:29]
.LBB4_1567:                             ;   in Loop: Header=BB4_816 Depth=2
	s_andn2_saveexec_b64 s[28:29], s[40:41]
	s_cbranch_execz .LBB4_1586
; %bb.1568:                             ;   in Loop: Header=BB4_816 Depth=2
	s_and_saveexec_b64 s[8:9], s[58:59]
	s_xor_b64 s[40:41], exec, s[8:9]
	s_cbranch_execz .LBB4_1583
; %bb.1569:                             ;   in Loop: Header=BB4_816 Depth=2
	s_and_saveexec_b64 s[42:43], s[16:17]
	s_cbranch_execz .LBB4_1582
; %bb.1570:                             ;   in Loop: Header=BB4_816 Depth=2
	s_mov_b64 s[90:91], exec
	v_mbcnt_lo_u32_b32 v3, s90, 0
	v_mbcnt_hi_u32_b32 v3, s91, v3
	v_cmp_eq_u32_e32 vcc, 0, v3
	;;#ASMSTART
	s_waitcnt lgkmcnt(0) vmcnt(0)
	;;#ASMEND
	s_and_saveexec_b64 s[44:45], vcc
	s_cbranch_execz .LBB4_1572
; %bb.1571:                             ;   in Loop: Header=BB4_816 Depth=2
	s_bcnt1_i32_b64 s8, s[90:91]
	v_mov_b32_e32 v3, s8
	v_mov_b32_e32 v4, v2
	s_waitcnt lgkmcnt(0)
	ds_add_u64 v0, v[3:4]
	s_trap 2
.LBB4_1572:                             ;   in Loop: Header=BB4_816 Depth=2
	s_or_b64 exec, exec, s[44:45]
	s_trap 2
	ds_read_b64 v[3:4], v0
	s_waitcnt lgkmcnt(0)
	v_add_co_u32_e32 v48, vcc, v48, v57
	v_addc_co_u32_e32 v49, vcc, 0, v49, vcc
	v_cmp_lt_u64_e32 vcc, v[3:4], v[48:49]
	s_and_saveexec_b64 s[44:45], vcc
	s_cbranch_execz .LBB4_1581
; %bb.1573:                             ;   in Loop: Header=BB4_816 Depth=2
	s_mov_b32 s8, 0
	s_mov_b64 s[90:91], 0
                                        ; implicit-def: $sgpr92_sgpr93
                                        ; implicit-def: $sgpr94_sgpr95
	s_branch .LBB4_1575
.LBB4_1574:                             ;   in Loop: Header=BB4_1575 Depth=3
	s_or_b64 exec, exec, s[34:35]
	s_and_b64 vcc, exec, vcc
	s_or_b64 s[90:91], vcc, s[90:91]
	s_andn2_b64 s[92:93], s[92:93], exec
	s_and_b64 vcc, s[94:95], exec
	s_or_b64 s[92:93], s[92:93], vcc
	s_andn2_b64 exec, exec, s[90:91]
	s_cbranch_execz .LBB4_1579
.LBB4_1575:                             ;   Parent Loop BB4_47 Depth=1
                                        ;     Parent Loop BB4_816 Depth=2
                                        ; =>    This Inner Loop Header: Depth=3
	s_add_i32 s8, s8, 1
	s_cmpk_lg_i32 s8, 0x2710
	s_cselect_b64 s[30:31], -1, 0
	s_and_b64 vcc, exec, s[30:31]
	s_cbranch_vccz .LBB4_1577
; %bb.1576:                             ;   in Loop: Header=BB4_1575 Depth=3
	s_mov_b64 vcc, -1
	s_or_b64 s[94:95], s[94:95], exec
	s_and_saveexec_b64 s[34:35], s[30:31]
	s_cbranch_execz .LBB4_1574
	s_branch .LBB4_1578
.LBB4_1577:                             ;   in Loop: Header=BB4_1575 Depth=3
	s_trap 2
	ds_read_b64 v[3:4], v0
	s_andn2_b64 s[30:31], s[30:31], exec
	s_mov_b32 s8, 0
	s_waitcnt lgkmcnt(0)
	flat_load_dword v3, v[3:4] glc
	s_waitcnt vmcnt(0) lgkmcnt(0)
	buffer_wbinvl1_vol
	v_cmp_eq_u32_e32 vcc, 0, v3
	s_and_b64 vcc, vcc, exec
	s_or_b64 s[30:31], s[30:31], vcc
	s_mov_b64 vcc, -1
	s_or_b64 s[94:95], s[94:95], exec
	s_and_saveexec_b64 s[34:35], s[30:31]
	s_cbranch_execz .LBB4_1574
.LBB4_1578:                             ;   in Loop: Header=BB4_1575 Depth=3
	s_sleep 1
	s_trap 2
	ds_read_b64 v[3:4], v0
	s_waitcnt lgkmcnt(0)
	s_andn2_b64 s[94:95], s[94:95], exec
	v_cmp_ge_u64_e32 vcc, v[3:4], v[48:49]
	s_orn2_b64 vcc, vcc, exec
	s_branch .LBB4_1574
.LBB4_1579:                             ;   in Loop: Header=BB4_816 Depth=2
	s_or_b64 exec, exec, s[90:91]
	s_and_saveexec_b64 s[8:9], s[92:93]
	s_xor_b64 s[8:9], exec, s[8:9]
	s_cbranch_execz .LBB4_1581
; %bb.1580:                             ;   in Loop: Header=BB4_816 Depth=2
	v_mov_b32_e32 v3, 1
	ds_write_b32 v0, v3
	s_trap 2
.LBB4_1581:                             ;   in Loop: Header=BB4_816 Depth=2
	s_or_b64 exec, exec, s[44:45]
	;;#ASMSTART
	s_wakeup
	;;#ASMEND
.LBB4_1582:                             ;   in Loop: Header=BB4_816 Depth=2
	s_or_b64 exec, exec, s[42:43]
.LBB4_1583:                             ;   in Loop: Header=BB4_816 Depth=2
	s_andn2_saveexec_b64 s[40:41], s[40:41]
	s_cbranch_execz .LBB4_1585
; %bb.1584:                             ;   in Loop: Header=BB4_816 Depth=2
	;;#ASMSTART
	s_waitcnt lgkmcnt(0) vmcnt(0)
	;;#ASMEND
	s_waitcnt lgkmcnt(0)
	s_barrier
.LBB4_1585:                             ;   in Loop: Header=BB4_816 Depth=2
	s_or_b64 exec, exec, s[40:41]
.LBB4_1586:                             ;   in Loop: Header=BB4_816 Depth=2
	s_or_b64 exec, exec, s[28:29]
	v_cmp_ne_u32_e32 vcc, 0, v0
	s_xor_b64 s[8:9], s[12:13], -1
	s_and_b64 s[8:9], vcc, s[8:9]
	s_and_saveexec_b64 s[28:29], s[8:9]
	s_cbranch_execz .LBB4_1588
; %bb.1587:                             ;   in Loop: Header=BB4_816 Depth=2
	buffer_load_dword v3, off, s[0:3], s33 offset:164 ; 4-byte Folded Reload
	buffer_load_dword v4, off, s[0:3], s33 offset:168 ; 4-byte Folded Reload
	v_mov_b32_e32 v0, 1
	s_waitcnt vmcnt(0)
	flat_store_dword v[3:4], v0
.LBB4_1588:                             ;   in Loop: Header=BB4_816 Depth=2
	s_or_b64 exec, exec, s[28:29]
	v_and_b32_e32 v0, 48, v5
	v_cmp_ne_u32_e32 vcc, 0, v0
	s_and_saveexec_b64 s[28:29], vcc
	s_cbranch_execz .LBB4_815
; %bb.1589:                             ;   in Loop: Header=BB4_816 Depth=2
	v_add_co_u32_e32 v46, vcc, 2, v46
	v_addc_co_u32_e32 v47, vcc, 0, v47, vcc
	flat_store_dwordx2 v[32:33], v[46:47]
	s_branch .LBB4_815
.LBB4_1590:                             ;   in Loop: Header=BB4_47 Depth=1
	s_or_b64 exec, exec, s[76:77]
	v_cmp_gt_i32_e32 vcc, 2, v0
	s_and_saveexec_b64 s[40:41], vcc
	s_cbranch_execz .LBB4_1666
.LBB4_1591:                             ;   in Loop: Header=BB4_47 Depth=1
	v_cmp_eq_u32_e64 s[44:45], 0, v0
	s_mov_b64 s[42:43], 0
	s_branch .LBB4_1593
.LBB4_1592:                             ;   in Loop: Header=BB4_1593 Depth=2
	s_or_b64 exec, exec, s[28:29]
	v_add_u32_e32 v14, v12, v14
	s_mov_b64 s[44:45], 0
	s_andn2_b64 exec, exec, s[42:43]
	s_cbranch_execz .LBB4_1667
.LBB4_1593:                             ;   Parent Loop BB4_47 Depth=1
                                        ; =>  This Loop Header: Depth=2
                                        ;       Child Loop BB4_1599 Depth 3
                                        ;       Child Loop BB4_1627 Depth 3
	;; [unrolled: 1-line block ×3, first 2 shown]
	v_sub_u32_e32 v0, v58, v14
	v_min_i32_e32 v12, v12, v0
	v_and_b32_e32 v0, 12, v5
	v_cmp_ne_u32_e32 vcc, 0, v0
	s_and_saveexec_b64 s[76:77], vcc
	s_cbranch_execz .LBB4_1619
; %bb.1594:                             ;   in Loop: Header=BB4_1593 Depth=2
	v_and_b32_e32 v0, 8, v5
	s_waitcnt lgkmcnt(0)
	v_add_co_u32_e32 v3, vcc, v38, v0
	v_addc_co_u32_e32 v4, vcc, 0, v39, vcc
	v_add_co_u32_e32 v8, vcc, 2, v46
	v_addc_co_u32_e32 v9, vcc, 0, v47, vcc
	v_cmp_lt_u64_e32 vcc, v[3:4], v[8:9]
	s_and_saveexec_b64 s[78:79], vcc
	s_cbranch_execz .LBB4_1606
; %bb.1595:                             ;   in Loop: Header=BB4_1593 Depth=2
	v_and_b32_e32 v3, 64, v5
	s_mov_b32 s8, 0
	v_cmp_eq_u32_e32 vcc, 0, v3
	s_mov_b64 s[88:89], 0
                                        ; implicit-def: $sgpr90_sgpr91
                                        ; implicit-def: $sgpr92_sgpr93
                                        ; implicit-def: $sgpr94_sgpr95
	s_branch .LBB4_1599
.LBB4_1596:                             ;   in Loop: Header=BB4_1599 Depth=3
	s_waitcnt vmcnt(0) lgkmcnt(0)
	v_add_co_u32_e64 v10, s[28:29], v38, v0
	v_addc_co_u32_e64 v11, s[28:29], 0, v39, s[28:29]
	v_cmp_ge_u64_e64 s[28:29], v[10:11], v[8:9]
	s_or_b64 s[36:37], s[36:37], exec
	s_orn2_b64 s[34:35], s[28:29], exec
.LBB4_1597:                             ;   in Loop: Header=BB4_1599 Depth=3
	s_or_b64 exec, exec, s[48:49]
	s_andn2_b64 s[28:29], s[94:95], exec
	s_and_b64 s[94:95], s[36:37], exec
	s_or_b64 s[94:95], s[28:29], s[94:95]
	s_andn2_b64 s[28:29], s[92:93], exec
	s_and_b64 s[92:93], s[34:35], exec
	s_or_b64 s[92:93], s[28:29], s[92:93]
.LBB4_1598:                             ;   in Loop: Header=BB4_1599 Depth=3
	s_or_b64 exec, exec, s[30:31]
	s_and_b64 s[28:29], exec, s[92:93]
	s_or_b64 s[88:89], s[28:29], s[88:89]
	s_andn2_b64 s[28:29], s[90:91], exec
	s_and_b64 s[90:91], s[94:95], exec
	s_or_b64 s[90:91], s[28:29], s[90:91]
	s_andn2_b64 exec, exec, s[88:89]
	s_cbranch_execz .LBB4_1603
.LBB4_1599:                             ;   Parent Loop BB4_47 Depth=1
                                        ;     Parent Loop BB4_1593 Depth=2
                                        ; =>    This Inner Loop Header: Depth=3
	s_sleep 1
	s_waitcnt vmcnt(0) lgkmcnt(0)
	flat_load_dwordx2 v[38:39], v[32:33] glc
	s_or_b64 s[94:95], s[94:95], exec
	s_or_b64 s[92:93], s[92:93], exec
                                        ; implicit-def: $vgpr3
	s_and_saveexec_b64 s[30:31], vcc
	s_cbranch_execz .LBB4_1598
; %bb.1600:                             ;   in Loop: Header=BB4_1599 Depth=3
	s_cmpk_lt_i32 s8, 0x270f
	s_cselect_b64 s[38:39], -1, 0
	s_cmpk_gt_i32 s8, 0x270e
	s_mov_b64 s[34:35], -1
	s_cbranch_scc0 .LBB4_1602
; %bb.1601:                             ;   in Loop: Header=BB4_1599 Depth=3
	s_trap 2
	ds_read_b64 v[3:4], v0
	s_andn2_b64 s[38:39], s[38:39], exec
	s_mov_b32 s8, 0
	s_mov_b64 s[36:37], 0
	s_waitcnt vmcnt(0) lgkmcnt(0)
	flat_load_dword v3, v[3:4] glc
	s_waitcnt vmcnt(0) lgkmcnt(0)
	buffer_wbinvl1_vol
	v_cmp_eq_u32_e64 s[28:29], 0, v3
	s_and_b64 s[28:29], s[28:29], exec
	s_or_b64 s[38:39], s[38:39], s[28:29]
	s_and_saveexec_b64 s[48:49], s[38:39]
	s_cbranch_execz .LBB4_1597
	s_branch .LBB4_1596
.LBB4_1602:                             ;   in Loop: Header=BB4_1599 Depth=3
	s_add_i32 s8, s8, 1
	s_mov_b64 s[36:37], -1
                                        ; implicit-def: $vgpr3
	s_and_saveexec_b64 s[48:49], s[38:39]
	s_cbranch_execz .LBB4_1597
	s_branch .LBB4_1596
.LBB4_1603:                             ;   in Loop: Header=BB4_1593 Depth=2
	s_or_b64 exec, exec, s[88:89]
	s_xor_b64 s[8:9], s[90:91], -1
	s_and_saveexec_b64 s[28:29], s[8:9]
	s_xor_b64 s[28:29], exec, s[28:29]
	s_cbranch_execz .LBB4_1605
; %bb.1604:                             ;   in Loop: Header=BB4_1593 Depth=2
	v_or_b32_e32 v5, 64, v5
	s_waitcnt lgkmcnt(0)
	ds_write_b32 v0, v3
	s_trap 2
.LBB4_1605:                             ;   in Loop: Header=BB4_1593 Depth=2
	s_or_b64 exec, exec, s[28:29]
.LBB4_1606:                             ;   in Loop: Header=BB4_1593 Depth=2
	s_or_b64 exec, exec, s[78:79]
	v_and_b32_e32 v3, 0x108, v5
	v_cmp_ne_u32_e32 vcc, s56, v3
	;;#ASMSTART
	s_wakeup
	;;#ASMEND
                                        ; implicit-def: $vgpr10_vgpr11
	s_and_saveexec_b64 s[8:9], vcc
	s_xor_b64 s[28:29], exec, s[8:9]
; %bb.1607:                             ;   in Loop: Header=BB4_1593 Depth=2
	v_and_b32_e32 v10, 7, v46
	v_mov_b32_e32 v11, v2
                                        ; implicit-def: $vgpr46_vgpr47
; %bb.1608:                             ;   in Loop: Header=BB4_1593 Depth=2
	s_andn2_saveexec_b64 s[28:29], s[28:29]
	s_cbranch_execz .LBB4_1610
; %bb.1609:                             ;   in Loop: Header=BB4_1593 Depth=2
	buffer_load_dword v15, off, s[0:3], s33 offset:148 ; 4-byte Folded Reload
	buffer_load_dword v16, off, s[0:3], s33 offset:152 ; 4-byte Folded Reload
	;; [unrolled: 1-line block ×4, first 2 shown]
	v_and_b32_e32 v10, 7, v46
	v_ashrrev_i32_e32 v13, 31, v12
	v_mov_b32_e32 v11, v2
	s_waitcnt vmcnt(0)
	v_mad_u64_u32 v[3:4], s[8:9], v10, 24, v[15:16]
	v_lshlrev_b64 v[15:16], 1, v[12:13]
	flat_store_dwordx2 v[3:4], v[15:16] offset:8
.LBB4_1610:                             ;   in Loop: Header=BB4_1593 Depth=2
	s_or_b64 exec, exec, s[28:29]
	v_and_b32_e32 v3, 0x100, v5
	v_cmp_ne_u32_e32 vcc, 0, v3
	s_mov_b64 s[28:29], -1
                                        ; implicit-def: $vgpr3_vgpr4
	s_and_saveexec_b64 s[78:79], vcc
	s_cbranch_execz .LBB4_1614
; %bb.1611:                             ;   in Loop: Header=BB4_1593 Depth=2
	buffer_load_dword v15, off, s[0:3], s33 offset:148 ; 4-byte Folded Reload
	buffer_load_dword v16, off, s[0:3], s33 offset:152 ; 4-byte Folded Reload
	;; [unrolled: 1-line block ×4, first 2 shown]
	s_waitcnt vmcnt(0)
	v_mad_u64_u32 v[15:16], s[8:9], v10, 24, v[15:16]
	v_mov_b32_e32 v3, v16
	v_mad_u64_u32 v[3:4], s[8:9], v11, 24, v[3:4]
	v_mov_b32_e32 v16, v3
	flat_load_dword v3, v[15:16]
	s_waitcnt vmcnt(0) lgkmcnt(0)
	v_cmp_ne_u32_e32 vcc, 1, v3
	v_cmp_eq_u32_e64 s[28:29], 1, v3
                                        ; implicit-def: $vgpr3_vgpr4
	s_and_saveexec_b64 s[88:89], s[28:29]
	s_cbranch_execz .LBB4_1613
; %bb.1612:                             ;   in Loop: Header=BB4_1593 Depth=2
	flat_load_dword v3, v[15:16] offset:4 glc
	s_waitcnt vmcnt(0) lgkmcnt(0)
	v_ashrrev_i32_e32 v4, 31, v3
	v_lshrrev_b64 v[3:4], 1, v[3:4]
.LBB4_1613:                             ;   in Loop: Header=BB4_1593 Depth=2
	s_or_b64 exec, exec, s[88:89]
	s_orn2_b64 s[28:29], vcc, exec
.LBB4_1614:                             ;   in Loop: Header=BB4_1593 Depth=2
	s_or_b64 exec, exec, s[78:79]
	s_and_saveexec_b64 s[78:79], s[28:29]
	s_cbranch_execz .LBB4_1616
; %bb.1615:                             ;   in Loop: Header=BB4_1593 Depth=2
	buffer_load_dword v3, off, s[0:3], s33 offset:172 ; 4-byte Folded Reload
	buffer_load_dword v4, off, s[0:3], s33 offset:176 ; 4-byte Folded Reload
	s_waitcnt vmcnt(0)
	v_mul_lo_u32 v11, v11, v3
	v_mul_lo_u32 v13, v10, v4
	v_mad_u64_u32 v[3:4], s[8:9], v10, v3, 0
	v_add3_u32 v4, v4, v13, v11
.LBB4_1616:                             ;   in Loop: Header=BB4_1593 Depth=2
	s_or_b64 exec, exec, s[78:79]
	v_cmp_eq_u32_e32 vcc, 0, v0
	v_mov_b32_e32 v0, 0x90
	v_mov_b32_e32 v10, 0xd0
	v_cndmask_b32_e32 v0, v10, v0, vcc
	buffer_load_dword v10, off, s[0:3], s33 offset:140 ; 4-byte Folded Reload
	buffer_load_dword v11, off, s[0:3], s33 offset:144 ; 4-byte Folded Reload
	v_lshlrev_b64 v[3:4], 1, v[3:4]
	v_add_u32_e32 v0, v0, v0
	s_waitcnt vmcnt(0)
	v_add_co_u32_e32 v3, vcc, v10, v3
	v_addc_co_u32_e32 v4, vcc, v11, v4, vcc
	ds_write_b64 v0, v[3:4] offset:584
	v_and_b32_e32 v0, 0x2000, v5
	v_cmp_ne_u32_e32 vcc, 0, v0
	s_and_saveexec_b64 s[28:29], vcc
	s_cbranch_execz .LBB4_1618
; %bb.1617:                             ;   in Loop: Header=BB4_1593 Depth=2
	ds_read_b64 v[3:4], v0 offset:872
	s_waitcnt lgkmcnt(0)
	v_add_co_u32_e32 v3, vcc, 1, v3
	v_addc_co_u32_e32 v4, vcc, 0, v4, vcc
	ds_write_b64 v0, v[3:4] offset:872
.LBB4_1618:                             ;   in Loop: Header=BB4_1593 Depth=2
	s_or_b64 exec, exec, s[28:29]
	v_mov_b32_e32 v47, v9
	v_mov_b32_e32 v46, v8
.LBB4_1619:                             ;   in Loop: Header=BB4_1593 Depth=2
	s_or_b64 exec, exec, s[76:77]
	s_xor_b64 s[8:9], s[44:45], -1
	s_and_b64 s[8:9], exec, s[8:9]
	s_or_b64 s[42:43], s[8:9], s[42:43]
	s_and_saveexec_b64 s[28:29], s[10:11]
	s_cbranch_execz .LBB4_1638
; %bb.1620:                             ;   in Loop: Header=BB4_1593 Depth=2
	s_and_saveexec_b64 s[8:9], s[58:59]
	s_xor_b64 s[44:45], exec, s[8:9]
	s_cbranch_execz .LBB4_1635
; %bb.1621:                             ;   in Loop: Header=BB4_1593 Depth=2
	s_and_saveexec_b64 s[76:77], s[16:17]
	s_cbranch_execz .LBB4_1634
; %bb.1622:                             ;   in Loop: Header=BB4_1593 Depth=2
	s_mov_b64 s[88:89], exec
	v_mbcnt_lo_u32_b32 v0, s88, 0
	v_mbcnt_hi_u32_b32 v0, s89, v0
	v_cmp_eq_u32_e32 vcc, 0, v0
	s_waitcnt vmcnt(0) lgkmcnt(0)
	buffer_wbinvl1_vol
	s_and_saveexec_b64 s[78:79], vcc
	s_cbranch_execz .LBB4_1624
; %bb.1623:                             ;   in Loop: Header=BB4_1593 Depth=2
	s_bcnt1_i32_b64 s8, s[88:89]
	v_mov_b32_e32 v3, s8
	v_mov_b32_e32 v4, v2
	ds_add_u64 v0, v[3:4]
	s_trap 2
.LBB4_1624:                             ;   in Loop: Header=BB4_1593 Depth=2
	s_or_b64 exec, exec, s[78:79]
	s_trap 2
	ds_read_b64 v[3:4], v0
	s_waitcnt lgkmcnt(0)
	v_add_co_u32_e32 v48, vcc, v48, v57
	v_addc_co_u32_e32 v49, vcc, 0, v49, vcc
	v_cmp_lt_u64_e32 vcc, v[3:4], v[48:49]
	s_and_saveexec_b64 s[78:79], vcc
	s_cbranch_execz .LBB4_1633
; %bb.1625:                             ;   in Loop: Header=BB4_1593 Depth=2
	s_mov_b32 s8, 0
	s_mov_b64 s[88:89], 0
                                        ; implicit-def: $sgpr90_sgpr91
                                        ; implicit-def: $sgpr92_sgpr93
	s_branch .LBB4_1627
.LBB4_1626:                             ;   in Loop: Header=BB4_1627 Depth=3
	s_or_b64 exec, exec, s[30:31]
	s_and_b64 s[94:95], exec, vcc
	s_or_b64 s[88:89], s[94:95], s[88:89]
	s_andn2_b64 s[90:91], s[90:91], exec
	s_and_b64 s[94:95], s[92:93], exec
	s_or_b64 s[90:91], s[90:91], s[94:95]
	s_andn2_b64 exec, exec, s[88:89]
	s_cbranch_execz .LBB4_1631
.LBB4_1627:                             ;   Parent Loop BB4_47 Depth=1
                                        ;     Parent Loop BB4_1593 Depth=2
                                        ; =>    This Inner Loop Header: Depth=3
	s_add_i32 s8, s8, 1
	s_cmpk_lg_i32 s8, 0x2710
	s_cselect_b64 s[94:95], -1, 0
	s_and_b64 vcc, exec, s[94:95]
	s_cbranch_vccz .LBB4_1629
; %bb.1628:                             ;   in Loop: Header=BB4_1627 Depth=3
	s_mov_b64 vcc, -1
	s_or_b64 s[92:93], s[92:93], exec
	s_and_saveexec_b64 s[30:31], s[94:95]
	s_cbranch_execz .LBB4_1626
	s_branch .LBB4_1630
.LBB4_1629:                             ;   in Loop: Header=BB4_1627 Depth=3
	s_trap 2
	ds_read_b64 v[3:4], v0
	s_andn2_b64 s[94:95], s[94:95], exec
	s_mov_b32 s8, 0
	s_waitcnt lgkmcnt(0)
	flat_load_dword v0, v[3:4] glc
	s_waitcnt vmcnt(0) lgkmcnt(0)
	buffer_wbinvl1_vol
	v_cmp_eq_u32_e32 vcc, 0, v0
	s_and_b64 vcc, vcc, exec
	s_or_b64 s[94:95], s[94:95], vcc
	s_mov_b64 vcc, -1
	s_or_b64 s[92:93], s[92:93], exec
	s_and_saveexec_b64 s[30:31], s[94:95]
	s_cbranch_execz .LBB4_1626
.LBB4_1630:                             ;   in Loop: Header=BB4_1627 Depth=3
	s_sleep 1
	s_trap 2
	ds_read_b64 v[3:4], v0
	s_waitcnt lgkmcnt(0)
	s_andn2_b64 s[92:93], s[92:93], exec
	v_cmp_ge_u64_e32 vcc, v[3:4], v[48:49]
	s_orn2_b64 vcc, vcc, exec
	s_branch .LBB4_1626
.LBB4_1631:                             ;   in Loop: Header=BB4_1593 Depth=2
	s_or_b64 exec, exec, s[88:89]
	s_and_saveexec_b64 s[8:9], s[90:91]
	s_xor_b64 s[8:9], exec, s[8:9]
	s_cbranch_execz .LBB4_1633
; %bb.1632:                             ;   in Loop: Header=BB4_1593 Depth=2
	v_mov_b32_e32 v0, 1
	ds_write_b32 v0, v0
	s_trap 2
.LBB4_1633:                             ;   in Loop: Header=BB4_1593 Depth=2
	s_or_b64 exec, exec, s[78:79]
	;;#ASMSTART
	s_wakeup
	;;#ASMEND
.LBB4_1634:                             ;   in Loop: Header=BB4_1593 Depth=2
	s_or_b64 exec, exec, s[76:77]
.LBB4_1635:                             ;   in Loop: Header=BB4_1593 Depth=2
	s_andn2_saveexec_b64 s[44:45], s[44:45]
	s_cbranch_execz .LBB4_1637
; %bb.1636:                             ;   in Loop: Header=BB4_1593 Depth=2
	s_waitcnt vmcnt(0) lgkmcnt(0)
	buffer_wbinvl1_vol
	s_barrier
.LBB4_1637:                             ;   in Loop: Header=BB4_1593 Depth=2
	s_or_b64 exec, exec, s[44:45]
.LBB4_1638:                             ;   in Loop: Header=BB4_1593 Depth=2
	s_or_b64 exec, exec, s[28:29]
	v_and_b32_e32 v0, 16, v5
	s_and_saveexec_b64 s[8:9], s[24:25]
	s_xor_b64 s[28:29], exec, s[8:9]
	s_cbranch_execz .LBB4_1642
; %bb.1639:                             ;   in Loop: Header=BB4_1593 Depth=2
	s_trap 2
	ds_read_b32 v0, v0
	v_cmp_lt_i32_e32 vcc, 0, v12
	v_and_b32_e32 v3, 16, v5
	s_waitcnt lgkmcnt(0)
	v_readfirstlane_b32 s8, v0
	s_cmp_eq_u32 s8, 0
	s_cselect_b64 s[8:9], -1, 0
	s_and_b64 s[8:9], vcc, s[8:9]
	v_cmp_ne_u32_e32 vcc, 0, v3
	v_and_b32_e32 v0, 16, v5
	s_and_b64 s[8:9], vcc, s[8:9]
	s_and_saveexec_b64 s[44:45], s[8:9]
	s_cbranch_execz .LBB4_1641
; %bb.1640:                             ;   in Loop: Header=BB4_1593 Depth=2
	v_mov_b32_e32 v0, 1
	s_waitcnt vmcnt(0)
	buffer_wbinvl1_vol
.LBB4_1641:                             ;   in Loop: Header=BB4_1593 Depth=2
	s_or_b64 exec, exec, s[44:45]
.LBB4_1642:                             ;   in Loop: Header=BB4_1593 Depth=2
	s_andn2_saveexec_b64 s[28:29], s[28:29]
	s_cbranch_execz .LBB4_1661
; %bb.1643:                             ;   in Loop: Header=BB4_1593 Depth=2
	s_and_saveexec_b64 s[8:9], s[58:59]
	s_xor_b64 s[44:45], exec, s[8:9]
	s_cbranch_execz .LBB4_1658
; %bb.1644:                             ;   in Loop: Header=BB4_1593 Depth=2
	s_and_saveexec_b64 s[76:77], s[16:17]
	s_cbranch_execz .LBB4_1657
; %bb.1645:                             ;   in Loop: Header=BB4_1593 Depth=2
	s_mov_b64 s[88:89], exec
	v_mbcnt_lo_u32_b32 v3, s88, 0
	v_mbcnt_hi_u32_b32 v3, s89, v3
	v_cmp_eq_u32_e32 vcc, 0, v3
	;;#ASMSTART
	s_waitcnt lgkmcnt(0) vmcnt(0)
	;;#ASMEND
	s_and_saveexec_b64 s[78:79], vcc
	s_cbranch_execz .LBB4_1647
; %bb.1646:                             ;   in Loop: Header=BB4_1593 Depth=2
	s_bcnt1_i32_b64 s8, s[88:89]
	v_mov_b32_e32 v3, s8
	v_mov_b32_e32 v4, v2
	s_waitcnt lgkmcnt(0)
	ds_add_u64 v0, v[3:4]
	s_trap 2
.LBB4_1647:                             ;   in Loop: Header=BB4_1593 Depth=2
	s_or_b64 exec, exec, s[78:79]
	s_trap 2
	ds_read_b64 v[3:4], v0
	s_waitcnt lgkmcnt(0)
	v_add_co_u32_e32 v48, vcc, v48, v57
	v_addc_co_u32_e32 v49, vcc, 0, v49, vcc
	v_cmp_lt_u64_e32 vcc, v[3:4], v[48:49]
	s_and_saveexec_b64 s[78:79], vcc
	s_cbranch_execz .LBB4_1656
; %bb.1648:                             ;   in Loop: Header=BB4_1593 Depth=2
	s_mov_b32 s8, 0
	s_mov_b64 s[88:89], 0
                                        ; implicit-def: $sgpr90_sgpr91
                                        ; implicit-def: $sgpr92_sgpr93
	s_branch .LBB4_1650
.LBB4_1649:                             ;   in Loop: Header=BB4_1650 Depth=3
	s_or_b64 exec, exec, s[30:31]
	s_and_b64 s[94:95], exec, vcc
	s_or_b64 s[88:89], s[94:95], s[88:89]
	s_andn2_b64 s[90:91], s[90:91], exec
	s_and_b64 s[94:95], s[92:93], exec
	s_or_b64 s[90:91], s[90:91], s[94:95]
	s_andn2_b64 exec, exec, s[88:89]
	s_cbranch_execz .LBB4_1654
.LBB4_1650:                             ;   Parent Loop BB4_47 Depth=1
                                        ;     Parent Loop BB4_1593 Depth=2
                                        ; =>    This Inner Loop Header: Depth=3
	s_add_i32 s8, s8, 1
	s_cmpk_lg_i32 s8, 0x2710
	s_cselect_b64 s[94:95], -1, 0
	s_and_b64 vcc, exec, s[94:95]
	s_cbranch_vccz .LBB4_1652
; %bb.1651:                             ;   in Loop: Header=BB4_1650 Depth=3
	s_mov_b64 vcc, -1
	s_or_b64 s[92:93], s[92:93], exec
	s_and_saveexec_b64 s[30:31], s[94:95]
	s_cbranch_execz .LBB4_1649
	s_branch .LBB4_1653
.LBB4_1652:                             ;   in Loop: Header=BB4_1650 Depth=3
	s_trap 2
	ds_read_b64 v[3:4], v0
	s_andn2_b64 s[94:95], s[94:95], exec
	s_mov_b32 s8, 0
	s_waitcnt vmcnt(0) lgkmcnt(0)
	flat_load_dword v3, v[3:4] glc
	s_waitcnt vmcnt(0) lgkmcnt(0)
	buffer_wbinvl1_vol
	v_cmp_eq_u32_e32 vcc, 0, v3
	s_and_b64 vcc, vcc, exec
	s_or_b64 s[94:95], s[94:95], vcc
	s_mov_b64 vcc, -1
	s_or_b64 s[92:93], s[92:93], exec
	s_and_saveexec_b64 s[30:31], s[94:95]
	s_cbranch_execz .LBB4_1649
.LBB4_1653:                             ;   in Loop: Header=BB4_1650 Depth=3
	s_sleep 1
	s_trap 2
	ds_read_b64 v[3:4], v0
	s_waitcnt lgkmcnt(0)
	s_andn2_b64 s[92:93], s[92:93], exec
	v_cmp_ge_u64_e32 vcc, v[3:4], v[48:49]
	s_orn2_b64 vcc, vcc, exec
	s_branch .LBB4_1649
.LBB4_1654:                             ;   in Loop: Header=BB4_1593 Depth=2
	s_or_b64 exec, exec, s[88:89]
	s_and_saveexec_b64 s[8:9], s[90:91]
	s_xor_b64 s[8:9], exec, s[8:9]
	s_cbranch_execz .LBB4_1656
; %bb.1655:                             ;   in Loop: Header=BB4_1593 Depth=2
	v_mov_b32_e32 v3, 1
	ds_write_b32 v0, v3
	s_trap 2
.LBB4_1656:                             ;   in Loop: Header=BB4_1593 Depth=2
	s_or_b64 exec, exec, s[78:79]
	;;#ASMSTART
	s_wakeup
	;;#ASMEND
.LBB4_1657:                             ;   in Loop: Header=BB4_1593 Depth=2
	s_or_b64 exec, exec, s[76:77]
.LBB4_1658:                             ;   in Loop: Header=BB4_1593 Depth=2
	s_andn2_saveexec_b64 s[44:45], s[44:45]
	s_cbranch_execz .LBB4_1660
; %bb.1659:                             ;   in Loop: Header=BB4_1593 Depth=2
	;;#ASMSTART
	s_waitcnt lgkmcnt(0) vmcnt(0)
	;;#ASMEND
	s_waitcnt vmcnt(0) lgkmcnt(0)
	s_barrier
.LBB4_1660:                             ;   in Loop: Header=BB4_1593 Depth=2
	s_or_b64 exec, exec, s[44:45]
.LBB4_1661:                             ;   in Loop: Header=BB4_1593 Depth=2
	s_or_b64 exec, exec, s[28:29]
	v_cmp_ne_u32_e32 vcc, 0, v0
	s_xor_b64 s[8:9], s[12:13], -1
	s_and_b64 s[8:9], vcc, s[8:9]
	s_and_saveexec_b64 s[28:29], s[8:9]
	s_cbranch_execz .LBB4_1663
; %bb.1662:                             ;   in Loop: Header=BB4_1593 Depth=2
	buffer_load_dword v3, off, s[0:3], s33 offset:164 ; 4-byte Folded Reload
	buffer_load_dword v4, off, s[0:3], s33 offset:168 ; 4-byte Folded Reload
	v_mov_b32_e32 v0, 1
	s_waitcnt vmcnt(0)
	flat_store_dword v[3:4], v0
.LBB4_1663:                             ;   in Loop: Header=BB4_1593 Depth=2
	s_or_b64 exec, exec, s[28:29]
	v_and_b32_e32 v0, 48, v5
	v_cmp_ne_u32_e32 vcc, 0, v0
	s_and_saveexec_b64 s[28:29], vcc
	s_cbranch_execz .LBB4_1592
; %bb.1664:                             ;   in Loop: Header=BB4_1593 Depth=2
	v_add_co_u32_e32 v46, vcc, 2, v46
	v_addc_co_u32_e32 v47, vcc, 0, v47, vcc
	flat_store_dwordx2 v[32:33], v[46:47]
	s_branch .LBB4_1592
.LBB4_1665:                             ;   in Loop: Header=BB4_47 Depth=1
	s_or_b64 exec, exec, s[78:79]
	s_or_b64 exec, exec, s[76:77]
	v_cmp_gt_i32_e32 vcc, 2, v0
	s_and_saveexec_b64 s[40:41], vcc
	s_cbranch_execnz .LBB4_1591
.LBB4_1666:                             ;   in Loop: Header=BB4_47 Depth=1
	s_or_b64 exec, exec, s[40:41]
	s_and_b64 vcc, exec, s[26:27]
	s_cbranch_vccz .LBB4_1668
	s_branch .LBB4_1997
.LBB4_1667:                             ;   in Loop: Header=BB4_47 Depth=1
	s_or_b64 exec, exec, s[42:43]
	s_or_b64 exec, exec, s[40:41]
	s_and_b64 vcc, exec, s[26:27]
	s_cbranch_vccnz .LBB4_1997
.LBB4_1668:                             ;   in Loop: Header=BB4_47 Depth=1
	s_mov_b32 s9, 1
.LBB4_1669:                             ;   Parent Loop BB4_47 Depth=1
                                        ; =>  This Loop Header: Depth=2
                                        ;       Child Loop BB4_1672 Depth 3
                                        ;         Child Loop BB4_1680 Depth 4
                                        ;         Child Loop BB4_1708 Depth 4
	;; [unrolled: 1-line block ×4, first 2 shown]
                                        ;           Child Loop BB4_1752 Depth 5
                                        ;           Child Loop BB4_1757 Depth 5
                                        ;         Child Loop BB4_1770 Depth 4
                                        ;         Child Loop BB4_1775 Depth 4
                                        ;           Child Loop BB4_1777 Depth 5
                                        ;           Child Loop BB4_1782 Depth 5
                                        ;         Child Loop BB4_1788 Depth 4
                                        ;         Child Loop BB4_1796 Depth 4
                                        ;         Child Loop BB4_1806 Depth 4
                                        ;           Child Loop BB4_1808 Depth 5
                                        ;           Child Loop BB4_1813 Depth 5
                                        ;         Child Loop BB4_1817 Depth 4
                                        ;         Child Loop BB4_1829 Depth 4
	;; [unrolled: 1-line block ×7, first 2 shown]
                                        ;       Child Loop BB4_1921 Depth 3
                                        ;         Child Loop BB4_1927 Depth 4
                                        ;         Child Loop BB4_1955 Depth 4
	;; [unrolled: 1-line block ×3, first 2 shown]
	buffer_load_dword v10, off, s[0:3], s33 offset:224 ; 4-byte Folded Reload
	buffer_load_dword v11, off, s[0:3], s33 offset:228 ; 4-byte Folded Reload
	s_sub_i32 s8, s55, s9
	s_cmp_ge_i32 s8, s50
	s_cselect_b32 s26, s50, 0
	s_sub_i32 s8, s8, s26
	s_ashr_i32 s28, s8, 31
	v_mov_b32_e32 v26, 0
	s_waitcnt vmcnt(0)
	v_mad_u64_u32 v[3:4], s[26:27], v10, s8, 0
	v_mul_lo_u32 v0, v11, s8
	s_waitcnt lgkmcnt(0)
	v_mul_lo_u32 v8, v10, s28
	v_add3_u32 v4, v4, v8, v0
	buffer_load_dword v8, off, s[0:3], s33 offset:216 ; 4-byte Folded Reload
	buffer_load_dword v9, off, s[0:3], s33 offset:220 ; 4-byte Folded Reload
	s_waitcnt vmcnt(1)
	v_sub_co_u32_e32 v8, vcc, v8, v3
	s_waitcnt vmcnt(0)
	v_subb_co_u32_e32 v9, vcc, v9, v4, vcc
	v_cmp_lt_i64_e32 vcc, v[10:11], v[8:9]
	v_cndmask_b32_e32 v0, v8, v10, vcc
	v_max_i32_e32 v56, 0, v0
	v_add_u32_e32 v8, 31, v56
	v_lshrrev_b32_e32 v8, 1, v8
	v_and_b32_e32 v8, 0x3ffffff0, v8
	v_cmp_lt_i32_e32 vcc, 0, v0
	v_max_i32_e32 v60, s66, v8
	s_and_b64 s[26:27], s[74:75], vcc
	v_mov_b32_e32 v0, 0
	s_and_saveexec_b64 s[42:43], s[26:27]
	s_cbranch_execz .LBB4_1918
; %bb.1670:                             ;   in Loop: Header=BB4_1669 Depth=2
	buffer_load_dword v8, off, s[0:3], s33 offset:192 ; 4-byte Folded Reload
	buffer_load_dword v9, off, s[0:3], s33 offset:196 ; 4-byte Folded Reload
	s_mov_b32 s8, 1
	s_mov_b64 s[76:77], -1
	v_mov_b32_e32 v26, 0
	s_mov_b64 s[44:45], 0
	s_waitcnt vmcnt(1)
	v_add_co_u32_e32 v3, vcc, v3, v8
	s_waitcnt vmcnt(0)
	v_addc_co_u32_e32 v4, vcc, v4, v9, vcc
	v_lshlrev_b64 v[28:29], 1, v[3:4]
	s_branch .LBB4_1672
.LBB4_1671:                             ;   in Loop: Header=BB4_1672 Depth=3
	s_or_b64 exec, exec, s[26:27]
	v_add_u32_e32 v26, v60, v26
	v_cmp_ge_i32_e32 vcc, v26, v56
	s_xor_b64 s[26:27], s[76:77], -1
	s_or_b64 s[26:27], s[26:27], vcc
	s_and_b64 s[26:27], exec, s[26:27]
	s_or_b64 s[44:45], s[26:27], s[44:45]
	s_mov_b64 s[76:77], 0
	v_mov_b32_e32 v0, s8
	s_mov_b32 s8, 2
	s_andn2_b64 exec, exec, s[44:45]
	s_cbranch_execz .LBB4_1993
.LBB4_1672:                             ;   Parent Loop BB4_47 Depth=1
                                        ;     Parent Loop BB4_1669 Depth=2
                                        ; =>    This Loop Header: Depth=3
                                        ;         Child Loop BB4_1680 Depth 4
                                        ;         Child Loop BB4_1708 Depth 4
	;; [unrolled: 1-line block ×4, first 2 shown]
                                        ;           Child Loop BB4_1752 Depth 5
                                        ;           Child Loop BB4_1757 Depth 5
                                        ;         Child Loop BB4_1770 Depth 4
                                        ;         Child Loop BB4_1775 Depth 4
                                        ;           Child Loop BB4_1777 Depth 5
                                        ;           Child Loop BB4_1782 Depth 5
                                        ;         Child Loop BB4_1788 Depth 4
                                        ;         Child Loop BB4_1796 Depth 4
	;; [unrolled: 1-line block ×3, first 2 shown]
                                        ;           Child Loop BB4_1808 Depth 5
                                        ;           Child Loop BB4_1813 Depth 5
                                        ;         Child Loop BB4_1817 Depth 4
                                        ;         Child Loop BB4_1829 Depth 4
	;; [unrolled: 1-line block ×7, first 2 shown]
	s_and_saveexec_b64 s[26:27], s[4:5]
	s_cbranch_execz .LBB4_1674
; %bb.1673:                             ;   in Loop: Header=BB4_1672 Depth=3
	s_trap 2
	ds_read_b128 v[8:11], v0
	v_ashrrev_i32_e32 v27, 31, v26
	v_lshlrev_b64 v[3:4], 1, v[26:27]
	s_waitcnt lgkmcnt(0)
	v_add_co_u32_e32 v0, vcc, v8, v28
	v_addc_co_u32_e32 v9, vcc, v9, v29, vcc
	v_add_co_u32_e32 v8, vcc, v0, v3
	v_addc_co_u32_e32 v9, vcc, v9, v4, vcc
	ds_write_b64 v0, v[8:9]
	v_add_co_u32_e32 v0, vcc, v10, v28
	v_addc_co_u32_e32 v8, vcc, v11, v29, vcc
	v_add_co_u32_e32 v0, vcc, v0, v3
	v_addc_co_u32_e32 v3, vcc, v8, v4, vcc
	v_cmp_ne_u64_e32 vcc, 0, v[10:11]
	v_cndmask_b32_e32 v4, 0, v3, vcc
	v_cndmask_b32_e32 v3, 0, v0, vcc
	ds_write_b64 v0, v[3:4]
.LBB4_1674:                             ;   in Loop: Header=BB4_1672 Depth=3
	s_or_b64 exec, exec, s[26:27]
	v_sub_u32_e32 v0, v56, v26
	v_min_i32_e32 v60, v60, v0
	v_and_b32_e32 v0, 12, v5
	v_cmp_ne_u32_e32 vcc, 0, v0
	s_and_saveexec_b64 s[28:29], vcc
	s_cbranch_execz .LBB4_1700
; %bb.1675:                             ;   in Loop: Header=BB4_1672 Depth=3
	v_and_b32_e32 v0, 8, v5
	v_add_co_u32_e32 v3, vcc, v38, v0
	v_addc_co_u32_e32 v4, vcc, 0, v39, vcc
	v_add_co_u32_e32 v8, vcc, 2, v46
	v_addc_co_u32_e32 v9, vcc, 0, v47, vcc
	v_cmp_lt_u64_e32 vcc, v[3:4], v[8:9]
	s_and_saveexec_b64 s[40:41], vcc
	s_cbranch_execz .LBB4_1687
; %bb.1676:                             ;   in Loop: Header=BB4_1672 Depth=3
	v_and_b32_e32 v3, 64, v5
	s_mov_b32 s48, 0
	v_cmp_eq_u32_e32 vcc, 0, v3
	s_mov_b64 s[78:79], 0
                                        ; implicit-def: $sgpr88_sgpr89
                                        ; implicit-def: $sgpr90_sgpr91
                                        ; implicit-def: $sgpr92_sgpr93
	s_branch .LBB4_1680
.LBB4_1677:                             ;   in Loop: Header=BB4_1680 Depth=4
	s_waitcnt vmcnt(0) lgkmcnt(0)
	v_add_co_u32_e64 v10, s[26:27], v38, v0
	v_addc_co_u32_e64 v11, s[26:27], 0, v39, s[26:27]
	v_cmp_ge_u64_e64 s[26:27], v[10:11], v[8:9]
	s_or_b64 s[34:35], s[34:35], exec
	s_orn2_b64 s[30:31], s[26:27], exec
.LBB4_1678:                             ;   in Loop: Header=BB4_1680 Depth=4
	s_or_b64 exec, exec, s[38:39]
	s_andn2_b64 s[26:27], s[92:93], exec
	s_and_b64 s[92:93], s[34:35], exec
	s_or_b64 s[92:93], s[26:27], s[92:93]
	s_andn2_b64 s[26:27], s[90:91], exec
	s_and_b64 s[90:91], s[30:31], exec
	s_or_b64 s[90:91], s[26:27], s[90:91]
.LBB4_1679:                             ;   in Loop: Header=BB4_1680 Depth=4
	s_or_b64 exec, exec, s[94:95]
	s_and_b64 s[26:27], exec, s[90:91]
	s_or_b64 s[78:79], s[26:27], s[78:79]
	s_andn2_b64 s[26:27], s[88:89], exec
	s_and_b64 s[88:89], s[92:93], exec
	s_or_b64 s[88:89], s[26:27], s[88:89]
	s_andn2_b64 exec, exec, s[78:79]
	s_cbranch_execz .LBB4_1684
.LBB4_1680:                             ;   Parent Loop BB4_47 Depth=1
                                        ;     Parent Loop BB4_1669 Depth=2
                                        ;       Parent Loop BB4_1672 Depth=3
                                        ; =>      This Inner Loop Header: Depth=4
	s_sleep 1
	s_waitcnt vmcnt(0) lgkmcnt(0)
	flat_load_dwordx2 v[38:39], v[32:33] glc
	s_or_b64 s[92:93], s[92:93], exec
	s_or_b64 s[90:91], s[90:91], exec
                                        ; implicit-def: $vgpr3
	s_and_saveexec_b64 s[94:95], vcc
	s_cbranch_execz .LBB4_1679
; %bb.1681:                             ;   in Loop: Header=BB4_1680 Depth=4
	s_cmpk_lt_i32 s48, 0x270f
	s_cselect_b64 s[36:37], -1, 0
	s_cmpk_gt_i32 s48, 0x270e
	s_mov_b64 s[30:31], -1
	s_cbranch_scc0 .LBB4_1683
; %bb.1682:                             ;   in Loop: Header=BB4_1680 Depth=4
	s_trap 2
	ds_read_b64 v[3:4], v0
	s_andn2_b64 s[36:37], s[36:37], exec
	s_mov_b32 s48, 0
	s_mov_b64 s[34:35], 0
	s_waitcnt vmcnt(0) lgkmcnt(0)
	flat_load_dword v3, v[3:4] glc
	s_waitcnt vmcnt(0) lgkmcnt(0)
	buffer_wbinvl1_vol
	v_cmp_eq_u32_e64 s[26:27], 0, v3
	s_and_b64 s[26:27], s[26:27], exec
	s_or_b64 s[36:37], s[36:37], s[26:27]
	s_and_saveexec_b64 s[38:39], s[36:37]
	s_cbranch_execz .LBB4_1678
	s_branch .LBB4_1677
.LBB4_1683:                             ;   in Loop: Header=BB4_1680 Depth=4
	s_add_i32 s48, s48, 1
	s_mov_b64 s[34:35], -1
                                        ; implicit-def: $vgpr3
	s_and_saveexec_b64 s[38:39], s[36:37]
	s_cbranch_execz .LBB4_1678
	s_branch .LBB4_1677
.LBB4_1684:                             ;   in Loop: Header=BB4_1672 Depth=3
	s_or_b64 exec, exec, s[78:79]
	s_xor_b64 s[26:27], s[88:89], -1
	s_and_saveexec_b64 s[78:79], s[26:27]
	s_xor_b64 s[26:27], exec, s[78:79]
	s_cbranch_execz .LBB4_1686
; %bb.1685:                             ;   in Loop: Header=BB4_1672 Depth=3
	v_or_b32_e32 v5, 64, v5
	s_waitcnt lgkmcnt(0)
	ds_write_b32 v0, v3
	s_trap 2
.LBB4_1686:                             ;   in Loop: Header=BB4_1672 Depth=3
	s_or_b64 exec, exec, s[26:27]
.LBB4_1687:                             ;   in Loop: Header=BB4_1672 Depth=3
	s_or_b64 exec, exec, s[40:41]
	v_and_b32_e32 v3, 0x108, v5
	v_cmp_ne_u32_e32 vcc, s56, v3
	;;#ASMSTART
	s_wakeup
	;;#ASMEND
                                        ; implicit-def: $vgpr10_vgpr11
	s_and_saveexec_b64 s[26:27], vcc
	s_xor_b64 s[26:27], exec, s[26:27]
; %bb.1688:                             ;   in Loop: Header=BB4_1672 Depth=3
	v_and_b32_e32 v10, 7, v46
	v_mov_b32_e32 v11, v2
                                        ; implicit-def: $vgpr46_vgpr47
; %bb.1689:                             ;   in Loop: Header=BB4_1672 Depth=3
	s_andn2_saveexec_b64 s[26:27], s[26:27]
	s_cbranch_execz .LBB4_1691
; %bb.1690:                             ;   in Loop: Header=BB4_1672 Depth=3
	buffer_load_dword v11, off, s[0:3], s33 offset:148 ; 4-byte Folded Reload
	buffer_load_dword v12, off, s[0:3], s33 offset:152 ; 4-byte Folded Reload
	;; [unrolled: 1-line block ×4, first 2 shown]
	v_and_b32_e32 v10, 7, v46
	v_ashrrev_i32_e32 v61, 31, v60
	s_waitcnt vmcnt(0)
	v_mad_u64_u32 v[3:4], s[40:41], v10, 24, v[11:12]
	v_lshlrev_b64 v[12:13], 1, v[60:61]
	v_mov_b32_e32 v11, v2
	flat_store_dwordx2 v[3:4], v[12:13] offset:8
.LBB4_1691:                             ;   in Loop: Header=BB4_1672 Depth=3
	s_or_b64 exec, exec, s[26:27]
	v_and_b32_e32 v3, 0x100, v5
	v_cmp_ne_u32_e32 vcc, 0, v3
	s_mov_b64 s[26:27], -1
                                        ; implicit-def: $vgpr3_vgpr4
	s_and_saveexec_b64 s[40:41], vcc
	s_cbranch_execz .LBB4_1695
; %bb.1692:                             ;   in Loop: Header=BB4_1672 Depth=3
	buffer_load_dword v12, off, s[0:3], s33 offset:148 ; 4-byte Folded Reload
	buffer_load_dword v13, off, s[0:3], s33 offset:152 ; 4-byte Folded Reload
	buffer_load_dword v14, off, s[0:3], s33 offset:156 ; 4-byte Folded Reload
	buffer_load_dword v15, off, s[0:3], s33 offset:160 ; 4-byte Folded Reload
	s_waitcnt vmcnt(0)
	v_mad_u64_u32 v[12:13], s[26:27], v10, 24, v[12:13]
	v_mov_b32_e32 v3, v13
	v_mad_u64_u32 v[3:4], s[26:27], v11, 24, v[3:4]
	v_mov_b32_e32 v13, v3
	flat_load_dword v3, v[12:13]
	s_waitcnt vmcnt(0) lgkmcnt(0)
	v_cmp_ne_u32_e32 vcc, 1, v3
	v_cmp_eq_u32_e64 s[26:27], 1, v3
                                        ; implicit-def: $vgpr3_vgpr4
	s_and_saveexec_b64 s[78:79], s[26:27]
	s_cbranch_execz .LBB4_1694
; %bb.1693:                             ;   in Loop: Header=BB4_1672 Depth=3
	flat_load_dword v3, v[12:13] offset:4 glc
	s_waitcnt vmcnt(0) lgkmcnt(0)
	v_ashrrev_i32_e32 v4, 31, v3
	v_lshrrev_b64 v[3:4], 1, v[3:4]
.LBB4_1694:                             ;   in Loop: Header=BB4_1672 Depth=3
	s_or_b64 exec, exec, s[78:79]
	s_orn2_b64 s[26:27], vcc, exec
.LBB4_1695:                             ;   in Loop: Header=BB4_1672 Depth=3
	s_or_b64 exec, exec, s[40:41]
	s_and_saveexec_b64 s[40:41], s[26:27]
	s_cbranch_execz .LBB4_1697
; %bb.1696:                             ;   in Loop: Header=BB4_1672 Depth=3
	buffer_load_dword v3, off, s[0:3], s33 offset:172 ; 4-byte Folded Reload
	buffer_load_dword v4, off, s[0:3], s33 offset:176 ; 4-byte Folded Reload
	s_waitcnt vmcnt(0)
	v_mul_lo_u32 v11, v11, v3
	v_mul_lo_u32 v12, v10, v4
	v_mad_u64_u32 v[3:4], s[26:27], v10, v3, 0
	v_add3_u32 v4, v4, v12, v11
.LBB4_1697:                             ;   in Loop: Header=BB4_1672 Depth=3
	s_or_b64 exec, exec, s[40:41]
	v_cmp_eq_u32_e32 vcc, 0, v0
	v_mov_b32_e32 v0, 0xd0
	v_mov_b32_e32 v10, 0x88
	v_cndmask_b32_e32 v0, v0, v10, vcc
	buffer_load_dword v10, off, s[0:3], s33 offset:140 ; 4-byte Folded Reload
	buffer_load_dword v11, off, s[0:3], s33 offset:144 ; 4-byte Folded Reload
	v_lshlrev_b64 v[3:4], 1, v[3:4]
	v_add_u32_e32 v0, v0, v0
	s_waitcnt vmcnt(0)
	v_add_co_u32_e32 v3, vcc, v10, v3
	v_addc_co_u32_e32 v4, vcc, v11, v4, vcc
	ds_write_b64 v0, v[3:4] offset:584
	v_and_b32_e32 v0, 0x2000, v5
	v_cmp_ne_u32_e32 vcc, 0, v0
	s_and_saveexec_b64 s[26:27], vcc
	s_cbranch_execz .LBB4_1699
; %bb.1698:                             ;   in Loop: Header=BB4_1672 Depth=3
	ds_read_b64 v[3:4], v0 offset:872
	s_waitcnt lgkmcnt(0)
	v_add_co_u32_e32 v3, vcc, 1, v3
	v_addc_co_u32_e32 v4, vcc, 0, v4, vcc
	ds_write_b64 v0, v[3:4] offset:872
.LBB4_1699:                             ;   in Loop: Header=BB4_1672 Depth=3
	s_or_b64 exec, exec, s[26:27]
	v_mov_b32_e32 v47, v9
	v_mov_b32_e32 v46, v8
.LBB4_1700:                             ;   in Loop: Header=BB4_1672 Depth=3
	s_or_b64 exec, exec, s[28:29]
	s_and_saveexec_b64 s[26:27], s[10:11]
	s_cbranch_execz .LBB4_1719
; %bb.1701:                             ;   in Loop: Header=BB4_1672 Depth=3
	s_and_saveexec_b64 s[28:29], s[58:59]
	s_xor_b64 s[28:29], exec, s[28:29]
	s_cbranch_execz .LBB4_1716
; %bb.1702:                             ;   in Loop: Header=BB4_1672 Depth=3
	s_and_saveexec_b64 s[40:41], s[16:17]
	s_cbranch_execz .LBB4_1715
; %bb.1703:                             ;   in Loop: Header=BB4_1672 Depth=3
	s_mov_b64 s[88:89], exec
	v_mbcnt_lo_u32_b32 v0, s88, 0
	v_mbcnt_hi_u32_b32 v0, s89, v0
	v_cmp_eq_u32_e32 vcc, 0, v0
	s_waitcnt vmcnt(0) lgkmcnt(0)
	buffer_wbinvl1_vol
	s_and_saveexec_b64 s[78:79], vcc
	s_cbranch_execz .LBB4_1705
; %bb.1704:                             ;   in Loop: Header=BB4_1672 Depth=3
	s_bcnt1_i32_b64 s88, s[88:89]
	v_mov_b32_e32 v3, s88
	v_mov_b32_e32 v4, v2
	ds_add_u64 v0, v[3:4]
	s_trap 2
.LBB4_1705:                             ;   in Loop: Header=BB4_1672 Depth=3
	s_or_b64 exec, exec, s[78:79]
	s_trap 2
	ds_read_b64 v[3:4], v0
	s_waitcnt lgkmcnt(0)
	v_add_co_u32_e32 v48, vcc, v48, v57
	v_addc_co_u32_e32 v49, vcc, 0, v49, vcc
	v_cmp_lt_u64_e32 vcc, v[3:4], v[48:49]
	s_and_saveexec_b64 s[78:79], vcc
	s_cbranch_execz .LBB4_1714
; %bb.1706:                             ;   in Loop: Header=BB4_1672 Depth=3
	s_mov_b32 s34, 0
	s_mov_b64 s[88:89], 0
                                        ; implicit-def: $sgpr90_sgpr91
                                        ; implicit-def: $sgpr92_sgpr93
	s_branch .LBB4_1708
.LBB4_1707:                             ;   in Loop: Header=BB4_1708 Depth=4
	s_or_b64 exec, exec, s[30:31]
	s_and_b64 s[94:95], exec, vcc
	s_or_b64 s[88:89], s[94:95], s[88:89]
	s_andn2_b64 s[90:91], s[90:91], exec
	s_and_b64 s[94:95], s[92:93], exec
	s_or_b64 s[90:91], s[90:91], s[94:95]
	s_andn2_b64 exec, exec, s[88:89]
	s_cbranch_execz .LBB4_1712
.LBB4_1708:                             ;   Parent Loop BB4_47 Depth=1
                                        ;     Parent Loop BB4_1669 Depth=2
                                        ;       Parent Loop BB4_1672 Depth=3
                                        ; =>      This Inner Loop Header: Depth=4
	s_add_i32 s34, s34, 1
	s_cmpk_lg_i32 s34, 0x2710
	s_cselect_b64 s[94:95], -1, 0
	s_and_b64 vcc, exec, s[94:95]
	s_cbranch_vccz .LBB4_1710
; %bb.1709:                             ;   in Loop: Header=BB4_1708 Depth=4
	s_mov_b64 vcc, -1
	s_or_b64 s[92:93], s[92:93], exec
	s_and_saveexec_b64 s[30:31], s[94:95]
	s_cbranch_execz .LBB4_1707
	s_branch .LBB4_1711
.LBB4_1710:                             ;   in Loop: Header=BB4_1708 Depth=4
	s_trap 2
	ds_read_b64 v[3:4], v0
	s_andn2_b64 s[94:95], s[94:95], exec
	s_mov_b32 s34, 0
	s_waitcnt lgkmcnt(0)
	flat_load_dword v0, v[3:4] glc
	s_waitcnt vmcnt(0) lgkmcnt(0)
	buffer_wbinvl1_vol
	v_cmp_eq_u32_e32 vcc, 0, v0
	s_and_b64 vcc, vcc, exec
	s_or_b64 s[94:95], s[94:95], vcc
	s_mov_b64 vcc, -1
	s_or_b64 s[92:93], s[92:93], exec
	s_and_saveexec_b64 s[30:31], s[94:95]
	s_cbranch_execz .LBB4_1707
.LBB4_1711:                             ;   in Loop: Header=BB4_1708 Depth=4
	s_sleep 1
	s_trap 2
	ds_read_b64 v[3:4], v0
	s_waitcnt lgkmcnt(0)
	s_andn2_b64 s[92:93], s[92:93], exec
	v_cmp_ge_u64_e32 vcc, v[3:4], v[48:49]
	s_orn2_b64 vcc, vcc, exec
	s_branch .LBB4_1707
.LBB4_1712:                             ;   in Loop: Header=BB4_1672 Depth=3
	s_or_b64 exec, exec, s[88:89]
	s_and_saveexec_b64 s[88:89], s[90:91]
	s_xor_b64 s[88:89], exec, s[88:89]
	s_cbranch_execz .LBB4_1714
; %bb.1713:                             ;   in Loop: Header=BB4_1672 Depth=3
	v_mov_b32_e32 v0, 1
	ds_write_b32 v0, v0
	s_trap 2
.LBB4_1714:                             ;   in Loop: Header=BB4_1672 Depth=3
	s_or_b64 exec, exec, s[78:79]
	;;#ASMSTART
	s_wakeup
	;;#ASMEND
.LBB4_1715:                             ;   in Loop: Header=BB4_1672 Depth=3
	s_or_b64 exec, exec, s[40:41]
.LBB4_1716:                             ;   in Loop: Header=BB4_1672 Depth=3
	s_andn2_saveexec_b64 s[28:29], s[28:29]
	s_cbranch_execz .LBB4_1718
; %bb.1717:                             ;   in Loop: Header=BB4_1672 Depth=3
	s_waitcnt vmcnt(0) lgkmcnt(0)
	buffer_wbinvl1_vol
	s_barrier
.LBB4_1718:                             ;   in Loop: Header=BB4_1672 Depth=3
	s_or_b64 exec, exec, s[28:29]
.LBB4_1719:                             ;   in Loop: Header=BB4_1672 Depth=3
	s_or_b64 exec, exec, s[26:27]
	s_trap 2
	ds_read_b32 v0, v0
	v_and_b32_e32 v3, 0x4000, v5
	v_cmp_ne_u32_e32 vcc, 0, v3
	s_xor_b64 s[26:27], s[6:7], -1
	s_and_b64 s[28:29], s[26:27], vcc
	s_and_saveexec_b64 s[26:27], s[28:29]
	s_cbranch_execz .LBB4_1738
; %bb.1720:                             ;   in Loop: Header=BB4_1672 Depth=3
	s_and_saveexec_b64 s[28:29], s[58:59]
	s_xor_b64 s[28:29], exec, s[28:29]
	s_cbranch_execz .LBB4_1735
; %bb.1721:                             ;   in Loop: Header=BB4_1672 Depth=3
	s_and_saveexec_b64 s[40:41], s[16:17]
	s_cbranch_execz .LBB4_1734
; %bb.1722:                             ;   in Loop: Header=BB4_1672 Depth=3
	s_mov_b64 s[88:89], exec
	v_mbcnt_lo_u32_b32 v3, s88, 0
	v_mbcnt_hi_u32_b32 v3, s89, v3
	v_cmp_eq_u32_e32 vcc, 0, v3
	s_waitcnt vmcnt(0) lgkmcnt(0)
	buffer_wbinvl1_vol
	s_and_saveexec_b64 s[78:79], vcc
	s_cbranch_execz .LBB4_1724
; %bb.1723:                             ;   in Loop: Header=BB4_1672 Depth=3
	s_bcnt1_i32_b64 s88, s[88:89]
	v_mov_b32_e32 v3, s88
	v_mov_b32_e32 v4, v2
	ds_add_u64 v0, v[3:4]
	s_trap 2
.LBB4_1724:                             ;   in Loop: Header=BB4_1672 Depth=3
	s_or_b64 exec, exec, s[78:79]
	s_trap 2
	ds_read_b64 v[3:4], v0
	s_waitcnt lgkmcnt(0)
	v_add_co_u32_e32 v48, vcc, v48, v57
	v_addc_co_u32_e32 v49, vcc, 0, v49, vcc
	v_cmp_lt_u64_e32 vcc, v[3:4], v[48:49]
	s_and_saveexec_b64 s[78:79], vcc
	s_cbranch_execz .LBB4_1733
; %bb.1725:                             ;   in Loop: Header=BB4_1672 Depth=3
	s_mov_b32 s34, 0
	s_mov_b64 s[88:89], 0
                                        ; implicit-def: $sgpr90_sgpr91
                                        ; implicit-def: $sgpr92_sgpr93
	s_branch .LBB4_1727
.LBB4_1726:                             ;   in Loop: Header=BB4_1727 Depth=4
	s_or_b64 exec, exec, s[30:31]
	s_and_b64 s[94:95], exec, vcc
	s_or_b64 s[88:89], s[94:95], s[88:89]
	s_andn2_b64 s[90:91], s[90:91], exec
	s_and_b64 s[94:95], s[92:93], exec
	s_or_b64 s[90:91], s[90:91], s[94:95]
	s_andn2_b64 exec, exec, s[88:89]
	s_cbranch_execz .LBB4_1731
.LBB4_1727:                             ;   Parent Loop BB4_47 Depth=1
                                        ;     Parent Loop BB4_1669 Depth=2
                                        ;       Parent Loop BB4_1672 Depth=3
                                        ; =>      This Inner Loop Header: Depth=4
	s_add_i32 s34, s34, 1
	s_cmpk_lg_i32 s34, 0x2710
	s_cselect_b64 s[94:95], -1, 0
	s_and_b64 vcc, exec, s[94:95]
	s_cbranch_vccz .LBB4_1729
; %bb.1728:                             ;   in Loop: Header=BB4_1727 Depth=4
	s_mov_b64 vcc, -1
	s_or_b64 s[92:93], s[92:93], exec
	s_and_saveexec_b64 s[30:31], s[94:95]
	s_cbranch_execz .LBB4_1726
	s_branch .LBB4_1730
.LBB4_1729:                             ;   in Loop: Header=BB4_1727 Depth=4
	s_trap 2
	ds_read_b64 v[3:4], v0
	s_andn2_b64 s[94:95], s[94:95], exec
	s_mov_b32 s34, 0
	s_waitcnt lgkmcnt(0)
	flat_load_dword v3, v[3:4] glc
	s_waitcnt vmcnt(0) lgkmcnt(0)
	buffer_wbinvl1_vol
	v_cmp_eq_u32_e32 vcc, 0, v3
	s_and_b64 vcc, vcc, exec
	s_or_b64 s[94:95], s[94:95], vcc
	s_mov_b64 vcc, -1
	s_or_b64 s[92:93], s[92:93], exec
	s_and_saveexec_b64 s[30:31], s[94:95]
	s_cbranch_execz .LBB4_1726
.LBB4_1730:                             ;   in Loop: Header=BB4_1727 Depth=4
	s_sleep 1
	s_trap 2
	ds_read_b64 v[3:4], v0
	s_waitcnt lgkmcnt(0)
	s_andn2_b64 s[92:93], s[92:93], exec
	v_cmp_ge_u64_e32 vcc, v[3:4], v[48:49]
	s_orn2_b64 vcc, vcc, exec
	s_branch .LBB4_1726
.LBB4_1731:                             ;   in Loop: Header=BB4_1672 Depth=3
	s_or_b64 exec, exec, s[88:89]
	s_and_saveexec_b64 s[88:89], s[90:91]
	s_xor_b64 s[88:89], exec, s[88:89]
	s_cbranch_execz .LBB4_1733
; %bb.1732:                             ;   in Loop: Header=BB4_1672 Depth=3
	v_mov_b32_e32 v3, 1
	ds_write_b32 v0, v3
	s_trap 2
.LBB4_1733:                             ;   in Loop: Header=BB4_1672 Depth=3
	s_or_b64 exec, exec, s[78:79]
	;;#ASMSTART
	s_wakeup
	;;#ASMEND
.LBB4_1734:                             ;   in Loop: Header=BB4_1672 Depth=3
	s_or_b64 exec, exec, s[40:41]
.LBB4_1735:                             ;   in Loop: Header=BB4_1672 Depth=3
	s_andn2_saveexec_b64 s[28:29], s[28:29]
	s_cbranch_execz .LBB4_1737
; %bb.1736:                             ;   in Loop: Header=BB4_1672 Depth=3
	s_waitcnt vmcnt(0) lgkmcnt(0)
	buffer_wbinvl1_vol
	s_barrier
.LBB4_1737:                             ;   in Loop: Header=BB4_1672 Depth=3
	s_or_b64 exec, exec, s[28:29]
.LBB4_1738:                             ;   in Loop: Header=BB4_1672 Depth=3
	s_or_b64 exec, exec, s[26:27]
	s_trap 2
	s_waitcnt lgkmcnt(0)
	ds_read_b64 v[30:31], v0
	s_waitcnt lgkmcnt(0)
	v_cmp_eq_u64_e32 vcc, 0, v[30:31]
	s_cbranch_vccnz .LBB4_1760
; %bb.1739:                             ;   in Loop: Header=BB4_1672 Depth=3
	s_trap 2
	ds_read_b64 v[24:25], v0
	s_waitcnt lgkmcnt(0)
	v_cmp_eq_u64_e32 vcc, 0, v[24:25]
	s_cbranch_vccnz .LBB4_1760
; %bb.1740:                             ;   in Loop: Header=BB4_1672 Depth=3
	s_trap 2
	ds_read_b64 v[16:17], v0
	v_cmp_eq_u32_e32 vcc, 0, v0
	v_cndmask_b32_e32 v27, 0, v60, vcc
	v_lshlrev_b32_e32 v61, 1, v27
	s_mov_b64 s[26:27], -1
	s_waitcnt lgkmcnt(0)
	v_cmp_ne_u64_e32 vcc, 0, v[16:17]
	s_cbranch_vccz .LBB4_1819
; %bb.1741:                             ;   in Loop: Header=BB4_1672 Depth=3
	s_and_saveexec_b64 s[28:29], s[20:21]
	s_cbranch_execz .LBB4_1743
; %bb.1742:                             ;   in Loop: Header=BB4_1672 Depth=3
	ds_read_b32 v0, v0 offset:720
	s_waitcnt lgkmcnt(0)
	v_and_b32_e32 v0, 15, v0
	v_cmp_eq_u32_e32 vcc, 0, v0
	s_orn2_b64 s[26:27], vcc, exec
.LBB4_1743:                             ;   in Loop: Header=BB4_1672 Depth=3
	s_or_b64 exec, exec, s[28:29]
	s_and_saveexec_b64 s[28:29], s[22:23]
	s_cbranch_execz .LBB4_1745
; %bb.1744:                             ;   in Loop: Header=BB4_1672 Depth=3
	ds_read_b32 v0, v0 offset:784
	s_waitcnt lgkmcnt(0)
	v_and_b32_e32 v0, 15, v0
	v_cmp_eq_u32_e32 vcc, 0, v0
	s_and_b64 s[40:41], s[26:27], vcc
	s_andn2_b64 s[26:27], s[26:27], exec
	s_and_b64 s[40:41], s[40:41], exec
	s_or_b64 s[26:27], s[26:27], s[40:41]
.LBB4_1745:                             ;   in Loop: Header=BB4_1672 Depth=3
	s_or_b64 exec, exec, s[28:29]
	s_xor_b64 s[26:27], s[26:27], -1
	v_cndmask_b32_e64 v0, 0, 1, s[26:27]
	s_mov_b64 s[28:29], -1
	v_cmp_ne_u32_e32 vcc, 0, v0
	s_cbranch_vccz .LBB4_1765
; %bb.1746:                             ;   in Loop: Header=BB4_1672 Depth=3
	s_mov_b64 s[78:79], -1
	v_mov_b32_e32 v14, 0
	s_cbranch_execnz .LBB4_1766
.LBB4_1747:                             ;   in Loop: Header=BB4_1672 Depth=3
	v_ashrrev_i32_e32 v0, 31, v61
	buffer_load_dword v9, off, s[0:3], s33 offset:200 ; 4-byte Folded Reload
	v_lshrrev_b32_e32 v0, 22, v0
	v_add_u32_e32 v0, v61, v0
	v_ashrrev_i32_e32 v8, 10, v0
	v_and_b32_e32 v4, 0xfffffc00, v0
	buffer_load_dword v0, off, s[0:3], s33 offset:208 ; 4-byte Folded Reload
	v_sub_u32_e32 v20, v61, v4
	v_cmp_lt_i32_e64 s[26:27], 15, v20
	s_mov_b64 s[28:29], 0
	s_waitcnt vmcnt(0)
	v_add_co_u32_e32 v3, vcc, v24, v9
	v_addc_co_u32_e32 v22, vcc, 0, v25, vcc
	v_add_co_u32_e32 v23, vcc, v16, v9
	s_waitcnt vmcnt(0)
	v_sub_u32_e32 v0, v8, v0
	v_sub_u32_e32 v51, v61, v9
	v_addc_co_u32_e32 v50, vcc, 0, v17, vcc
	v_addc_co_u32_e64 v21, vcc, 0, v0, s[26:27]
	v_cmp_lt_i32_e32 vcc, 15, v51
                                        ; implicit-def: $vgpr8_vgpr9
	s_and_saveexec_b64 s[88:89], vcc
	s_cbranch_execz .LBB4_1768
; %bb.1748:                             ;   in Loop: Header=BB4_1672 Depth=3
	buffer_load_dword v0, off, s[0:3], s33 offset:200 ; 4-byte Folded Reload
	s_mov_b64 s[94:95], 0
	s_mov_b64 s[90:91], 0
                                        ; implicit-def: $sgpr92_sgpr93
                                        ; implicit-def: $vgpr8_vgpr9
	s_waitcnt vmcnt(0)
	v_add_co_u32_e32 v18, vcc, v30, v0
	v_addc_co_u32_e32 v19, vcc, 0, v31, vcc
	s_branch .LBB4_1750
.LBB4_1749:                             ;   in Loop: Header=BB4_1750 Depth=4
	s_or_b64 exec, exec, s[28:29]
	v_cmp_gt_i32_e32 vcc, 16, v51
	s_or_b64 s[90:91], vcc, s[90:91]
	s_andn2_b64 s[28:29], s[92:93], exec
	s_and_b64 s[40:41], s[94:95], exec
	s_or_b64 s[92:93], s[28:29], s[40:41]
	s_andn2_b64 exec, exec, s[90:91]
	s_cbranch_execz .LBB4_1767
.LBB4_1750:                             ;   Parent Loop BB4_47 Depth=1
                                        ;     Parent Loop BB4_1669 Depth=2
                                        ;       Parent Loop BB4_1672 Depth=3
                                        ; =>      This Loop Header: Depth=4
                                        ;           Child Loop BB4_1752 Depth 5
                                        ;           Child Loop BB4_1757 Depth 5
	global_load_dwordx4 v[12:15], v[18:19], off glc slc
	s_and_saveexec_b64 s[30:31], s[94:95]
	s_cbranch_execz .LBB4_1754
; %bb.1751:                             ;   in Loop: Header=BB4_1750 Depth=4
	s_mov_b64 s[34:35], 0
	s_mov_b64 s[94:95], -1
.LBB4_1752:                             ;   Parent Loop BB4_47 Depth=1
                                        ;     Parent Loop BB4_1669 Depth=2
                                        ;       Parent Loop BB4_1672 Depth=3
                                        ;         Parent Loop BB4_1750 Depth=4
                                        ; =>        This Inner Loop Header: Depth=5
	s_cmp_eq_u32 s34, 1
	s_cselect_b64 s[28:29], -1, 0
	v_cndmask_b32_e64 v34, v3, v23, s[28:29]
	v_cndmask_b32_e64 v35, v22, v50, s[28:29]
	v_add_co_u32_e32 v0, vcc, 0x400, v34
	s_cmp_eq_u32 s34, 0
	global_store_dwordx4 v[34:35], v[8:11], off glc slc
	v_addc_co_u32_e32 v34, vcc, 0, v35, vcc
	s_cselect_b64 vcc, -1, 0
	s_and_b64 s[40:41], exec, s[94:95]
	s_mov_b64 s[34:35], 1
	v_cndmask_b32_e64 v23, v23, v0, s[28:29]
	s_mov_b64 s[94:95], 0
	v_cndmask_b32_e64 v50, v50, v34, s[28:29]
	v_cndmask_b32_e32 v22, v22, v34, vcc
	v_cndmask_b32_e32 v3, v3, v0, vcc
	s_mov_b64 vcc, s[40:41]
	s_cbranch_vccnz .LBB4_1752
; %bb.1753:                             ;   in Loop: Header=BB4_1750 Depth=4
	v_add_co_u32_e32 v3, vcc, v3, v6
	v_addc_co_u32_e32 v22, vcc, v22, v43, vcc
	v_add_co_u32_e32 v23, vcc, v23, v6
	v_addc_co_u32_e32 v50, vcc, v50, v43, vcc
.LBB4_1754:                             ;   in Loop: Header=BB4_1750 Depth=4
	s_or_b64 exec, exec, s[30:31]
	v_add_co_u32_e32 v18, vcc, v36, v18
	v_sub_u32_e32 v51, v51, v1
	v_addc_co_u32_e32 v19, vcc, v37, v19, vcc
	v_cmp_lt_i32_e64 s[94:95], 15, v51
	s_and_saveexec_b64 s[28:29], s[94:95]
	s_cbranch_execz .LBB4_1756
; %bb.1755:                             ;   in Loop: Header=BB4_1750 Depth=4
	global_load_dwordx4 v[8:11], v[18:19], off glc slc
	v_add_co_u32_e32 v18, vcc, 0x400, v18
	v_addc_co_u32_e32 v19, vcc, 0, v19, vcc
.LBB4_1756:                             ;   in Loop: Header=BB4_1750 Depth=4
	s_or_b64 exec, exec, s[28:29]
	s_mov_b64 s[34:35], 0
	s_mov_b64 s[30:31], -1
	s_waitcnt vmcnt(0)
.LBB4_1757:                             ;   Parent Loop BB4_47 Depth=1
                                        ;     Parent Loop BB4_1669 Depth=2
                                        ;       Parent Loop BB4_1672 Depth=3
                                        ;         Parent Loop BB4_1750 Depth=4
                                        ; =>        This Inner Loop Header: Depth=5
	s_cmp_eq_u32 s34, 1
	s_cselect_b64 s[28:29], -1, 0
	v_cndmask_b32_e64 v34, v3, v23, s[28:29]
	v_cndmask_b32_e64 v35, v22, v50, s[28:29]
	v_add_co_u32_e32 v0, vcc, 0x400, v34
	s_cmp_eq_u32 s34, 0
	global_store_dwordx4 v[34:35], v[12:15], off glc slc
	v_addc_co_u32_e32 v34, vcc, 0, v35, vcc
	s_cselect_b64 vcc, -1, 0
	s_and_b64 s[40:41], exec, s[30:31]
	s_mov_b64 s[34:35], 1
	v_cndmask_b32_e64 v23, v23, v0, s[28:29]
	s_mov_b64 s[30:31], 0
	v_cndmask_b32_e64 v50, v50, v34, s[28:29]
	v_cndmask_b32_e32 v22, v22, v34, vcc
	v_cndmask_b32_e32 v3, v3, v0, vcc
	s_mov_b64 vcc, s[40:41]
	s_cbranch_vccnz .LBB4_1757
; %bb.1758:                             ;   in Loop: Header=BB4_1750 Depth=4
	v_sub_u32_e32 v21, v21, v57
	s_and_saveexec_b64 s[28:29], s[94:95]
	s_cbranch_execz .LBB4_1749
; %bb.1759:                             ;   in Loop: Header=BB4_1750 Depth=4
	v_add_co_u32_e32 v3, vcc, v3, v6
	v_addc_co_u32_e32 v22, vcc, v22, v43, vcc
	v_add_co_u32_e32 v23, vcc, v23, v6
	v_addc_co_u32_e32 v50, vcc, v50, v43, vcc
	;; [unrolled: 2-line block ×3, first 2 shown]
	v_sub_u32_e32 v51, v51, v1
	v_sub_u32_e32 v21, v21, v57
	s_branch .LBB4_1749
.LBB4_1760:                             ;   in Loop: Header=BB4_1672 Depth=3
	s_mov_b64 s[26:27], 0
	s_and_saveexec_b64 s[28:29], s[10:11]
	s_cbranch_execnz .LBB4_1877
.LBB4_1761:                             ;   in Loop: Header=BB4_1672 Depth=3
	s_or_b64 exec, exec, s[28:29]
                                        ; implicit-def: $vgpr0
	s_and_saveexec_b64 s[28:29], s[24:25]
	s_xor_b64 s[28:29], exec, s[28:29]
	s_cbranch_execz .LBB4_1895
.LBB4_1762:                             ;   in Loop: Header=BB4_1672 Depth=3
	s_waitcnt vmcnt(0)
	v_and_b32_e32 v3, 16, v5
	v_cmp_ne_u32_e32 vcc, 0, v3
	v_and_b32_e32 v0, 16, v5
	s_and_b64 s[40:41], vcc, s[26:27]
	s_and_saveexec_b64 s[26:27], s[40:41]
	s_cbranch_execz .LBB4_1764
; %bb.1763:                             ;   in Loop: Header=BB4_1672 Depth=3
	v_mov_b32_e32 v0, 1
	s_waitcnt lgkmcnt(0)
	buffer_wbinvl1_vol
.LBB4_1764:                             ;   in Loop: Header=BB4_1672 Depth=3
	s_or_b64 exec, exec, s[26:27]
	s_andn2_saveexec_b64 s[26:27], s[28:29]
	s_cbranch_execz .LBB4_1914
	s_branch .LBB4_1896
.LBB4_1765:                             ;   in Loop: Header=BB4_1672 Depth=3
	s_mov_b64 s[78:79], 0
	s_andn2_b64 vcc, exec, s[28:29]
	v_mov_b32_e32 v14, 0
	s_cbranch_vccz .LBB4_1747
.LBB4_1766:                             ;   in Loop: Header=BB4_1672 Depth=3
	buffer_load_dword v0, off, s[0:3], s33 offset:204 ; 4-byte Folded Reload
	buffer_load_dword v18, off, s[0:3], s33 offset:188 ; 4-byte Folded Reload
	v_mov_b32_e32 v15, v61
	s_and_saveexec_b64 s[40:41], s[78:79]
	s_cbranch_execnz .LBB4_1793
	s_branch .LBB4_1818
.LBB4_1767:                             ;   in Loop: Header=BB4_1672 Depth=3
	s_or_b64 exec, exec, s[90:91]
	s_and_b64 s[28:29], s[92:93], exec
.LBB4_1768:                             ;   in Loop: Header=BB4_1672 Depth=3
	s_or_b64 exec, exec, s[88:89]
	s_and_saveexec_b64 s[88:89], s[28:29]
	s_cbranch_execz .LBB4_1771
; %bb.1769:                             ;   in Loop: Header=BB4_1672 Depth=3
	s_mov_b64 s[92:93], 0
	s_mov_b64 s[90:91], -1
.LBB4_1770:                             ;   Parent Loop BB4_47 Depth=1
                                        ;     Parent Loop BB4_1669 Depth=2
                                        ;       Parent Loop BB4_1672 Depth=3
                                        ; =>      This Inner Loop Header: Depth=4
	s_cmp_eq_u32 s92, 1
	s_cselect_b64 s[28:29], -1, 0
	v_cndmask_b32_e64 v12, v3, v23, s[28:29]
	v_cndmask_b32_e64 v13, v22, v50, s[28:29]
	v_add_co_u32_e32 v0, vcc, 0x400, v12
	s_cmp_eq_u32 s92, 0
	global_store_dwordx4 v[12:13], v[8:11], off glc slc
	v_addc_co_u32_e32 v12, vcc, 0, v13, vcc
	s_cselect_b64 vcc, -1, 0
	s_and_b64 s[40:41], exec, s[90:91]
	s_mov_b64 s[92:93], 1
	v_cndmask_b32_e64 v23, v23, v0, s[28:29]
	s_mov_b64 s[90:91], 0
	v_cndmask_b32_e64 v50, v50, v12, s[28:29]
	v_cndmask_b32_e32 v22, v22, v12, vcc
	v_cndmask_b32_e32 v3, v3, v0, vcc
	s_mov_b64 vcc, s[40:41]
	s_cbranch_vccnz .LBB4_1770
.LBB4_1771:                             ;   in Loop: Header=BB4_1672 Depth=3
	s_or_b64 exec, exec, s[88:89]
	v_and_b32_e32 v8, 14, v61
	v_cndmask_b32_e64 v3, v20, v8, s[26:27]
	v_cmp_ne_u32_e32 vcc, 0, v3
                                        ; implicit-def: $vgpr15
                                        ; implicit-def: $vgpr14
                                        ; implicit-def: $vgpr0
                                        ; implicit-def: $vgpr18
	s_and_saveexec_b64 s[88:89], vcc
	s_cbranch_execz .LBB4_1792
; %bb.1772:                             ;   in Loop: Header=BB4_1672 Depth=3
	v_sub_u32_e32 v0, v20, v8
	buffer_load_dword v8, off, s[0:3], s33 offset:188 ; 4-byte Folded Reload
	v_cndmask_b32_e64 v0, 0, v0, s[26:27]
	v_cmp_lt_i32_e32 vcc, 0, v21
	v_add_u32_e32 v4, v0, v4
	v_cndmask_b32_e32 v0, 0, v57, vcc
	v_sub_u32_e32 v0, v0, v21
	s_mov_b64 s[28:29], 0
	s_waitcnt vmcnt(0)
	v_lshl_or_b32 v0, v0, 6, v8
	v_ashrrev_i32_e32 v8, 31, v0
	v_lshrrev_b32_e32 v8, 26, v8
	v_add_u32_e32 v8, v0, v8
	v_ashrrev_i32_e32 v9, 6, v8
	v_and_b32_e32 v8, 0xffffffc0, v8
	v_sub_u32_e32 v20, v0, v8
	v_lshlrev_b32_e32 v0, 4, v20
	v_lshl_add_u32 v8, v9, 10, v0
	v_add_u32_e32 v0, v8, v4
	v_sub_u32_e32 v42, v3, v8
	v_ashrrev_i32_e32 v8, 31, v3
	v_lshrrev_b32_e32 v8, 22, v8
	v_add_u32_e32 v8, v3, v8
	v_and_b32_e32 v21, 0xfffffc00, v8
	v_sub_u32_e32 v22, v3, v21
	v_ashrrev_i32_e32 v10, 10, v8
	v_cmp_lt_i32_e64 s[26:27], 15, v22
	v_addc_co_u32_e64 v8, vcc, 0, v10, s[26:27]
	v_ashrrev_i32_e32 v10, 31, v0
	v_add_co_u32_e32 v50, vcc, v0, v24
	v_addc_co_u32_e32 v51, vcc, v10, v25, vcc
	v_add_co_u32_e32 v52, vcc, v0, v16
	v_addc_co_u32_e32 v53, vcc, v10, v17, vcc
	v_sub_u32_e32 v23, v8, v9
	v_cmp_lt_i32_e32 vcc, 15, v42
                                        ; implicit-def: $vgpr8_vgpr9
	s_and_saveexec_b64 s[90:91], vcc
	s_cbranch_execz .LBB4_1786
; %bb.1773:                             ;   in Loop: Header=BB4_1672 Depth=3
	v_add_co_u32_e32 v18, vcc, v0, v30
	v_addc_co_u32_e32 v19, vcc, v10, v31, vcc
	s_mov_b64 s[30:31], 0
	s_mov_b64 s[92:93], 0
                                        ; implicit-def: $sgpr94_sgpr95
                                        ; implicit-def: $vgpr8_vgpr9
	s_branch .LBB4_1775
.LBB4_1774:                             ;   in Loop: Header=BB4_1775 Depth=4
	s_or_b64 exec, exec, s[28:29]
	v_cmp_gt_i32_e32 vcc, 16, v42
	s_or_b64 s[92:93], vcc, s[92:93]
	s_andn2_b64 s[28:29], s[94:95], exec
	s_and_b64 s[40:41], s[30:31], exec
	s_or_b64 s[94:95], s[28:29], s[40:41]
	s_andn2_b64 exec, exec, s[92:93]
	s_cbranch_execz .LBB4_1785
.LBB4_1775:                             ;   Parent Loop BB4_47 Depth=1
                                        ;     Parent Loop BB4_1669 Depth=2
                                        ;       Parent Loop BB4_1672 Depth=3
                                        ; =>      This Loop Header: Depth=4
                                        ;           Child Loop BB4_1777 Depth 5
                                        ;           Child Loop BB4_1782 Depth 5
	global_load_dwordx4 v[12:15], v[18:19], off glc slc
	s_and_saveexec_b64 s[34:35], s[30:31]
	s_cbranch_execz .LBB4_1779
; %bb.1776:                             ;   in Loop: Header=BB4_1775 Depth=4
	s_mov_b64 s[36:37], 0
	s_mov_b64 s[30:31], -1
.LBB4_1777:                             ;   Parent Loop BB4_47 Depth=1
                                        ;     Parent Loop BB4_1669 Depth=2
                                        ;       Parent Loop BB4_1672 Depth=3
                                        ;         Parent Loop BB4_1775 Depth=4
                                        ; =>        This Inner Loop Header: Depth=5
	s_cmp_eq_u32 s36, 1
	s_cselect_b64 s[28:29], -1, 0
	v_cndmask_b32_e64 v34, v50, v52, s[28:29]
	v_cndmask_b32_e64 v35, v51, v53, s[28:29]
	v_add_co_u32_e32 v0, vcc, 0x400, v34
	s_cmp_eq_u32 s36, 0
	global_store_dwordx4 v[34:35], v[8:11], off glc slc
	v_addc_co_u32_e32 v34, vcc, 0, v35, vcc
	s_cselect_b64 vcc, -1, 0
	s_and_b64 s[40:41], exec, s[30:31]
	s_mov_b64 s[36:37], 1
	v_cndmask_b32_e64 v52, v52, v0, s[28:29]
	s_mov_b64 s[30:31], 0
	v_cndmask_b32_e64 v53, v53, v34, s[28:29]
	v_cndmask_b32_e32 v51, v51, v34, vcc
	v_cndmask_b32_e32 v50, v50, v0, vcc
	s_mov_b64 vcc, s[40:41]
	s_cbranch_vccnz .LBB4_1777
; %bb.1778:                             ;   in Loop: Header=BB4_1775 Depth=4
	v_add_co_u32_e32 v50, vcc, v50, v6
	v_addc_co_u32_e32 v51, vcc, v51, v43, vcc
	v_add_co_u32_e32 v52, vcc, v52, v6
	v_addc_co_u32_e32 v53, vcc, v53, v43, vcc
.LBB4_1779:                             ;   in Loop: Header=BB4_1775 Depth=4
	s_or_b64 exec, exec, s[34:35]
	v_add_co_u32_e32 v18, vcc, v36, v18
	v_sub_u32_e32 v42, v42, v1
	v_addc_co_u32_e32 v19, vcc, v37, v19, vcc
	v_cmp_lt_i32_e64 s[30:31], 15, v42
	s_and_saveexec_b64 s[28:29], s[30:31]
	s_cbranch_execz .LBB4_1781
; %bb.1780:                             ;   in Loop: Header=BB4_1775 Depth=4
	global_load_dwordx4 v[8:11], v[18:19], off glc slc
	v_add_co_u32_e32 v18, vcc, 0x400, v18
	v_addc_co_u32_e32 v19, vcc, 0, v19, vcc
.LBB4_1781:                             ;   in Loop: Header=BB4_1775 Depth=4
	s_or_b64 exec, exec, s[28:29]
	s_mov_b64 s[36:37], 0
	s_mov_b64 s[34:35], -1
	s_waitcnt vmcnt(0)
.LBB4_1782:                             ;   Parent Loop BB4_47 Depth=1
                                        ;     Parent Loop BB4_1669 Depth=2
                                        ;       Parent Loop BB4_1672 Depth=3
                                        ;         Parent Loop BB4_1775 Depth=4
                                        ; =>        This Inner Loop Header: Depth=5
	s_cmp_eq_u32 s36, 1
	s_cselect_b64 s[28:29], -1, 0
	v_cndmask_b32_e64 v34, v50, v52, s[28:29]
	v_cndmask_b32_e64 v35, v51, v53, s[28:29]
	v_add_co_u32_e32 v0, vcc, 0x400, v34
	s_cmp_eq_u32 s36, 0
	global_store_dwordx4 v[34:35], v[12:15], off glc slc
	v_addc_co_u32_e32 v34, vcc, 0, v35, vcc
	s_cselect_b64 vcc, -1, 0
	s_and_b64 s[40:41], exec, s[34:35]
	s_mov_b64 s[36:37], 1
	v_cndmask_b32_e64 v52, v52, v0, s[28:29]
	s_mov_b64 s[34:35], 0
	v_cndmask_b32_e64 v53, v53, v34, s[28:29]
	v_cndmask_b32_e32 v51, v51, v34, vcc
	v_cndmask_b32_e32 v50, v50, v0, vcc
	s_mov_b64 vcc, s[40:41]
	s_cbranch_vccnz .LBB4_1782
; %bb.1783:                             ;   in Loop: Header=BB4_1775 Depth=4
	v_sub_u32_e32 v23, v23, v57
	s_and_saveexec_b64 s[28:29], s[30:31]
	s_cbranch_execz .LBB4_1774
; %bb.1784:                             ;   in Loop: Header=BB4_1775 Depth=4
	v_add_co_u32_e32 v50, vcc, v50, v6
	v_addc_co_u32_e32 v51, vcc, v51, v43, vcc
	v_add_co_u32_e32 v52, vcc, v52, v6
	v_addc_co_u32_e32 v53, vcc, v53, v43, vcc
	v_add_co_u32_e32 v18, vcc, v18, v6
	v_addc_co_u32_e32 v19, vcc, v19, v43, vcc
	v_sub_u32_e32 v42, v42, v1
	v_sub_u32_e32 v23, v23, v57
	s_branch .LBB4_1774
.LBB4_1785:                             ;   in Loop: Header=BB4_1672 Depth=3
	s_or_b64 exec, exec, s[92:93]
	s_and_b64 s[28:29], s[94:95], exec
.LBB4_1786:                             ;   in Loop: Header=BB4_1672 Depth=3
	s_or_b64 exec, exec, s[90:91]
	s_and_saveexec_b64 s[90:91], s[28:29]
	s_cbranch_execz .LBB4_1789
; %bb.1787:                             ;   in Loop: Header=BB4_1672 Depth=3
	s_mov_b64 s[94:95], 0
	s_mov_b64 s[92:93], -1
.LBB4_1788:                             ;   Parent Loop BB4_47 Depth=1
                                        ;     Parent Loop BB4_1669 Depth=2
                                        ;       Parent Loop BB4_1672 Depth=3
                                        ; =>      This Inner Loop Header: Depth=4
	s_cmp_eq_u32 s94, 1
	s_cselect_b64 s[28:29], -1, 0
	v_cndmask_b32_e64 v12, v50, v52, s[28:29]
	v_cndmask_b32_e64 v13, v51, v53, s[28:29]
	v_add_co_u32_e32 v0, vcc, 0x400, v12
	s_cmp_eq_u32 s94, 0
	global_store_dwordx4 v[12:13], v[8:11], off glc slc
	v_addc_co_u32_e32 v12, vcc, 0, v13, vcc
	s_cselect_b64 vcc, -1, 0
	s_and_b64 s[40:41], exec, s[92:93]
	s_mov_b64 s[94:95], 1
	v_cndmask_b32_e64 v52, v52, v0, s[28:29]
	s_mov_b64 s[92:93], 0
	v_cndmask_b32_e64 v53, v53, v12, s[28:29]
	v_cndmask_b32_e32 v51, v51, v12, vcc
	v_cndmask_b32_e32 v50, v50, v0, vcc
	s_mov_b64 vcc, s[40:41]
	s_cbranch_vccnz .LBB4_1788
.LBB4_1789:                             ;   in Loop: Header=BB4_1672 Depth=3
	s_or_b64 exec, exec, s[90:91]
	v_and_b32_e32 v3, 14, v3
	v_cndmask_b32_e64 v15, v22, v3, s[26:27]
	v_cmp_ne_u32_e32 vcc, 0, v15
	s_mov_b64 s[28:29], s[78:79]
                                        ; implicit-def: $vgpr14
                                        ; implicit-def: $vgpr0
                                        ; implicit-def: $vgpr18
	s_and_saveexec_b64 s[40:41], vcc
	s_cbranch_execz .LBB4_1791
; %bb.1790:                             ;   in Loop: Header=BB4_1672 Depth=3
	v_sub_u32_e32 v0, v22, v3
	v_cndmask_b32_e64 v0, 0, v0, s[26:27]
	v_cmp_lt_i32_e32 vcc, 0, v23
	v_add3_u32 v14, v21, v4, v0
	v_cndmask_b32_e32 v0, 0, v57, vcc
	v_sub_u32_e32 v0, v0, v23
	v_lshl_add_u32 v0, v0, 6, v20
	v_ashrrev_i32_e32 v3, 31, v0
	v_lshrrev_b32_e32 v3, 26, v3
	v_add_u32_e32 v3, v0, v3
	v_and_b32_e32 v3, 0xffffffc0, v3
	v_sub_u32_e32 v18, v0, v3
	s_or_b64 s[28:29], s[78:79], exec
.LBB4_1791:                             ;   in Loop: Header=BB4_1672 Depth=3
	s_or_b64 exec, exec, s[40:41]
	s_andn2_b64 s[26:27], s[78:79], exec
	s_and_b64 s[28:29], s[28:29], exec
	s_or_b64 s[78:79], s[26:27], s[28:29]
.LBB4_1792:                             ;   in Loop: Header=BB4_1672 Depth=3
	s_or_b64 exec, exec, s[88:89]
	s_and_saveexec_b64 s[40:41], s[78:79]
	s_cbranch_execz .LBB4_1818
.LBB4_1793:                             ;   in Loop: Header=BB4_1672 Depth=3
	s_waitcnt vmcnt(0)
	v_ashrrev_i32_e32 v3, 31, v0
	v_lshrrev_b32_e32 v3, 26, v3
	v_add_u32_e32 v0, v0, v3
	v_ashrrev_i32_e32 v12, 6, v0
	v_lshlrev_b32_e32 v0, 9, v12
	s_waitcnt vmcnt(0)
	v_lshlrev_b32_e32 v3, 1, v18
	v_add3_u32 v3, v14, v3, v0
	v_ashrrev_i32_e32 v0, 31, v15
	v_lshrrev_b32_e32 v0, 23, v0
	v_ashrrev_i32_e32 v4, 31, v3
	v_add_co_u32_e32 v10, vcc, v24, v3
	v_add_u32_e32 v0, v15, v0
	v_addc_co_u32_e32 v11, vcc, v25, v4, vcc
	v_ashrrev_i32_e32 v0, 9, v0
	v_add_co_u32_e32 v8, vcc, v16, v3
	v_addc_co_u32_e32 v9, vcc, v17, v4, vcc
	v_sub_u32_e32 v23, v0, v12
	v_cmp_lt_i32_e32 vcc, 0, v23
	s_mov_b64 s[28:29], 0
                                        ; implicit-def: $vgpr19
                                        ; implicit-def: $vgpr20
                                        ; implicit-def: $vgpr21
                                        ; implicit-def: $vgpr22
	s_and_saveexec_b64 s[26:27], vcc
	s_cbranch_execz .LBB4_1801
; %bb.1794:                             ;   in Loop: Header=BB4_1672 Depth=3
	v_add_co_u32_e32 v12, vcc, v3, v30
	v_addc_co_u32_e32 v13, vcc, v4, v31, vcc
	s_mov_b64 s[88:89], 0
                                        ; implicit-def: $sgpr78_sgpr79
                                        ; implicit-def: $vgpr19
                                        ; implicit-def: $vgpr20
                                        ; implicit-def: $vgpr21
                                        ; implicit-def: $vgpr22
	s_branch .LBB4_1796
.LBB4_1795:                             ;   in Loop: Header=BB4_1796 Depth=4
	s_or_b64 exec, exec, s[90:91]
	s_waitcnt vmcnt(0) lgkmcnt(0)
	flat_store_short v[10:11], v34 glc slc
	flat_store_short v[10:11], v35 offset:128 glc slc
	flat_store_short v[10:11], v50 offset:256 glc slc
	;; [unrolled: 1-line block ×3, first 2 shown]
	v_add_co_u32_e32 v10, vcc, 0x200, v10
	v_addc_co_u32_e32 v11, vcc, 0, v11, vcc
	flat_store_short v[8:9], v34 glc slc
	flat_store_short v[8:9], v35 offset:128 glc slc
	flat_store_short v[8:9], v50 offset:256 glc slc
	;; [unrolled: 1-line block ×3, first 2 shown]
	v_add_co_u32_e32 v8, vcc, 0x200, v8
	v_addc_co_u32_e32 v9, vcc, 0, v9, vcc
	v_add_co_u32_e32 v34, vcc, v10, v54
	v_addc_co_u32_e32 v35, vcc, v11, v55, vcc
	;; [unrolled: 2-line block ×4, first 2 shown]
	v_sub_u32_e32 v23, v23, v52
	v_cmp_gt_i32_e32 vcc, 1, v23
	s_or_b64 s[28:29], vcc, s[28:29]
	s_andn2_b64 s[78:79], s[78:79], exec
	s_and_b64 s[90:91], s[88:89], exec
	v_cndmask_b32_e64 v11, v11, v35, s[88:89]
	v_cndmask_b32_e64 v10, v10, v34, s[88:89]
	;; [unrolled: 1-line block ×4, first 2 shown]
	s_or_b64 s[78:79], s[78:79], s[90:91]
	s_andn2_b64 exec, exec, s[28:29]
	s_cbranch_execz .LBB4_1800
.LBB4_1796:                             ;   Parent Loop BB4_47 Depth=1
                                        ;     Parent Loop BB4_1669 Depth=2
                                        ;       Parent Loop BB4_1672 Depth=3
                                        ; =>      This Inner Loop Header: Depth=4
	flat_load_ushort v34, v[12:13] glc slc
	flat_load_ushort v35, v[12:13] offset:128 glc slc
	flat_load_ushort v50, v[12:13] offset:256 glc slc
	;; [unrolled: 1-line block ×3, first 2 shown]
	s_and_saveexec_b64 s[90:91], s[88:89]
	s_cbranch_execz .LBB4_1798
; %bb.1797:                             ;   in Loop: Header=BB4_1796 Depth=4
	flat_store_short v[10:11], v19 glc slc
	flat_store_short v[10:11], v20 offset:128 glc slc
	flat_store_short v[10:11], v21 offset:256 glc slc
	;; [unrolled: 1-line block ×3, first 2 shown]
	flat_store_short v[8:9], v19 glc slc
	flat_store_short v[8:9], v20 offset:128 glc slc
	flat_store_short v[8:9], v21 offset:256 glc slc
	;; [unrolled: 1-line block ×3, first 2 shown]
	v_add_co_u32_e32 v10, vcc, v10, v44
	v_addc_co_u32_e32 v11, vcc, v11, v45, vcc
	v_add_co_u32_e32 v8, vcc, v8, v44
	v_addc_co_u32_e32 v9, vcc, v9, v45, vcc
.LBB4_1798:                             ;   in Loop: Header=BB4_1796 Depth=4
	s_or_b64 exec, exec, s[90:91]
	v_add_co_u32_e32 v3, vcc, v12, v44
	v_addc_co_u32_e32 v4, vcc, v13, v45, vcc
	v_sub_u32_e32 v23, v23, v57
	v_mov_b32_e32 v12, 0
	v_mov_b32_e32 v52, 0
	;; [unrolled: 1-line block ×3, first 2 shown]
	v_cmp_lt_i32_e64 s[88:89], 0, v23
	s_and_saveexec_b64 s[90:91], s[88:89]
	s_cbranch_execz .LBB4_1795
; %bb.1799:                             ;   in Loop: Header=BB4_1796 Depth=4
	flat_load_ushort v19, v[3:4] glc slc
	flat_load_ushort v20, v[3:4] offset:128 glc slc
	flat_load_ushort v21, v[3:4] offset:256 glc slc
	;; [unrolled: 1-line block ×3, first 2 shown]
	v_add_co_u32_e32 v3, vcc, 0x200, v3
	v_mov_b32_e32 v12, v54
	v_addc_co_u32_e32 v4, vcc, 0, v4, vcc
	v_mov_b32_e32 v52, v57
	v_mov_b32_e32 v13, v55
	s_branch .LBB4_1795
.LBB4_1800:                             ;   in Loop: Header=BB4_1672 Depth=3
	s_or_b64 exec, exec, s[28:29]
	s_and_b64 s[28:29], s[78:79], exec
.LBB4_1801:                             ;   in Loop: Header=BB4_1672 Depth=3
	s_or_b64 exec, exec, s[26:27]
	s_and_saveexec_b64 s[26:27], s[28:29]
	s_cbranch_execz .LBB4_1803
; %bb.1802:                             ;   in Loop: Header=BB4_1672 Depth=3
	flat_store_short v[10:11], v19 glc slc
	flat_store_short v[10:11], v20 offset:128 glc slc
	flat_store_short v[10:11], v21 offset:256 glc slc
	;; [unrolled: 1-line block ×3, first 2 shown]
	flat_store_short v[8:9], v19 glc slc
	flat_store_short v[8:9], v20 offset:128 glc slc
	flat_store_short v[8:9], v21 offset:256 glc slc
	;; [unrolled: 1-line block ×3, first 2 shown]
.LBB4_1803:                             ;   in Loop: Header=BB4_1672 Depth=3
	s_or_b64 exec, exec, s[26:27]
	v_lshlrev_b32_e32 v0, 9, v0
	v_cmp_ne_u32_e32 vcc, v15, v0
	s_and_b64 exec, exec, vcc
	s_cbranch_execz .LBB4_1818
; %bb.1804:                             ;   in Loop: Header=BB4_1672 Depth=3
	v_lshlrev_b32_e32 v3, 6, v23
	v_sub_u32_e32 v3, v18, v3
	v_ashrrev_i32_e32 v4, 31, v3
	v_lshrrev_b32_e32 v4, 26, v4
	v_add_u32_e32 v4, v3, v4
	v_and_b32_e32 v8, 0x7fffffc0, v4
	v_sub_u32_e32 v3, v3, v8
	v_lshlrev_b32_e32 v4, 1, v4
	v_and_b32_e32 v4, 0xffffff80, v4
	v_lshlrev_b32_e32 v3, 1, v3
	v_add3_u32 v0, v4, v3, v0
	v_sub_u32_e32 v13, v15, v0
	v_cmp_lt_i32_e32 vcc, 1, v13
	s_and_b64 exec, exec, vcc
	s_cbranch_execz .LBB4_1818
; %bb.1805:                             ;   in Loop: Header=BB4_1672 Depth=3
	v_add_u32_e32 v3, v0, v14
	v_ashrrev_i32_e32 v9, 31, v3
	v_add_co_u32_e32 v0, vcc, v24, v3
	v_addc_co_u32_e32 v4, vcc, v25, v9, vcc
	v_add_co_u32_e32 v10, vcc, v16, v3
	v_addc_co_u32_e32 v11, vcc, v17, v9, vcc
	;; [unrolled: 2-line block ×3, first 2 shown]
	s_mov_b64 s[90:91], 0
	s_mov_b64 s[78:79], 0
                                        ; implicit-def: $sgpr88_sgpr89
                                        ; implicit-def: $vgpr3
.LBB4_1806:                             ;   Parent Loop BB4_47 Depth=1
                                        ;     Parent Loop BB4_1669 Depth=2
                                        ;       Parent Loop BB4_1672 Depth=3
                                        ; =>      This Loop Header: Depth=4
                                        ;           Child Loop BB4_1808 Depth 5
                                        ;           Child Loop BB4_1813 Depth 5
	flat_load_ushort v12, v[8:9] glc slc
	s_and_saveexec_b64 s[92:93], s[90:91]
	s_cbranch_execz .LBB4_1810
; %bb.1807:                             ;   in Loop: Header=BB4_1806 Depth=4
	s_mov_b64 s[94:95], 0
	s_mov_b64 s[90:91], -1
.LBB4_1808:                             ;   Parent Loop BB4_47 Depth=1
                                        ;     Parent Loop BB4_1669 Depth=2
                                        ;       Parent Loop BB4_1672 Depth=3
                                        ;         Parent Loop BB4_1806 Depth=4
                                        ; =>        This Inner Loop Header: Depth=5
	s_cmp_eq_u32 s94, 1
	s_cselect_b64 s[26:27], -1, 0
	v_cndmask_b32_e64 v15, v4, v11, s[26:27]
	v_cndmask_b32_e64 v14, v0, v10, s[26:27]
	s_waitcnt vmcnt(0)
	flat_store_short v[14:15], v3 glc slc
	v_add_co_u32_e32 v14, vcc, 0x80, v14
	s_cmp_eq_u32 s94, 0
	v_addc_co_u32_e32 v15, vcc, 0, v15, vcc
	s_cselect_b64 vcc, -1, 0
	s_and_b64 s[28:29], exec, s[90:91]
	s_mov_b64 s[94:95], 1
	v_cndmask_b32_e64 v10, v10, v14, s[26:27]
	s_mov_b64 s[90:91], 0
	v_cndmask_b32_e64 v11, v11, v15, s[26:27]
	v_cndmask_b32_e32 v4, v4, v15, vcc
	v_cndmask_b32_e32 v0, v0, v14, vcc
	s_mov_b64 vcc, s[28:29]
	s_cbranch_vccnz .LBB4_1808
; %bb.1809:                             ;   in Loop: Header=BB4_1806 Depth=4
	v_add_co_u32_e32 v0, vcc, v0, v40
	v_addc_co_u32_e32 v4, vcc, v4, v41, vcc
	v_add_co_u32_e32 v10, vcc, v10, v40
	v_addc_co_u32_e32 v11, vcc, v11, v41, vcc
.LBB4_1810:                             ;   in Loop: Header=BB4_1806 Depth=4
	s_or_b64 exec, exec, s[92:93]
	buffer_load_dword v14, off, s[0:3], s33 offset:128 ; 4-byte Folded Reload
	s_waitcnt vmcnt(0)
	v_add_co_u32_e32 v8, vcc, v14, v8
	v_lshlrev_b32_e32 v14, 7, v57
	v_sub_u32_e32 v13, v13, v14
	v_addc_co_u32_e32 v9, vcc, v7, v9, vcc
	v_cmp_lt_i32_e64 s[90:91], 1, v13
	s_and_saveexec_b64 s[26:27], s[90:91]
	s_cbranch_execz .LBB4_1812
; %bb.1811:                             ;   in Loop: Header=BB4_1806 Depth=4
	flat_load_ushort v3, v[8:9] glc slc
	v_add_co_u32_e32 v8, vcc, 0x80, v8
	v_addc_co_u32_e32 v9, vcc, 0, v9, vcc
.LBB4_1812:                             ;   in Loop: Header=BB4_1806 Depth=4
	s_or_b64 exec, exec, s[26:27]
	s_mov_b64 s[94:95], 0
	s_mov_b64 s[92:93], -1
.LBB4_1813:                             ;   Parent Loop BB4_47 Depth=1
                                        ;     Parent Loop BB4_1669 Depth=2
                                        ;       Parent Loop BB4_1672 Depth=3
                                        ;         Parent Loop BB4_1806 Depth=4
                                        ; =>        This Inner Loop Header: Depth=5
	s_cmp_eq_u32 s94, 1
	s_cselect_b64 s[26:27], -1, 0
	v_cndmask_b32_e64 v15, v4, v11, s[26:27]
	v_cndmask_b32_e64 v14, v0, v10, s[26:27]
	s_waitcnt lgkmcnt(0)
	flat_store_short v[14:15], v12 glc slc
	v_add_co_u32_e32 v14, vcc, 0x80, v14
	s_cmp_eq_u32 s94, 0
	v_addc_co_u32_e32 v15, vcc, 0, v15, vcc
	s_cselect_b64 vcc, -1, 0
	s_and_b64 s[28:29], exec, s[92:93]
	s_mov_b64 s[94:95], 1
	v_cndmask_b32_e64 v10, v10, v14, s[26:27]
	s_mov_b64 s[92:93], 0
	v_cndmask_b32_e64 v11, v11, v15, s[26:27]
	v_cndmask_b32_e32 v4, v4, v15, vcc
	v_cndmask_b32_e32 v0, v0, v14, vcc
	s_mov_b64 vcc, s[28:29]
	s_cbranch_vccnz .LBB4_1813
; %bb.1814:                             ;   in Loop: Header=BB4_1806 Depth=4
	v_add_co_u32_e32 v12, vcc, v0, v40
	v_addc_co_u32_e32 v14, vcc, v4, v41, vcc
	v_add_co_u32_e32 v15, vcc, v10, v40
	v_addc_co_u32_e32 v16, vcc, v11, v41, vcc
	v_cndmask_b32_e64 v18, 0, v40, s[90:91]
	v_cndmask_b32_e64 v17, 0, v41, s[90:91]
	v_add_co_u32_e32 v8, vcc, v8, v18
	v_addc_co_u32_e32 v9, vcc, v9, v17, vcc
	v_lshlrev_b32_e32 v17, 7, v57
	v_cndmask_b32_e64 v17, 0, v17, s[90:91]
	v_sub_u32_e32 v13, v13, v17
	v_cmp_gt_i32_e32 vcc, 2, v13
	s_or_b64 s[78:79], vcc, s[78:79]
	s_andn2_b64 s[26:27], s[88:89], exec
	s_and_b64 s[28:29], s[90:91], exec
	v_cndmask_b32_e64 v11, v11, v16, s[90:91]
	v_cndmask_b32_e64 v10, v10, v15, s[90:91]
	;; [unrolled: 1-line block ×4, first 2 shown]
	s_or_b64 s[88:89], s[26:27], s[28:29]
	s_andn2_b64 exec, exec, s[78:79]
	s_cbranch_execnz .LBB4_1806
; %bb.1815:                             ;   in Loop: Header=BB4_1672 Depth=3
	s_or_b64 exec, exec, s[78:79]
	s_and_b64 exec, exec, s[88:89]
	s_cbranch_execz .LBB4_1818
; %bb.1816:                             ;   in Loop: Header=BB4_1672 Depth=3
	s_mov_b64 s[88:89], 0
	s_mov_b64 s[78:79], -1
	s_waitcnt vmcnt(0)
.LBB4_1817:                             ;   Parent Loop BB4_47 Depth=1
                                        ;     Parent Loop BB4_1669 Depth=2
                                        ;       Parent Loop BB4_1672 Depth=3
                                        ; =>      This Inner Loop Header: Depth=4
	s_cmp_eq_u32 s88, 1
	s_cselect_b64 s[26:27], -1, 0
	v_cndmask_b32_e64 v8, v12, v15, s[26:27]
	v_cndmask_b32_e64 v9, v14, v16, s[26:27]
	v_add_co_u32_e32 v0, vcc, 0x80, v8
	s_cmp_eq_u32 s88, 0
	v_addc_co_u32_e32 v4, vcc, 0, v9, vcc
	s_cselect_b64 vcc, -1, 0
	s_and_b64 s[28:29], exec, s[78:79]
	s_mov_b64 s[88:89], 1
	v_cndmask_b32_e64 v15, v15, v0, s[26:27]
	s_mov_b64 s[78:79], 0
	v_cndmask_b32_e32 v14, v14, v4, vcc
	v_cndmask_b32_e32 v12, v12, v0, vcc
	v_cndmask_b32_e64 v16, v16, v4, s[26:27]
	s_mov_b64 vcc, s[28:29]
	flat_store_short v[8:9], v3 glc slc
	s_cbranch_vccnz .LBB4_1817
.LBB4_1818:                             ;   in Loop: Header=BB4_1672 Depth=3
	s_or_b64 exec, exec, s[40:41]
	s_mov_b64 s[26:27], 0
.LBB4_1819:                             ;   in Loop: Header=BB4_1672 Depth=3
	s_and_b64 vcc, exec, s[26:27]
	s_cbranch_vccz .LBB4_1833
; %bb.1820:                             ;   in Loop: Header=BB4_1672 Depth=3
	s_mov_b64 s[26:27], -1
	s_and_saveexec_b64 s[28:29], s[20:21]
	s_cbranch_execz .LBB4_1822
; %bb.1821:                             ;   in Loop: Header=BB4_1672 Depth=3
	s_waitcnt vmcnt(0)
	ds_read_b32 v0, v0 offset:720
	s_waitcnt lgkmcnt(0)
	v_and_b32_e32 v0, 15, v0
	v_cmp_eq_u32_e32 vcc, 0, v0
	s_orn2_b64 s[26:27], vcc, exec
.LBB4_1822:                             ;   in Loop: Header=BB4_1672 Depth=3
	s_or_b64 exec, exec, s[28:29]
	s_and_saveexec_b64 s[28:29], s[18:19]
	s_cbranch_execz .LBB4_1824
; %bb.1823:                             ;   in Loop: Header=BB4_1672 Depth=3
	s_waitcnt vmcnt(0)
	ds_read_b32 v0, v0 offset:784
	s_waitcnt lgkmcnt(0)
	v_and_b32_e32 v0, 15, v0
	v_cmp_eq_u32_e32 vcc, 0, v0
	s_and_b64 s[40:41], s[26:27], vcc
	s_andn2_b64 s[26:27], s[26:27], exec
	s_and_b64 s[40:41], s[40:41], exec
	s_or_b64 s[26:27], s[26:27], s[40:41]
.LBB4_1824:                             ;   in Loop: Header=BB4_1672 Depth=3
	s_or_b64 exec, exec, s[28:29]
	s_xor_b64 s[26:27], s[26:27], -1
	s_waitcnt vmcnt(0)
	v_cndmask_b32_e64 v0, 0, 1, s[26:27]
	s_mov_b64 s[40:41], -1
	v_cmp_ne_u32_e32 vcc, 0, v0
	s_cbranch_vccz .LBB4_1834
; %bb.1825:                             ;   in Loop: Header=BB4_1672 Depth=3
	s_mov_b64 s[28:29], -1
	v_mov_b32_e32 v12, 0
	s_cbranch_execnz .LBB4_1835
.LBB4_1826:                             ;   in Loop: Header=BB4_1672 Depth=3
	buffer_load_dword v3, off, s[0:3], s33 offset:208 ; 4-byte Folded Reload
	v_ashrrev_i32_e32 v0, 31, v61
	v_lshrrev_b32_e32 v0, 21, v0
	v_add_u32_e32 v0, v61, v0
	v_ashrrev_i32_e32 v0, 11, v0
	s_mov_b64 s[40:41], 0
                                        ; implicit-def: $vgpr8_vgpr9
                                        ; implicit-def: $vgpr12_vgpr13
	s_waitcnt vmcnt(0)
	v_sub_u32_e32 v34, v0, v3
	buffer_load_dword v3, off, s[0:3], s33 offset:212 ; 4-byte Folded Reload
	s_waitcnt vmcnt(0)
	v_add_co_u32_e32 v50, vcc, v24, v3
	v_addc_co_u32_e32 v51, vcc, 0, v25, vcc
	v_cmp_lt_i32_e32 vcc, 0, v34
	s_and_saveexec_b64 s[26:27], vcc
	s_cbranch_execz .LBB4_1837
; %bb.1827:                             ;   in Loop: Header=BB4_1672 Depth=3
	buffer_load_dword v3, off, s[0:3], s33 offset:212 ; 4-byte Folded Reload
	s_mov_b64 s[88:89], 0
                                        ; implicit-def: $sgpr78_sgpr79
                                        ; implicit-def: $vgpr8_vgpr9
                                        ; implicit-def: $vgpr12_vgpr13
	s_waitcnt vmcnt(0)
	v_add_co_u32_e32 v3, vcc, v30, v3
	v_addc_co_u32_e32 v4, vcc, 0, v31, vcc
	s_branch .LBB4_1829
.LBB4_1828:                             ;   in Loop: Header=BB4_1829 Depth=4
	s_or_b64 exec, exec, s[90:91]
	global_store_dwordx4 v[50:51], v[16:19], off glc slc
	global_store_dwordx4 v[50:51], v[20:23], off offset:1024 glc slc
	s_waitcnt vmcnt(0)
	v_add_co_u32_e32 v16, vcc, v50, v52
	v_addc_co_u32_e32 v17, vcc, v51, v53, vcc
	v_add_co_u32_e32 v50, vcc, 0x800, v16
	v_addc_co_u32_e32 v51, vcc, 0, v17, vcc
	;; [unrolled: 2-line block ×3, first 2 shown]
	v_sub_u32_e32 v34, v34, v35
	v_cmp_gt_i32_e32 vcc, 1, v34
	s_or_b64 s[40:41], vcc, s[40:41]
	s_andn2_b64 s[78:79], s[78:79], exec
	s_and_b64 s[90:91], s[88:89], exec
	s_or_b64 s[78:79], s[78:79], s[90:91]
	s_andn2_b64 exec, exec, s[40:41]
	s_cbranch_execz .LBB4_1836
.LBB4_1829:                             ;   Parent Loop BB4_47 Depth=1
                                        ;     Parent Loop BB4_1669 Depth=2
                                        ;       Parent Loop BB4_1672 Depth=3
                                        ; =>      This Inner Loop Header: Depth=4
	global_load_dwordx4 v[16:19], v[3:4], off glc slc
	global_load_dwordx4 v[20:23], v[3:4], off offset:1024 glc slc
	s_and_saveexec_b64 s[90:91], s[88:89]
	s_cbranch_execz .LBB4_1831
; %bb.1830:                             ;   in Loop: Header=BB4_1829 Depth=4
	buffer_load_dword v35, off, s[0:3], s33 offset:132 ; 4-byte Folded Reload
	s_waitcnt vmcnt(0)
	v_add_co_u32_e32 v52, vcc, v50, v35
	buffer_load_dword v35, off, s[0:3], s33 offset:136 ; 4-byte Folded Reload
	s_nop 0
	global_store_dwordx4 v[50:51], v[8:11], off glc slc
	global_store_dwordx4 v[50:51], v[12:15], off offset:1024 glc slc
	s_waitcnt vmcnt(0)
	v_addc_co_u32_e32 v53, vcc, v51, v35, vcc
	v_mov_b32_e32 v50, v52
	v_mov_b32_e32 v51, v53
.LBB4_1831:                             ;   in Loop: Header=BB4_1829 Depth=4
	s_or_b64 exec, exec, s[90:91]
	buffer_load_dword v35, off, s[0:3], s33 offset:132 ; 4-byte Folded Reload
	v_sub_u32_e32 v34, v34, v57
	v_mov_b32_e32 v52, 0
	v_mov_b32_e32 v53, 0
	v_cmp_lt_i32_e64 s[88:89], 0, v34
	s_waitcnt vmcnt(0)
	v_add_co_u32_e32 v3, vcc, v3, v35
	buffer_load_dword v35, off, s[0:3], s33 offset:136 ; 4-byte Folded Reload
	s_waitcnt vmcnt(0)
	v_addc_co_u32_e32 v4, vcc, v4, v35, vcc
	v_mov_b32_e32 v35, 0
	s_and_saveexec_b64 s[90:91], s[88:89]
	s_cbranch_execz .LBB4_1828
; %bb.1832:                             ;   in Loop: Header=BB4_1829 Depth=4
	global_load_dwordx4 v[8:11], v[3:4], off glc slc
	global_load_dwordx4 v[12:15], v[3:4], off offset:1024 glc slc
	buffer_load_dword v52, off, s[0:3], s33 offset:180 ; 4-byte Folded Reload
	buffer_load_dword v53, off, s[0:3], s33 offset:184 ; 4-byte Folded Reload
	v_add_co_u32_e32 v3, vcc, 0x800, v3
	v_addc_co_u32_e32 v4, vcc, 0, v4, vcc
	v_mov_b32_e32 v35, v57
	s_branch .LBB4_1828
.LBB4_1833:                             ;   in Loop: Header=BB4_1672 Depth=3
	v_cmp_lt_i32_e64 s[26:27], 0, v27
	s_and_saveexec_b64 s[28:29], s[10:11]
	s_cbranch_execnz .LBB4_1877
	s_branch .LBB4_1761
.LBB4_1834:                             ;   in Loop: Header=BB4_1672 Depth=3
	s_mov_b64 s[28:29], 0
	s_andn2_b64 vcc, exec, s[40:41]
	v_mov_b32_e32 v12, 0
	s_cbranch_vccz .LBB4_1826
.LBB4_1835:                             ;   in Loop: Header=BB4_1672 Depth=3
	buffer_load_dword v8, off, s[0:3], s33 offset:204 ; 4-byte Folded Reload
	buffer_load_dword v0, off, s[0:3], s33 offset:188 ; 4-byte Folded Reload
	s_and_saveexec_b64 s[26:27], s[28:29]
	s_cbranch_execnz .LBB4_1856
	s_branch .LBB4_1876
.LBB4_1836:                             ;   in Loop: Header=BB4_1672 Depth=3
	s_or_b64 exec, exec, s[40:41]
	s_and_b64 s[40:41], s[78:79], exec
.LBB4_1837:                             ;   in Loop: Header=BB4_1672 Depth=3
	s_or_b64 exec, exec, s[26:27]
	s_and_saveexec_b64 s[26:27], s[40:41]
	s_cbranch_execz .LBB4_1839
; %bb.1838:                             ;   in Loop: Header=BB4_1672 Depth=3
	global_store_dwordx4 v[50:51], v[8:11], off glc slc
	global_store_dwordx4 v[50:51], v[12:15], off offset:1024 glc slc
.LBB4_1839:                             ;   in Loop: Header=BB4_1672 Depth=3
	s_or_b64 exec, exec, s[26:27]
	v_lshlrev_b32_e32 v3, 11, v0
	v_cmp_ne_u32_e32 vcc, v61, v3
                                        ; implicit-def: $vgpr12
                                        ; implicit-def: $vgpr8
                                        ; implicit-def: $vgpr0
	s_and_saveexec_b64 s[40:41], vcc
	s_cbranch_execz .LBB4_1855
; %bb.1840:                             ;   in Loop: Header=BB4_1672 Depth=3
	buffer_load_dword v4, off, s[0:3], s33 offset:188 ; 4-byte Folded Reload
	v_lshlrev_b32_e32 v0, 6, v34
	v_sub_u32_e32 v8, v61, v3
	v_ashrrev_i32_e32 v11, 31, v8
	v_lshrrev_b32_e32 v11, 22, v11
	v_add_u32_e32 v11, v8, v11
	v_and_b32_e32 v20, 0xfffffc00, v11
	v_sub_u32_e32 v22, v8, v20
	v_ashrrev_i32_e32 v12, 10, v11
	v_cmp_lt_i32_e64 s[26:27], 15, v22
	s_mov_b64 s[88:89], 0
	s_waitcnt vmcnt(0)
	v_sub_u32_e32 v0, v4, v0
	v_ashrrev_i32_e32 v4, 31, v0
	v_lshrrev_b32_e32 v4, 26, v4
	v_add_u32_e32 v4, v0, v4
	v_ashrrev_i32_e32 v9, 6, v4
	v_and_b32_e32 v4, 0xffffffc0, v4
	v_sub_u32_e32 v4, v0, v4
	v_lshlrev_b32_e32 v0, 4, v4
	v_lshl_add_u32 v0, v9, 10, v0
	v_add_u32_e32 v10, v0, v3
	v_sub_u32_e32 v0, v8, v0
	v_addc_co_u32_e64 v8, vcc, 0, v12, s[26:27]
	v_ashrrev_i32_e32 v11, 31, v10
	v_add_co_u32_e32 v16, vcc, v10, v24
	v_addc_co_u32_e32 v17, vcc, v11, v25, vcc
	v_sub_u32_e32 v21, v8, v9
	v_cmp_lt_i32_e32 vcc, 15, v0
                                        ; implicit-def: $vgpr8_vgpr9
	s_and_saveexec_b64 s[78:79], vcc
	s_cbranch_execz .LBB4_1850
; %bb.1841:                             ;   in Loop: Header=BB4_1672 Depth=3
	v_add_co_u32_e32 v18, vcc, v10, v30
	v_addc_co_u32_e32 v19, vcc, v11, v31, vcc
	s_mov_b64 s[92:93], 0
                                        ; implicit-def: $sgpr90_sgpr91
                                        ; implicit-def: $vgpr8_vgpr9
	s_branch .LBB4_1843
.LBB4_1842:                             ;   in Loop: Header=BB4_1843 Depth=4
	s_or_b64 exec, exec, s[94:95]
	v_cmp_gt_i32_e32 vcc, 16, v0
	s_or_b64 s[88:89], vcc, s[88:89]
	s_andn2_b64 s[90:91], s[90:91], exec
	s_and_b64 s[94:95], s[92:93], exec
	s_or_b64 s[90:91], s[90:91], s[94:95]
	s_andn2_b64 exec, exec, s[88:89]
	s_cbranch_execz .LBB4_1849
.LBB4_1843:                             ;   Parent Loop BB4_47 Depth=1
                                        ;     Parent Loop BB4_1669 Depth=2
                                        ;       Parent Loop BB4_1672 Depth=3
                                        ; =>      This Inner Loop Header: Depth=4
	global_load_dwordx4 v[12:15], v[18:19], off glc slc
	s_and_saveexec_b64 s[94:95], s[92:93]
	s_cbranch_execz .LBB4_1845
; %bb.1844:                             ;   in Loop: Header=BB4_1843 Depth=4
	v_add_co_u32_e32 v34, vcc, v16, v36
	v_addc_co_u32_e32 v35, vcc, v17, v37, vcc
	global_store_dwordx4 v[16:17], v[8:11], off glc slc
	v_mov_b32_e32 v16, v34
	v_mov_b32_e32 v17, v35
.LBB4_1845:                             ;   in Loop: Header=BB4_1843 Depth=4
	s_or_b64 exec, exec, s[94:95]
	v_add_co_u32_e32 v18, vcc, v18, v36
	v_sub_u32_e32 v0, v0, v1
	v_addc_co_u32_e32 v19, vcc, v19, v37, vcc
	v_cmp_lt_i32_e64 s[92:93], 15, v0
	s_and_saveexec_b64 s[94:95], s[92:93]
	s_cbranch_execz .LBB4_1847
; %bb.1846:                             ;   in Loop: Header=BB4_1843 Depth=4
	global_load_dwordx4 v[8:11], v[18:19], off glc slc
	v_add_co_u32_e32 v18, vcc, 0x400, v18
	v_addc_co_u32_e32 v19, vcc, 0, v19, vcc
.LBB4_1847:                             ;   in Loop: Header=BB4_1843 Depth=4
	s_or_b64 exec, exec, s[94:95]
	s_waitcnt vmcnt(0)
	global_store_dwordx4 v[16:17], v[12:15], off glc slc
	v_add_co_u32_e32 v16, vcc, 0x400, v16
	v_sub_u32_e32 v21, v21, v57
	v_addc_co_u32_e32 v17, vcc, 0, v17, vcc
	s_and_saveexec_b64 s[94:95], s[92:93]
	s_cbranch_execz .LBB4_1842
; %bb.1848:                             ;   in Loop: Header=BB4_1843 Depth=4
	v_add_co_u32_e32 v18, vcc, v18, v6
	v_addc_co_u32_e32 v19, vcc, v19, v43, vcc
	v_add_co_u32_e32 v16, vcc, v16, v6
	v_sub_u32_e32 v21, v21, v57
	v_sub_u32_e32 v0, v0, v1
	v_addc_co_u32_e32 v17, vcc, v17, v43, vcc
	s_branch .LBB4_1842
.LBB4_1849:                             ;   in Loop: Header=BB4_1672 Depth=3
	s_or_b64 exec, exec, s[88:89]
	s_and_b64 s[88:89], s[90:91], exec
.LBB4_1850:                             ;   in Loop: Header=BB4_1672 Depth=3
	s_or_b64 exec, exec, s[78:79]
	s_and_saveexec_b64 s[78:79], s[88:89]
	s_cbranch_execz .LBB4_1852
; %bb.1851:                             ;   in Loop: Header=BB4_1672 Depth=3
	global_store_dwordx4 v[16:17], v[8:11], off glc slc
.LBB4_1852:                             ;   in Loop: Header=BB4_1672 Depth=3
	s_or_b64 exec, exec, s[78:79]
	v_and_b32_e32 v9, 14, v61
	v_cndmask_b32_e64 v61, v22, v9, s[26:27]
	v_cmp_ne_u32_e32 vcc, 0, v61
	s_mov_b64 s[88:89], s[28:29]
                                        ; implicit-def: $vgpr12
                                        ; implicit-def: $vgpr8
                                        ; implicit-def: $vgpr0
	s_and_saveexec_b64 s[78:79], vcc
	s_cbranch_execz .LBB4_1854
; %bb.1853:                             ;   in Loop: Header=BB4_1672 Depth=3
	v_sub_u32_e32 v0, v22, v9
	v_cndmask_b32_e64 v0, 0, v0, s[26:27]
	v_cmp_lt_i32_e32 vcc, 0, v21
	v_add3_u32 v12, v20, v3, v0
	v_cndmask_b32_e32 v0, 0, v57, vcc
	v_sub_u32_e32 v0, v0, v21
	v_lshl_add_u32 v8, v0, 6, v4
	v_ashrrev_i32_e32 v0, 31, v8
	v_lshrrev_b32_e32 v0, 26, v0
	v_add_u32_e32 v0, v8, v0
	v_and_b32_e32 v0, 0xffffffc0, v0
	v_sub_u32_e32 v0, v8, v0
	s_or_b64 s[88:89], s[28:29], exec
.LBB4_1854:                             ;   in Loop: Header=BB4_1672 Depth=3
	s_or_b64 exec, exec, s[78:79]
	s_andn2_b64 s[26:27], s[28:29], exec
	s_and_b64 s[28:29], s[88:89], exec
	s_or_b64 s[28:29], s[26:27], s[28:29]
.LBB4_1855:                             ;   in Loop: Header=BB4_1672 Depth=3
	s_or_b64 exec, exec, s[40:41]
	s_and_saveexec_b64 s[26:27], s[28:29]
	s_cbranch_execz .LBB4_1876
.LBB4_1856:                             ;   in Loop: Header=BB4_1672 Depth=3
	s_waitcnt vmcnt(0)
	v_ashrrev_i32_e32 v3, 31, v8
	v_lshrrev_b32_e32 v3, 26, v3
	v_add_u32_e32 v3, v8, v3
	v_ashrrev_i32_e32 v4, 6, v3
	v_lshlrev_b32_e32 v3, 9, v4
	v_lshlrev_b32_e32 v8, 1, v0
	v_add3_u32 v3, v12, v8, v3
	v_ashrrev_i32_e32 v8, 31, v61
	v_lshrrev_b32_e32 v8, 23, v8
	v_add_u32_e32 v8, v61, v8
	v_ashrrev_i32_e32 v13, 9, v8
	v_sub_u32_e32 v10, v13, v4
	v_ashrrev_i32_e32 v4, 31, v3
	v_add_co_u32_e32 v8, vcc, v24, v3
	v_addc_co_u32_e32 v9, vcc, v25, v4, vcc
	v_cmp_lt_i32_e32 vcc, 0, v10
	s_mov_b64 s[40:41], 0
                                        ; implicit-def: $vgpr14
                                        ; implicit-def: $vgpr15
                                        ; implicit-def: $vgpr16
                                        ; implicit-def: $vgpr17
	s_and_saveexec_b64 s[28:29], vcc
	s_cbranch_execz .LBB4_1864
; %bb.1857:                             ;   in Loop: Header=BB4_1672 Depth=3
	v_add_co_u32_e32 v3, vcc, v3, v30
	v_addc_co_u32_e32 v4, vcc, v4, v31, vcc
	s_mov_b64 s[88:89], 0
                                        ; implicit-def: $sgpr78_sgpr79
                                        ; implicit-def: $vgpr14
                                        ; implicit-def: $vgpr15
                                        ; implicit-def: $vgpr16
                                        ; implicit-def: $vgpr17
	s_branch .LBB4_1859
.LBB4_1858:                             ;   in Loop: Header=BB4_1859 Depth=4
	s_or_b64 exec, exec, s[90:91]
	s_waitcnt vmcnt(0) lgkmcnt(0)
	flat_store_short v[8:9], v18 glc slc
	flat_store_short v[8:9], v19 offset:128 glc slc
	flat_store_short v[8:9], v20 offset:256 glc slc
	;; [unrolled: 1-line block ×3, first 2 shown]
	v_add_co_u32_e32 v8, vcc, v8, v10
	v_addc_co_u32_e32 v9, vcc, v9, v11, vcc
	v_add_co_u32_e32 v8, vcc, 0x200, v8
	v_addc_co_u32_e32 v9, vcc, 0, v9, vcc
	;; [unrolled: 2-line block ×3, first 2 shown]
	v_sub_u32_e32 v10, v22, v23
	v_cmp_gt_i32_e32 vcc, 1, v10
	s_or_b64 s[40:41], vcc, s[40:41]
	s_andn2_b64 s[78:79], s[78:79], exec
	s_and_b64 s[90:91], s[88:89], exec
	s_or_b64 s[78:79], s[78:79], s[90:91]
	s_andn2_b64 exec, exec, s[40:41]
	s_cbranch_execz .LBB4_1863
.LBB4_1859:                             ;   Parent Loop BB4_47 Depth=1
                                        ;     Parent Loop BB4_1669 Depth=2
                                        ;       Parent Loop BB4_1672 Depth=3
                                        ; =>      This Inner Loop Header: Depth=4
	flat_load_ushort v18, v[3:4] glc slc
	flat_load_ushort v19, v[3:4] offset:128 glc slc
	flat_load_ushort v20, v[3:4] offset:256 glc slc
	;; [unrolled: 1-line block ×3, first 2 shown]
	s_and_saveexec_b64 s[90:91], s[88:89]
	s_cbranch_execz .LBB4_1861
; %bb.1860:                             ;   in Loop: Header=BB4_1859 Depth=4
	flat_store_short v[8:9], v14 glc slc
	flat_store_short v[8:9], v15 offset:128 glc slc
	flat_store_short v[8:9], v16 offset:256 glc slc
	;; [unrolled: 1-line block ×3, first 2 shown]
	v_add_co_u32_e32 v8, vcc, v8, v44
	v_addc_co_u32_e32 v9, vcc, v9, v45, vcc
.LBB4_1861:                             ;   in Loop: Header=BB4_1859 Depth=4
	s_or_b64 exec, exec, s[90:91]
	v_add_co_u32_e32 v3, vcc, v3, v44
	v_sub_u32_e32 v22, v10, v57
	v_mov_b32_e32 v10, 0
	v_addc_co_u32_e32 v4, vcc, v4, v45, vcc
	v_mov_b32_e32 v23, 0
	v_mov_b32_e32 v11, 0
	v_cmp_lt_i32_e64 s[88:89], 0, v22
	s_and_saveexec_b64 s[90:91], s[88:89]
	s_cbranch_execz .LBB4_1858
; %bb.1862:                             ;   in Loop: Header=BB4_1859 Depth=4
	flat_load_ushort v14, v[3:4] glc slc
	flat_load_ushort v15, v[3:4] offset:128 glc slc
	flat_load_ushort v16, v[3:4] offset:256 glc slc
	;; [unrolled: 1-line block ×3, first 2 shown]
	v_add_co_u32_e32 v3, vcc, 0x200, v3
	v_mov_b32_e32 v10, v54
	v_addc_co_u32_e32 v4, vcc, 0, v4, vcc
	v_mov_b32_e32 v23, v57
	v_mov_b32_e32 v11, v55
	s_branch .LBB4_1858
.LBB4_1863:                             ;   in Loop: Header=BB4_1672 Depth=3
	s_or_b64 exec, exec, s[40:41]
	s_and_b64 s[40:41], s[78:79], exec
.LBB4_1864:                             ;   in Loop: Header=BB4_1672 Depth=3
	s_or_b64 exec, exec, s[28:29]
	s_and_saveexec_b64 s[28:29], s[40:41]
	s_cbranch_execz .LBB4_1866
; %bb.1865:                             ;   in Loop: Header=BB4_1672 Depth=3
	flat_store_short v[8:9], v14 glc slc
	flat_store_short v[8:9], v15 offset:128 glc slc
	flat_store_short v[8:9], v16 offset:256 glc slc
	;; [unrolled: 1-line block ×3, first 2 shown]
.LBB4_1866:                             ;   in Loop: Header=BB4_1672 Depth=3
	s_or_b64 exec, exec, s[28:29]
	v_lshlrev_b32_e32 v3, 9, v13
	v_cmp_ne_u32_e32 vcc, v61, v3
	s_and_b64 exec, exec, vcc
	s_cbranch_execz .LBB4_1876
; %bb.1867:                             ;   in Loop: Header=BB4_1672 Depth=3
	v_lshlrev_b32_e32 v4, 6, v10
	v_sub_u32_e32 v0, v0, v4
	v_ashrrev_i32_e32 v4, 31, v0
	v_lshrrev_b32_e32 v4, 26, v4
	v_add_u32_e32 v4, v0, v4
	v_and_b32_e32 v8, 0x7fffffc0, v4
	v_sub_u32_e32 v0, v0, v8
	v_lshlrev_b32_e32 v4, 1, v4
	v_and_b32_e32 v4, 0xffffff80, v4
	v_lshlrev_b32_e32 v0, 1, v0
	v_add3_u32 v0, v4, v0, v3
	v_sub_u32_e32 v10, v61, v0
	v_cmp_lt_i32_e32 vcc, 1, v10
	s_and_b64 exec, exec, vcc
	s_cbranch_execz .LBB4_1876
; %bb.1868:                             ;   in Loop: Header=BB4_1672 Depth=3
	v_add_u32_e32 v0, v0, v12
	v_ashrrev_i32_e32 v4, 31, v0
	v_add_co_u32_e32 v8, vcc, v24, v0
	v_addc_co_u32_e32 v9, vcc, v25, v4, vcc
	v_add_co_u32_e32 v3, vcc, v0, v30
	v_addc_co_u32_e32 v4, vcc, v4, v31, vcc
	s_mov_b64 s[78:79], 0
	s_mov_b64 s[28:29], 0
                                        ; implicit-def: $sgpr40_sgpr41
                                        ; implicit-def: $vgpr0
	s_branch .LBB4_1870
.LBB4_1869:                             ;   in Loop: Header=BB4_1870 Depth=4
	s_or_b64 exec, exec, s[88:89]
	s_waitcnt lgkmcnt(0)
	flat_store_short v[8:9], v12 glc slc
	v_add_co_u32_e32 v8, vcc, v8, v10
	v_addc_co_u32_e32 v9, vcc, v9, v11, vcc
	v_add_co_u32_e32 v3, vcc, v3, v10
	v_addc_co_u32_e32 v4, vcc, v4, v11, vcc
	;; [unrolled: 2-line block ×3, first 2 shown]
	v_sub_u32_e32 v10, v13, v14
	v_cmp_gt_i32_e32 vcc, 2, v10
	s_or_b64 s[28:29], vcc, s[28:29]
	s_andn2_b64 s[40:41], s[40:41], exec
	s_and_b64 s[88:89], s[78:79], exec
	s_or_b64 s[40:41], s[40:41], s[88:89]
	s_andn2_b64 exec, exec, s[28:29]
	s_cbranch_execz .LBB4_1874
.LBB4_1870:                             ;   Parent Loop BB4_47 Depth=1
                                        ;     Parent Loop BB4_1669 Depth=2
                                        ;       Parent Loop BB4_1672 Depth=3
                                        ; =>      This Inner Loop Header: Depth=4
	flat_load_ushort v12, v[3:4] glc slc
	s_and_saveexec_b64 s[88:89], s[78:79]
	s_cbranch_execz .LBB4_1872
; %bb.1871:                             ;   in Loop: Header=BB4_1870 Depth=4
	buffer_load_dword v11, off, s[0:3], s33 offset:128 ; 4-byte Folded Reload
	s_waitcnt vmcnt(0)
	v_add_co_u32_e32 v13, vcc, v8, v11
	v_addc_co_u32_e32 v14, vcc, v9, v7, vcc
	flat_store_short v[8:9], v0 glc slc
	v_mov_b32_e32 v8, v13
	v_mov_b32_e32 v9, v14
.LBB4_1872:                             ;   in Loop: Header=BB4_1870 Depth=4
	s_or_b64 exec, exec, s[88:89]
	buffer_load_dword v11, off, s[0:3], s33 offset:128 ; 4-byte Folded Reload
	v_mov_b32_e32 v14, 0
	s_waitcnt vmcnt(0)
	v_add_co_u32_e32 v3, vcc, v3, v11
	v_lshlrev_b32_e32 v11, 7, v57
	v_sub_u32_e32 v13, v10, v11
	v_mov_b32_e32 v10, 0
	v_addc_co_u32_e32 v4, vcc, v4, v7, vcc
	v_cmp_lt_i32_e64 s[78:79], 1, v13
	v_mov_b32_e32 v11, 0
	s_and_saveexec_b64 s[88:89], s[78:79]
	s_cbranch_execz .LBB4_1869
; %bb.1873:                             ;   in Loop: Header=BB4_1870 Depth=4
	flat_load_ushort v0, v[3:4] glc slc
	v_add_co_u32_e32 v3, vcc, 0x80, v3
	v_mov_b32_e32 v10, v40
	v_addc_co_u32_e32 v4, vcc, 0, v4, vcc
	v_lshlrev_b32_e32 v14, 7, v57
	v_mov_b32_e32 v11, v41
	s_branch .LBB4_1869
.LBB4_1874:                             ;   in Loop: Header=BB4_1672 Depth=3
	s_or_b64 exec, exec, s[28:29]
	s_and_b64 exec, exec, s[40:41]
	s_cbranch_execz .LBB4_1876
; %bb.1875:                             ;   in Loop: Header=BB4_1672 Depth=3
	s_waitcnt vmcnt(0)
	flat_store_short v[8:9], v0 glc slc
.LBB4_1876:                             ;   in Loop: Header=BB4_1672 Depth=3
	s_or_b64 exec, exec, s[26:27]
	v_cmp_lt_i32_e64 s[26:27], 0, v27
	s_and_saveexec_b64 s[28:29], s[10:11]
	s_cbranch_execz .LBB4_1761
.LBB4_1877:                             ;   in Loop: Header=BB4_1672 Depth=3
	s_and_saveexec_b64 s[40:41], s[58:59]
	s_xor_b64 s[40:41], exec, s[40:41]
	s_cbranch_execz .LBB4_1892
; %bb.1878:                             ;   in Loop: Header=BB4_1672 Depth=3
	s_and_saveexec_b64 s[78:79], s[16:17]
	s_cbranch_execz .LBB4_1891
; %bb.1879:                             ;   in Loop: Header=BB4_1672 Depth=3
	s_mov_b64 s[90:91], exec
	s_waitcnt vmcnt(0)
	v_mbcnt_lo_u32_b32 v0, s90, 0
	v_mbcnt_hi_u32_b32 v0, s91, v0
	v_cmp_eq_u32_e32 vcc, 0, v0
	s_waitcnt lgkmcnt(0)
	buffer_wbinvl1_vol
	s_and_saveexec_b64 s[88:89], vcc
	s_cbranch_execz .LBB4_1881
; %bb.1880:                             ;   in Loop: Header=BB4_1672 Depth=3
	s_bcnt1_i32_b64 s90, s[90:91]
	v_mov_b32_e32 v3, s90
	v_mov_b32_e32 v4, v2
	ds_add_u64 v0, v[3:4]
	s_trap 2
.LBB4_1881:                             ;   in Loop: Header=BB4_1672 Depth=3
	s_or_b64 exec, exec, s[88:89]
	s_trap 2
	ds_read_b64 v[3:4], v0
	s_waitcnt lgkmcnt(0)
	v_add_co_u32_e32 v48, vcc, v48, v57
	v_addc_co_u32_e32 v49, vcc, 0, v49, vcc
	v_cmp_lt_u64_e32 vcc, v[3:4], v[48:49]
	s_and_saveexec_b64 s[88:89], vcc
	s_cbranch_execz .LBB4_1890
; %bb.1882:                             ;   in Loop: Header=BB4_1672 Depth=3
	s_mov_b32 s36, 0
	s_mov_b64 s[90:91], 0
                                        ; implicit-def: $sgpr92_sgpr93
                                        ; implicit-def: $sgpr94_sgpr95
	s_branch .LBB4_1884
.LBB4_1883:                             ;   in Loop: Header=BB4_1884 Depth=4
	s_or_b64 exec, exec, s[34:35]
	s_and_b64 vcc, exec, vcc
	s_or_b64 s[90:91], vcc, s[90:91]
	s_andn2_b64 s[92:93], s[92:93], exec
	s_and_b64 vcc, s[94:95], exec
	s_or_b64 s[92:93], s[92:93], vcc
	s_andn2_b64 exec, exec, s[90:91]
	s_cbranch_execz .LBB4_1888
.LBB4_1884:                             ;   Parent Loop BB4_47 Depth=1
                                        ;     Parent Loop BB4_1669 Depth=2
                                        ;       Parent Loop BB4_1672 Depth=3
                                        ; =>      This Inner Loop Header: Depth=4
	s_add_i32 s36, s36, 1
	s_cmpk_lg_i32 s36, 0x2710
	s_cselect_b64 s[30:31], -1, 0
	s_and_b64 vcc, exec, s[30:31]
	s_cbranch_vccz .LBB4_1886
; %bb.1885:                             ;   in Loop: Header=BB4_1884 Depth=4
	s_mov_b64 vcc, -1
	s_or_b64 s[94:95], s[94:95], exec
	s_and_saveexec_b64 s[34:35], s[30:31]
	s_cbranch_execz .LBB4_1883
	s_branch .LBB4_1887
.LBB4_1886:                             ;   in Loop: Header=BB4_1884 Depth=4
	s_trap 2
	ds_read_b64 v[3:4], v0
	s_andn2_b64 s[30:31], s[30:31], exec
	s_mov_b32 s36, 0
	s_waitcnt lgkmcnt(0)
	flat_load_dword v0, v[3:4] glc
	s_waitcnt vmcnt(0) lgkmcnt(0)
	buffer_wbinvl1_vol
	v_cmp_eq_u32_e32 vcc, 0, v0
	s_and_b64 vcc, vcc, exec
	s_or_b64 s[30:31], s[30:31], vcc
	s_mov_b64 vcc, -1
	s_or_b64 s[94:95], s[94:95], exec
	s_and_saveexec_b64 s[34:35], s[30:31]
	s_cbranch_execz .LBB4_1883
.LBB4_1887:                             ;   in Loop: Header=BB4_1884 Depth=4
	s_sleep 1
	s_trap 2
	ds_read_b64 v[3:4], v0
	s_waitcnt lgkmcnt(0)
	s_andn2_b64 s[94:95], s[94:95], exec
	v_cmp_ge_u64_e32 vcc, v[3:4], v[48:49]
	s_orn2_b64 vcc, vcc, exec
	s_branch .LBB4_1883
.LBB4_1888:                             ;   in Loop: Header=BB4_1672 Depth=3
	s_or_b64 exec, exec, s[90:91]
	s_and_saveexec_b64 s[90:91], s[92:93]
	s_xor_b64 s[90:91], exec, s[90:91]
	s_cbranch_execz .LBB4_1890
; %bb.1889:                             ;   in Loop: Header=BB4_1672 Depth=3
	v_mov_b32_e32 v0, 1
	ds_write_b32 v0, v0
	s_trap 2
.LBB4_1890:                             ;   in Loop: Header=BB4_1672 Depth=3
	s_or_b64 exec, exec, s[88:89]
	;;#ASMSTART
	s_wakeup
	;;#ASMEND
.LBB4_1891:                             ;   in Loop: Header=BB4_1672 Depth=3
	s_or_b64 exec, exec, s[78:79]
.LBB4_1892:                             ;   in Loop: Header=BB4_1672 Depth=3
	s_andn2_saveexec_b64 s[40:41], s[40:41]
	s_cbranch_execz .LBB4_1894
; %bb.1893:                             ;   in Loop: Header=BB4_1672 Depth=3
	s_waitcnt vmcnt(0) lgkmcnt(0)
	buffer_wbinvl1_vol
	s_barrier
.LBB4_1894:                             ;   in Loop: Header=BB4_1672 Depth=3
	s_or_b64 exec, exec, s[40:41]
	s_or_b64 exec, exec, s[28:29]
                                        ; implicit-def: $vgpr0
	s_and_saveexec_b64 s[28:29], s[24:25]
	s_xor_b64 s[28:29], exec, s[28:29]
	s_cbranch_execnz .LBB4_1762
.LBB4_1895:                             ;   in Loop: Header=BB4_1672 Depth=3
	s_andn2_saveexec_b64 s[26:27], s[28:29]
	s_cbranch_execz .LBB4_1914
.LBB4_1896:                             ;   in Loop: Header=BB4_1672 Depth=3
	s_and_saveexec_b64 s[28:29], s[58:59]
	s_xor_b64 s[28:29], exec, s[28:29]
	s_cbranch_execz .LBB4_1911
; %bb.1897:                             ;   in Loop: Header=BB4_1672 Depth=3
	s_and_saveexec_b64 s[40:41], s[16:17]
	s_cbranch_execz .LBB4_1910
; %bb.1898:                             ;   in Loop: Header=BB4_1672 Depth=3
	s_mov_b64 s[88:89], exec
	s_waitcnt vmcnt(0)
	v_mbcnt_lo_u32_b32 v0, s88, 0
	v_mbcnt_hi_u32_b32 v0, s89, v0
	v_cmp_eq_u32_e32 vcc, 0, v0
	;;#ASMSTART
	s_waitcnt lgkmcnt(0) vmcnt(0)
	;;#ASMEND
	s_and_saveexec_b64 s[78:79], vcc
	s_cbranch_execz .LBB4_1900
; %bb.1899:                             ;   in Loop: Header=BB4_1672 Depth=3
	s_bcnt1_i32_b64 s88, s[88:89]
	v_mov_b32_e32 v3, s88
	v_mov_b32_e32 v4, v2
	s_waitcnt lgkmcnt(0)
	ds_add_u64 v0, v[3:4]
	s_trap 2
.LBB4_1900:                             ;   in Loop: Header=BB4_1672 Depth=3
	s_or_b64 exec, exec, s[78:79]
	s_trap 2
	ds_read_b64 v[3:4], v0
	s_waitcnt lgkmcnt(0)
	v_add_co_u32_e32 v48, vcc, v48, v57
	v_addc_co_u32_e32 v49, vcc, 0, v49, vcc
	v_cmp_lt_u64_e32 vcc, v[3:4], v[48:49]
	s_and_saveexec_b64 s[78:79], vcc
	s_cbranch_execz .LBB4_1909
; %bb.1901:                             ;   in Loop: Header=BB4_1672 Depth=3
	s_mov_b32 s34, 0
	s_mov_b64 s[88:89], 0
                                        ; implicit-def: $sgpr90_sgpr91
                                        ; implicit-def: $sgpr92_sgpr93
	s_branch .LBB4_1903
.LBB4_1902:                             ;   in Loop: Header=BB4_1903 Depth=4
	s_or_b64 exec, exec, s[30:31]
	s_and_b64 s[94:95], exec, vcc
	s_or_b64 s[88:89], s[94:95], s[88:89]
	s_andn2_b64 s[90:91], s[90:91], exec
	s_and_b64 s[94:95], s[92:93], exec
	s_or_b64 s[90:91], s[90:91], s[94:95]
	s_andn2_b64 exec, exec, s[88:89]
	s_cbranch_execz .LBB4_1907
.LBB4_1903:                             ;   Parent Loop BB4_47 Depth=1
                                        ;     Parent Loop BB4_1669 Depth=2
                                        ;       Parent Loop BB4_1672 Depth=3
                                        ; =>      This Inner Loop Header: Depth=4
	s_add_i32 s34, s34, 1
	s_cmpk_lg_i32 s34, 0x2710
	s_cselect_b64 s[94:95], -1, 0
	s_and_b64 vcc, exec, s[94:95]
	s_cbranch_vccz .LBB4_1905
; %bb.1904:                             ;   in Loop: Header=BB4_1903 Depth=4
	s_mov_b64 vcc, -1
	s_or_b64 s[92:93], s[92:93], exec
	s_and_saveexec_b64 s[30:31], s[94:95]
	s_cbranch_execz .LBB4_1902
	s_branch .LBB4_1906
.LBB4_1905:                             ;   in Loop: Header=BB4_1903 Depth=4
	s_trap 2
	ds_read_b64 v[3:4], v0
	s_andn2_b64 s[94:95], s[94:95], exec
	s_mov_b32 s34, 0
	s_waitcnt lgkmcnt(0)
	flat_load_dword v0, v[3:4] glc
	s_waitcnt vmcnt(0) lgkmcnt(0)
	buffer_wbinvl1_vol
	v_cmp_eq_u32_e32 vcc, 0, v0
	s_and_b64 vcc, vcc, exec
	s_or_b64 s[94:95], s[94:95], vcc
	s_mov_b64 vcc, -1
	s_or_b64 s[92:93], s[92:93], exec
	s_and_saveexec_b64 s[30:31], s[94:95]
	s_cbranch_execz .LBB4_1902
.LBB4_1906:                             ;   in Loop: Header=BB4_1903 Depth=4
	s_sleep 1
	s_trap 2
	ds_read_b64 v[3:4], v0
	s_waitcnt lgkmcnt(0)
	s_andn2_b64 s[92:93], s[92:93], exec
	v_cmp_ge_u64_e32 vcc, v[3:4], v[48:49]
	s_orn2_b64 vcc, vcc, exec
	s_branch .LBB4_1902
.LBB4_1907:                             ;   in Loop: Header=BB4_1672 Depth=3
	s_or_b64 exec, exec, s[88:89]
	s_and_saveexec_b64 s[88:89], s[90:91]
	s_xor_b64 s[88:89], exec, s[88:89]
	s_cbranch_execz .LBB4_1909
; %bb.1908:                             ;   in Loop: Header=BB4_1672 Depth=3
	v_mov_b32_e32 v0, 1
	ds_write_b32 v0, v0
	s_trap 2
.LBB4_1909:                             ;   in Loop: Header=BB4_1672 Depth=3
	s_or_b64 exec, exec, s[78:79]
	;;#ASMSTART
	s_wakeup
	;;#ASMEND
.LBB4_1910:                             ;   in Loop: Header=BB4_1672 Depth=3
	s_or_b64 exec, exec, s[40:41]
.LBB4_1911:                             ;   in Loop: Header=BB4_1672 Depth=3
	s_andn2_saveexec_b64 s[28:29], s[28:29]
	s_cbranch_execz .LBB4_1913
; %bb.1912:                             ;   in Loop: Header=BB4_1672 Depth=3
	;;#ASMSTART
	s_waitcnt lgkmcnt(0) vmcnt(0)
	;;#ASMEND
	s_waitcnt vmcnt(0) lgkmcnt(0)
	s_barrier
.LBB4_1913:                             ;   in Loop: Header=BB4_1672 Depth=3
	s_or_b64 exec, exec, s[28:29]
	s_waitcnt vmcnt(0)
	v_and_b32_e32 v0, 16, v5
.LBB4_1914:                             ;   in Loop: Header=BB4_1672 Depth=3
	s_or_b64 exec, exec, s[26:27]
	s_waitcnt vmcnt(0)
	v_cmp_ne_u32_e32 vcc, 0, v0
	s_xor_b64 s[26:27], s[12:13], -1
	s_and_b64 s[28:29], vcc, s[26:27]
	s_and_saveexec_b64 s[26:27], s[28:29]
	s_cbranch_execz .LBB4_1916
; %bb.1915:                             ;   in Loop: Header=BB4_1672 Depth=3
	buffer_load_dword v3, off, s[0:3], s33 offset:164 ; 4-byte Folded Reload
	buffer_load_dword v4, off, s[0:3], s33 offset:168 ; 4-byte Folded Reload
	v_mov_b32_e32 v0, 1
	s_waitcnt vmcnt(0)
	flat_store_dword v[3:4], v0
.LBB4_1916:                             ;   in Loop: Header=BB4_1672 Depth=3
	s_or_b64 exec, exec, s[26:27]
	v_and_b32_e32 v0, 48, v5
	v_cmp_ne_u32_e32 vcc, 0, v0
	s_and_saveexec_b64 s[26:27], vcc
	s_cbranch_execz .LBB4_1671
; %bb.1917:                             ;   in Loop: Header=BB4_1672 Depth=3
	v_add_co_u32_e32 v46, vcc, 2, v46
	v_addc_co_u32_e32 v47, vcc, 0, v47, vcc
	flat_store_dwordx2 v[32:33], v[46:47]
	s_branch .LBB4_1671
.LBB4_1918:                             ;   in Loop: Header=BB4_1669 Depth=2
	s_or_b64 exec, exec, s[42:43]
	v_cmp_gt_i32_e32 vcc, 2, v0
	s_and_saveexec_b64 s[28:29], vcc
	s_cbranch_execz .LBB4_1994
.LBB4_1919:                             ;   in Loop: Header=BB4_1669 Depth=2
	v_cmp_eq_u32_e64 s[42:43], 0, v0
	s_mov_b64 s[40:41], 0
	s_branch .LBB4_1921
.LBB4_1920:                             ;   in Loop: Header=BB4_1921 Depth=3
	s_or_b64 exec, exec, s[26:27]
	v_add_u32_e32 v26, v60, v26
	s_mov_b64 s[42:43], 0
	s_andn2_b64 exec, exec, s[40:41]
	s_cbranch_execz .LBB4_1995
.LBB4_1921:                             ;   Parent Loop BB4_47 Depth=1
                                        ;     Parent Loop BB4_1669 Depth=2
                                        ; =>    This Loop Header: Depth=3
                                        ;         Child Loop BB4_1927 Depth 4
                                        ;         Child Loop BB4_1955 Depth 4
	;; [unrolled: 1-line block ×3, first 2 shown]
	v_sub_u32_e32 v0, v56, v26
	v_min_i32_e32 v60, v60, v0
	v_and_b32_e32 v0, 12, v5
	v_cmp_ne_u32_e32 vcc, 0, v0
	s_and_saveexec_b64 s[44:45], vcc
	s_cbranch_execz .LBB4_1947
; %bb.1922:                             ;   in Loop: Header=BB4_1921 Depth=3
	v_and_b32_e32 v0, 8, v5
	s_waitcnt lgkmcnt(0)
	v_add_co_u32_e32 v3, vcc, v38, v0
	v_addc_co_u32_e32 v4, vcc, 0, v39, vcc
	v_add_co_u32_e32 v8, vcc, 2, v46
	v_addc_co_u32_e32 v9, vcc, 0, v47, vcc
	v_cmp_lt_u64_e32 vcc, v[3:4], v[8:9]
	s_and_saveexec_b64 s[76:77], vcc
	s_cbranch_execz .LBB4_1934
; %bb.1923:                             ;   in Loop: Header=BB4_1921 Depth=3
	v_and_b32_e32 v3, 64, v5
	s_mov_b32 s8, 0
	v_cmp_eq_u32_e32 vcc, 0, v3
	s_mov_b64 s[78:79], 0
                                        ; implicit-def: $sgpr88_sgpr89
                                        ; implicit-def: $sgpr90_sgpr91
                                        ; implicit-def: $sgpr92_sgpr93
	s_branch .LBB4_1927
.LBB4_1924:                             ;   in Loop: Header=BB4_1927 Depth=4
	s_waitcnt vmcnt(0) lgkmcnt(0)
	v_add_co_u32_e64 v10, s[26:27], v38, v0
	v_addc_co_u32_e64 v11, s[26:27], 0, v39, s[26:27]
	v_cmp_ge_u64_e64 s[26:27], v[10:11], v[8:9]
	s_or_b64 s[34:35], s[34:35], exec
	s_orn2_b64 s[30:31], s[26:27], exec
.LBB4_1925:                             ;   in Loop: Header=BB4_1927 Depth=4
	s_or_b64 exec, exec, s[38:39]
	s_andn2_b64 s[26:27], s[92:93], exec
	s_and_b64 s[92:93], s[34:35], exec
	s_or_b64 s[92:93], s[26:27], s[92:93]
	s_andn2_b64 s[26:27], s[90:91], exec
	s_and_b64 s[90:91], s[30:31], exec
	s_or_b64 s[90:91], s[26:27], s[90:91]
.LBB4_1926:                             ;   in Loop: Header=BB4_1927 Depth=4
	s_or_b64 exec, exec, s[94:95]
	s_and_b64 s[26:27], exec, s[90:91]
	s_or_b64 s[78:79], s[26:27], s[78:79]
	s_andn2_b64 s[26:27], s[88:89], exec
	s_and_b64 s[88:89], s[92:93], exec
	s_or_b64 s[88:89], s[26:27], s[88:89]
	s_andn2_b64 exec, exec, s[78:79]
	s_cbranch_execz .LBB4_1931
.LBB4_1927:                             ;   Parent Loop BB4_47 Depth=1
                                        ;     Parent Loop BB4_1669 Depth=2
                                        ;       Parent Loop BB4_1921 Depth=3
                                        ; =>      This Inner Loop Header: Depth=4
	s_sleep 1
	s_waitcnt vmcnt(0) lgkmcnt(0)
	flat_load_dwordx2 v[38:39], v[32:33] glc
	s_or_b64 s[92:93], s[92:93], exec
	s_or_b64 s[90:91], s[90:91], exec
                                        ; implicit-def: $vgpr3
	s_and_saveexec_b64 s[94:95], vcc
	s_cbranch_execz .LBB4_1926
; %bb.1928:                             ;   in Loop: Header=BB4_1927 Depth=4
	s_cmpk_lt_i32 s8, 0x270f
	s_cselect_b64 s[36:37], -1, 0
	s_cmpk_gt_i32 s8, 0x270e
	s_mov_b64 s[30:31], -1
	s_cbranch_scc0 .LBB4_1930
; %bb.1929:                             ;   in Loop: Header=BB4_1927 Depth=4
	s_trap 2
	ds_read_b64 v[3:4], v0
	s_andn2_b64 s[36:37], s[36:37], exec
	s_mov_b32 s8, 0
	s_mov_b64 s[34:35], 0
	s_waitcnt vmcnt(0) lgkmcnt(0)
	flat_load_dword v3, v[3:4] glc
	s_waitcnt vmcnt(0) lgkmcnt(0)
	buffer_wbinvl1_vol
	v_cmp_eq_u32_e64 s[26:27], 0, v3
	s_and_b64 s[26:27], s[26:27], exec
	s_or_b64 s[36:37], s[36:37], s[26:27]
	s_and_saveexec_b64 s[38:39], s[36:37]
	s_cbranch_execz .LBB4_1925
	s_branch .LBB4_1924
.LBB4_1930:                             ;   in Loop: Header=BB4_1927 Depth=4
	s_add_i32 s8, s8, 1
	s_mov_b64 s[34:35], -1
                                        ; implicit-def: $vgpr3
	s_and_saveexec_b64 s[38:39], s[36:37]
	s_cbranch_execz .LBB4_1925
	s_branch .LBB4_1924
.LBB4_1931:                             ;   in Loop: Header=BB4_1921 Depth=3
	s_or_b64 exec, exec, s[78:79]
	s_xor_b64 s[26:27], s[88:89], -1
	s_and_saveexec_b64 s[78:79], s[26:27]
	s_xor_b64 s[26:27], exec, s[78:79]
	s_cbranch_execz .LBB4_1933
; %bb.1932:                             ;   in Loop: Header=BB4_1921 Depth=3
	v_or_b32_e32 v5, 64, v5
	s_waitcnt lgkmcnt(0)
	ds_write_b32 v0, v3
	s_trap 2
.LBB4_1933:                             ;   in Loop: Header=BB4_1921 Depth=3
	s_or_b64 exec, exec, s[26:27]
.LBB4_1934:                             ;   in Loop: Header=BB4_1921 Depth=3
	s_or_b64 exec, exec, s[76:77]
	v_and_b32_e32 v3, 0x108, v5
	v_cmp_ne_u32_e32 vcc, s56, v3
	;;#ASMSTART
	s_wakeup
	;;#ASMEND
                                        ; implicit-def: $vgpr10_vgpr11
	s_and_saveexec_b64 s[26:27], vcc
	s_xor_b64 s[26:27], exec, s[26:27]
; %bb.1935:                             ;   in Loop: Header=BB4_1921 Depth=3
	v_and_b32_e32 v10, 7, v46
	v_mov_b32_e32 v11, v2
                                        ; implicit-def: $vgpr46_vgpr47
; %bb.1936:                             ;   in Loop: Header=BB4_1921 Depth=3
	s_andn2_saveexec_b64 s[26:27], s[26:27]
	s_cbranch_execz .LBB4_1938
; %bb.1937:                             ;   in Loop: Header=BB4_1921 Depth=3
	buffer_load_dword v11, off, s[0:3], s33 offset:148 ; 4-byte Folded Reload
	buffer_load_dword v12, off, s[0:3], s33 offset:152 ; 4-byte Folded Reload
	;; [unrolled: 1-line block ×4, first 2 shown]
	v_and_b32_e32 v10, 7, v46
	v_ashrrev_i32_e32 v61, 31, v60
	s_waitcnt vmcnt(0)
	v_mad_u64_u32 v[3:4], s[76:77], v10, 24, v[11:12]
	v_lshlrev_b64 v[12:13], 1, v[60:61]
	v_mov_b32_e32 v11, v2
	flat_store_dwordx2 v[3:4], v[12:13] offset:8
.LBB4_1938:                             ;   in Loop: Header=BB4_1921 Depth=3
	s_or_b64 exec, exec, s[26:27]
	v_and_b32_e32 v3, 0x100, v5
	v_cmp_ne_u32_e32 vcc, 0, v3
	s_mov_b64 s[26:27], -1
                                        ; implicit-def: $vgpr3_vgpr4
	s_and_saveexec_b64 s[76:77], vcc
	s_cbranch_execz .LBB4_1942
; %bb.1939:                             ;   in Loop: Header=BB4_1921 Depth=3
	buffer_load_dword v12, off, s[0:3], s33 offset:148 ; 4-byte Folded Reload
	buffer_load_dword v13, off, s[0:3], s33 offset:152 ; 4-byte Folded Reload
	;; [unrolled: 1-line block ×4, first 2 shown]
	s_waitcnt vmcnt(0)
	v_mad_u64_u32 v[12:13], s[26:27], v10, 24, v[12:13]
	v_mov_b32_e32 v3, v13
	v_mad_u64_u32 v[3:4], s[26:27], v11, 24, v[3:4]
	v_mov_b32_e32 v13, v3
	flat_load_dword v3, v[12:13]
	s_waitcnt vmcnt(0) lgkmcnt(0)
	v_cmp_ne_u32_e32 vcc, 1, v3
	v_cmp_eq_u32_e64 s[26:27], 1, v3
                                        ; implicit-def: $vgpr3_vgpr4
	s_and_saveexec_b64 s[78:79], s[26:27]
	s_cbranch_execz .LBB4_1941
; %bb.1940:                             ;   in Loop: Header=BB4_1921 Depth=3
	flat_load_dword v3, v[12:13] offset:4 glc
	s_waitcnt vmcnt(0) lgkmcnt(0)
	v_ashrrev_i32_e32 v4, 31, v3
	v_lshrrev_b64 v[3:4], 1, v[3:4]
.LBB4_1941:                             ;   in Loop: Header=BB4_1921 Depth=3
	s_or_b64 exec, exec, s[78:79]
	s_orn2_b64 s[26:27], vcc, exec
.LBB4_1942:                             ;   in Loop: Header=BB4_1921 Depth=3
	s_or_b64 exec, exec, s[76:77]
	s_and_saveexec_b64 s[76:77], s[26:27]
	s_cbranch_execz .LBB4_1944
; %bb.1943:                             ;   in Loop: Header=BB4_1921 Depth=3
	buffer_load_dword v3, off, s[0:3], s33 offset:172 ; 4-byte Folded Reload
	buffer_load_dword v4, off, s[0:3], s33 offset:176 ; 4-byte Folded Reload
	s_waitcnt vmcnt(0)
	v_mul_lo_u32 v11, v11, v3
	v_mul_lo_u32 v12, v10, v4
	v_mad_u64_u32 v[3:4], s[26:27], v10, v3, 0
	v_add3_u32 v4, v4, v12, v11
.LBB4_1944:                             ;   in Loop: Header=BB4_1921 Depth=3
	s_or_b64 exec, exec, s[76:77]
	v_cmp_eq_u32_e32 vcc, 0, v0
	v_mov_b32_e32 v0, 0xd0
	v_mov_b32_e32 v10, 0x88
	v_cndmask_b32_e32 v0, v0, v10, vcc
	buffer_load_dword v10, off, s[0:3], s33 offset:140 ; 4-byte Folded Reload
	buffer_load_dword v11, off, s[0:3], s33 offset:144 ; 4-byte Folded Reload
	v_lshlrev_b64 v[3:4], 1, v[3:4]
	v_add_u32_e32 v0, v0, v0
	s_waitcnt vmcnt(0)
	v_add_co_u32_e32 v3, vcc, v10, v3
	v_addc_co_u32_e32 v4, vcc, v11, v4, vcc
	ds_write_b64 v0, v[3:4] offset:584
	v_and_b32_e32 v0, 0x2000, v5
	v_cmp_ne_u32_e32 vcc, 0, v0
	s_and_saveexec_b64 s[26:27], vcc
	s_cbranch_execz .LBB4_1946
; %bb.1945:                             ;   in Loop: Header=BB4_1921 Depth=3
	ds_read_b64 v[3:4], v0 offset:872
	s_waitcnt lgkmcnt(0)
	v_add_co_u32_e32 v3, vcc, 1, v3
	v_addc_co_u32_e32 v4, vcc, 0, v4, vcc
	ds_write_b64 v0, v[3:4] offset:872
.LBB4_1946:                             ;   in Loop: Header=BB4_1921 Depth=3
	s_or_b64 exec, exec, s[26:27]
	v_mov_b32_e32 v47, v9
	v_mov_b32_e32 v46, v8
.LBB4_1947:                             ;   in Loop: Header=BB4_1921 Depth=3
	s_or_b64 exec, exec, s[44:45]
	s_xor_b64 s[26:27], s[42:43], -1
	s_and_b64 s[26:27], exec, s[26:27]
	s_or_b64 s[40:41], s[26:27], s[40:41]
	s_and_saveexec_b64 s[26:27], s[10:11]
	s_cbranch_execz .LBB4_1966
; %bb.1948:                             ;   in Loop: Header=BB4_1921 Depth=3
	s_and_saveexec_b64 s[42:43], s[58:59]
	s_xor_b64 s[42:43], exec, s[42:43]
	s_cbranch_execz .LBB4_1963
; %bb.1949:                             ;   in Loop: Header=BB4_1921 Depth=3
	s_and_saveexec_b64 s[44:45], s[16:17]
	s_cbranch_execz .LBB4_1962
; %bb.1950:                             ;   in Loop: Header=BB4_1921 Depth=3
	s_mov_b64 s[78:79], exec
	v_mbcnt_lo_u32_b32 v0, s78, 0
	v_mbcnt_hi_u32_b32 v0, s79, v0
	v_cmp_eq_u32_e32 vcc, 0, v0
	s_waitcnt vmcnt(0) lgkmcnt(0)
	buffer_wbinvl1_vol
	s_and_saveexec_b64 s[76:77], vcc
	s_cbranch_execz .LBB4_1952
; %bb.1951:                             ;   in Loop: Header=BB4_1921 Depth=3
	s_bcnt1_i32_b64 s8, s[78:79]
	v_mov_b32_e32 v3, s8
	v_mov_b32_e32 v4, v2
	ds_add_u64 v0, v[3:4]
	s_trap 2
.LBB4_1952:                             ;   in Loop: Header=BB4_1921 Depth=3
	s_or_b64 exec, exec, s[76:77]
	s_trap 2
	ds_read_b64 v[3:4], v0
	s_waitcnt lgkmcnt(0)
	v_add_co_u32_e32 v48, vcc, v48, v57
	v_addc_co_u32_e32 v49, vcc, 0, v49, vcc
	v_cmp_lt_u64_e32 vcc, v[3:4], v[48:49]
	s_and_saveexec_b64 s[76:77], vcc
	s_cbranch_execz .LBB4_1961
; %bb.1953:                             ;   in Loop: Header=BB4_1921 Depth=3
	s_mov_b32 s8, 0
	s_mov_b64 s[78:79], 0
                                        ; implicit-def: $sgpr88_sgpr89
                                        ; implicit-def: $sgpr90_sgpr91
	s_branch .LBB4_1955
.LBB4_1954:                             ;   in Loop: Header=BB4_1955 Depth=4
	s_or_b64 exec, exec, s[94:95]
	s_and_b64 s[92:93], exec, vcc
	s_or_b64 s[78:79], s[92:93], s[78:79]
	s_andn2_b64 s[88:89], s[88:89], exec
	s_and_b64 s[92:93], s[90:91], exec
	s_or_b64 s[88:89], s[88:89], s[92:93]
	s_andn2_b64 exec, exec, s[78:79]
	s_cbranch_execz .LBB4_1959
.LBB4_1955:                             ;   Parent Loop BB4_47 Depth=1
                                        ;     Parent Loop BB4_1669 Depth=2
                                        ;       Parent Loop BB4_1921 Depth=3
                                        ; =>      This Inner Loop Header: Depth=4
	s_add_i32 s8, s8, 1
	s_cmpk_lg_i32 s8, 0x2710
	s_cselect_b64 s[92:93], -1, 0
	s_and_b64 vcc, exec, s[92:93]
	s_cbranch_vccz .LBB4_1957
; %bb.1956:                             ;   in Loop: Header=BB4_1955 Depth=4
	s_mov_b64 vcc, -1
	s_or_b64 s[90:91], s[90:91], exec
	s_and_saveexec_b64 s[94:95], s[92:93]
	s_cbranch_execz .LBB4_1954
	s_branch .LBB4_1958
.LBB4_1957:                             ;   in Loop: Header=BB4_1955 Depth=4
	s_trap 2
	ds_read_b64 v[3:4], v0
	s_andn2_b64 s[92:93], s[92:93], exec
	s_mov_b32 s8, 0
	s_waitcnt lgkmcnt(0)
	flat_load_dword v0, v[3:4] glc
	s_waitcnt vmcnt(0) lgkmcnt(0)
	buffer_wbinvl1_vol
	v_cmp_eq_u32_e32 vcc, 0, v0
	s_and_b64 s[94:95], vcc, exec
	s_or_b64 s[92:93], s[92:93], s[94:95]
	s_mov_b64 vcc, -1
	s_or_b64 s[90:91], s[90:91], exec
	s_and_saveexec_b64 s[94:95], s[92:93]
	s_cbranch_execz .LBB4_1954
.LBB4_1958:                             ;   in Loop: Header=BB4_1955 Depth=4
	s_sleep 1
	s_trap 2
	ds_read_b64 v[3:4], v0
	s_waitcnt lgkmcnt(0)
	s_andn2_b64 s[90:91], s[90:91], exec
	v_cmp_ge_u64_e32 vcc, v[3:4], v[48:49]
	s_orn2_b64 vcc, vcc, exec
	s_branch .LBB4_1954
.LBB4_1959:                             ;   in Loop: Header=BB4_1921 Depth=3
	s_or_b64 exec, exec, s[78:79]
	s_and_saveexec_b64 s[78:79], s[88:89]
	s_xor_b64 s[78:79], exec, s[78:79]
	s_cbranch_execz .LBB4_1961
; %bb.1960:                             ;   in Loop: Header=BB4_1921 Depth=3
	v_mov_b32_e32 v0, 1
	ds_write_b32 v0, v0
	s_trap 2
.LBB4_1961:                             ;   in Loop: Header=BB4_1921 Depth=3
	s_or_b64 exec, exec, s[76:77]
	;;#ASMSTART
	s_wakeup
	;;#ASMEND
.LBB4_1962:                             ;   in Loop: Header=BB4_1921 Depth=3
	s_or_b64 exec, exec, s[44:45]
.LBB4_1963:                             ;   in Loop: Header=BB4_1921 Depth=3
	s_andn2_saveexec_b64 s[42:43], s[42:43]
	s_cbranch_execz .LBB4_1965
; %bb.1964:                             ;   in Loop: Header=BB4_1921 Depth=3
	s_waitcnt vmcnt(0) lgkmcnt(0)
	buffer_wbinvl1_vol
	s_barrier
.LBB4_1965:                             ;   in Loop: Header=BB4_1921 Depth=3
	s_or_b64 exec, exec, s[42:43]
.LBB4_1966:                             ;   in Loop: Header=BB4_1921 Depth=3
	s_or_b64 exec, exec, s[26:27]
                                        ; implicit-def: $vgpr0
	s_and_saveexec_b64 s[26:27], s[24:25]
	s_xor_b64 s[26:27], exec, s[26:27]
	s_cbranch_execz .LBB4_1970
; %bb.1967:                             ;   in Loop: Header=BB4_1921 Depth=3
	s_trap 2
	ds_read_b32 v0, v0
	v_cmp_lt_i32_e32 vcc, 0, v60
	v_and_b32_e32 v3, 16, v5
	s_waitcnt lgkmcnt(0)
	v_readfirstlane_b32 s8, v0
	s_cmp_eq_u32 s8, 0
	s_cselect_b64 s[42:43], -1, 0
	s_and_b64 s[42:43], vcc, s[42:43]
	v_cmp_ne_u32_e32 vcc, 0, v3
	v_and_b32_e32 v0, 16, v5
	s_and_b64 s[44:45], vcc, s[42:43]
	s_and_saveexec_b64 s[42:43], s[44:45]
	s_cbranch_execz .LBB4_1969
; %bb.1968:                             ;   in Loop: Header=BB4_1921 Depth=3
	v_mov_b32_e32 v0, 1
	s_waitcnt vmcnt(0)
	buffer_wbinvl1_vol
.LBB4_1969:                             ;   in Loop: Header=BB4_1921 Depth=3
	s_or_b64 exec, exec, s[42:43]
	s_andn2_saveexec_b64 s[26:27], s[26:27]
	s_cbranch_execz .LBB4_1989
	s_branch .LBB4_1971
.LBB4_1970:                             ;   in Loop: Header=BB4_1921 Depth=3
	s_andn2_saveexec_b64 s[26:27], s[26:27]
	s_cbranch_execz .LBB4_1989
.LBB4_1971:                             ;   in Loop: Header=BB4_1921 Depth=3
	s_and_saveexec_b64 s[42:43], s[58:59]
	s_xor_b64 s[42:43], exec, s[42:43]
	s_cbranch_execz .LBB4_1986
; %bb.1972:                             ;   in Loop: Header=BB4_1921 Depth=3
	s_and_saveexec_b64 s[44:45], s[16:17]
	s_cbranch_execz .LBB4_1985
; %bb.1973:                             ;   in Loop: Header=BB4_1921 Depth=3
	s_mov_b64 s[78:79], exec
	v_mbcnt_lo_u32_b32 v0, s78, 0
	v_mbcnt_hi_u32_b32 v0, s79, v0
	v_cmp_eq_u32_e32 vcc, 0, v0
	;;#ASMSTART
	s_waitcnt lgkmcnt(0) vmcnt(0)
	;;#ASMEND
	s_and_saveexec_b64 s[76:77], vcc
	s_cbranch_execz .LBB4_1975
; %bb.1974:                             ;   in Loop: Header=BB4_1921 Depth=3
	s_bcnt1_i32_b64 s8, s[78:79]
	v_mov_b32_e32 v3, s8
	v_mov_b32_e32 v4, v2
	s_waitcnt lgkmcnt(0)
	ds_add_u64 v0, v[3:4]
	s_trap 2
.LBB4_1975:                             ;   in Loop: Header=BB4_1921 Depth=3
	s_or_b64 exec, exec, s[76:77]
	s_trap 2
	ds_read_b64 v[3:4], v0
	s_waitcnt lgkmcnt(0)
	v_add_co_u32_e32 v48, vcc, v48, v57
	v_addc_co_u32_e32 v49, vcc, 0, v49, vcc
	v_cmp_lt_u64_e32 vcc, v[3:4], v[48:49]
	s_and_saveexec_b64 s[76:77], vcc
	s_cbranch_execz .LBB4_1984
; %bb.1976:                             ;   in Loop: Header=BB4_1921 Depth=3
	s_mov_b32 s8, 0
	s_mov_b64 s[78:79], 0
                                        ; implicit-def: $sgpr88_sgpr89
                                        ; implicit-def: $sgpr90_sgpr91
	s_branch .LBB4_1978
.LBB4_1977:                             ;   in Loop: Header=BB4_1978 Depth=4
	s_or_b64 exec, exec, s[94:95]
	s_and_b64 s[92:93], exec, vcc
	s_or_b64 s[78:79], s[92:93], s[78:79]
	s_andn2_b64 s[88:89], s[88:89], exec
	s_and_b64 s[92:93], s[90:91], exec
	s_or_b64 s[88:89], s[88:89], s[92:93]
	s_andn2_b64 exec, exec, s[78:79]
	s_cbranch_execz .LBB4_1982
.LBB4_1978:                             ;   Parent Loop BB4_47 Depth=1
                                        ;     Parent Loop BB4_1669 Depth=2
                                        ;       Parent Loop BB4_1921 Depth=3
                                        ; =>      This Inner Loop Header: Depth=4
	s_add_i32 s8, s8, 1
	s_cmpk_lg_i32 s8, 0x2710
	s_cselect_b64 s[92:93], -1, 0
	s_and_b64 vcc, exec, s[92:93]
	s_cbranch_vccz .LBB4_1980
; %bb.1979:                             ;   in Loop: Header=BB4_1978 Depth=4
	s_mov_b64 vcc, -1
	s_or_b64 s[90:91], s[90:91], exec
	s_and_saveexec_b64 s[94:95], s[92:93]
	s_cbranch_execz .LBB4_1977
	s_branch .LBB4_1981
.LBB4_1980:                             ;   in Loop: Header=BB4_1978 Depth=4
	s_trap 2
	ds_read_b64 v[3:4], v0
	s_andn2_b64 s[92:93], s[92:93], exec
	s_mov_b32 s8, 0
	s_waitcnt vmcnt(0) lgkmcnt(0)
	flat_load_dword v0, v[3:4] glc
	s_waitcnt vmcnt(0) lgkmcnt(0)
	buffer_wbinvl1_vol
	v_cmp_eq_u32_e32 vcc, 0, v0
	s_and_b64 s[94:95], vcc, exec
	s_or_b64 s[92:93], s[92:93], s[94:95]
	s_mov_b64 vcc, -1
	s_or_b64 s[90:91], s[90:91], exec
	s_and_saveexec_b64 s[94:95], s[92:93]
	s_cbranch_execz .LBB4_1977
.LBB4_1981:                             ;   in Loop: Header=BB4_1978 Depth=4
	s_sleep 1
	s_trap 2
	ds_read_b64 v[3:4], v0
	s_waitcnt lgkmcnt(0)
	s_andn2_b64 s[90:91], s[90:91], exec
	v_cmp_ge_u64_e32 vcc, v[3:4], v[48:49]
	s_orn2_b64 vcc, vcc, exec
	s_branch .LBB4_1977
.LBB4_1982:                             ;   in Loop: Header=BB4_1921 Depth=3
	s_or_b64 exec, exec, s[78:79]
	s_and_saveexec_b64 s[78:79], s[88:89]
	s_xor_b64 s[78:79], exec, s[78:79]
	s_cbranch_execz .LBB4_1984
; %bb.1983:                             ;   in Loop: Header=BB4_1921 Depth=3
	v_mov_b32_e32 v0, 1
	ds_write_b32 v0, v0
	s_trap 2
.LBB4_1984:                             ;   in Loop: Header=BB4_1921 Depth=3
	s_or_b64 exec, exec, s[76:77]
	;;#ASMSTART
	s_wakeup
	;;#ASMEND
.LBB4_1985:                             ;   in Loop: Header=BB4_1921 Depth=3
	s_or_b64 exec, exec, s[44:45]
.LBB4_1986:                             ;   in Loop: Header=BB4_1921 Depth=3
	s_andn2_saveexec_b64 s[42:43], s[42:43]
	s_cbranch_execz .LBB4_1988
; %bb.1987:                             ;   in Loop: Header=BB4_1921 Depth=3
	;;#ASMSTART
	s_waitcnt lgkmcnt(0) vmcnt(0)
	;;#ASMEND
	s_waitcnt vmcnt(0) lgkmcnt(0)
	s_barrier
.LBB4_1988:                             ;   in Loop: Header=BB4_1921 Depth=3
	s_or_b64 exec, exec, s[42:43]
	v_and_b32_e32 v0, 16, v5
.LBB4_1989:                             ;   in Loop: Header=BB4_1921 Depth=3
	s_or_b64 exec, exec, s[26:27]
	v_cmp_ne_u32_e32 vcc, 0, v0
	s_xor_b64 s[26:27], s[12:13], -1
	s_and_b64 s[42:43], vcc, s[26:27]
	s_and_saveexec_b64 s[26:27], s[42:43]
	s_cbranch_execz .LBB4_1991
; %bb.1990:                             ;   in Loop: Header=BB4_1921 Depth=3
	buffer_load_dword v3, off, s[0:3], s33 offset:164 ; 4-byte Folded Reload
	buffer_load_dword v4, off, s[0:3], s33 offset:168 ; 4-byte Folded Reload
	v_mov_b32_e32 v0, 1
	s_waitcnt vmcnt(0)
	flat_store_dword v[3:4], v0
.LBB4_1991:                             ;   in Loop: Header=BB4_1921 Depth=3
	s_or_b64 exec, exec, s[26:27]
	v_and_b32_e32 v0, 48, v5
	v_cmp_ne_u32_e32 vcc, 0, v0
	s_and_saveexec_b64 s[26:27], vcc
	s_cbranch_execz .LBB4_1920
; %bb.1992:                             ;   in Loop: Header=BB4_1921 Depth=3
	v_add_co_u32_e32 v46, vcc, 2, v46
	v_addc_co_u32_e32 v47, vcc, 0, v47, vcc
	flat_store_dwordx2 v[32:33], v[46:47]
	s_branch .LBB4_1920
.LBB4_1993:                             ;   in Loop: Header=BB4_1669 Depth=2
	s_or_b64 exec, exec, s[44:45]
	s_or_b64 exec, exec, s[42:43]
	v_cmp_gt_i32_e32 vcc, 2, v0
	s_and_saveexec_b64 s[28:29], vcc
	s_cbranch_execnz .LBB4_1919
.LBB4_1994:                             ;   in Loop: Header=BB4_1669 Depth=2
	s_or_b64 exec, exec, s[28:29]
	s_add_i32 s8, s9, 1
	s_cmp_eq_u32 s9, s97
	s_cbranch_scc0 .LBB4_1996
	s_branch .LBB4_1997
.LBB4_1995:                             ;   in Loop: Header=BB4_1669 Depth=2
	s_or_b64 exec, exec, s[40:41]
	s_or_b64 exec, exec, s[28:29]
	s_add_i32 s8, s9, 1
	s_cmp_eq_u32 s9, s97
	s_cbranch_scc1 .LBB4_1997
.LBB4_1996:                             ;   in Loop: Header=BB4_1669 Depth=2
	s_mov_b32 s9, s8
	s_branch .LBB4_1669
.LBB4_1997:                             ;   in Loop: Header=BB4_47 Depth=1
	buffer_load_dword v10, off, s[0:3], s33 offset:224 ; 4-byte Folded Reload
	buffer_load_dword v11, off, s[0:3], s33 offset:228 ; 4-byte Folded Reload
	v_mov_b32_e32 v26, 0
	s_waitcnt vmcnt(0) lgkmcnt(0)
	v_mul_lo_u32 v8, v10, s96
	v_mul_lo_u32 v0, v11, s87
	v_mad_u64_u32 v[3:4], s[8:9], v10, s87, 0
	v_add3_u32 v4, v4, v8, v0
	buffer_load_dword v8, off, s[0:3], s33 offset:216 ; 4-byte Folded Reload
	buffer_load_dword v9, off, s[0:3], s33 offset:220 ; 4-byte Folded Reload
	v_mov_b32_e32 v0, 0
	s_waitcnt vmcnt(1)
	v_sub_co_u32_e32 v8, vcc, v8, v3
	s_waitcnt vmcnt(0)
	v_subb_co_u32_e32 v9, vcc, v9, v4, vcc
	v_cmp_lt_i64_e32 vcc, v[10:11], v[8:9]
	v_cndmask_b32_e32 v8, v8, v10, vcc
	v_max_i32_e32 v31, 0, v8
	v_add_u32_e32 v9, 31, v31
	v_lshrrev_b32_e32 v9, 1, v9
	v_and_b32_e32 v9, 0x3ffffff0, v9
	v_cmp_lt_i32_e32 vcc, 0, v8
	v_max_i32_e32 v56, s66, v9
	s_and_b64 s[8:9], s[74:75], vcc
	s_and_saveexec_b64 s[28:29], s[8:9]
	s_cbranch_execz .LBB4_2166
; %bb.1998:                             ;   in Loop: Header=BB4_47 Depth=1
	buffer_load_dword v8, off, s[0:3], s33 offset:192 ; 4-byte Folded Reload
	buffer_load_dword v9, off, s[0:3], s33 offset:196 ; 4-byte Folded Reload
	s_mov_b32 s8, 1
	s_mov_b64 s[42:43], -1
	v_mov_b32_e32 v26, 0
	s_mov_b64 s[40:41], 0
	s_waitcnt vmcnt(1)
	v_add_co_u32_e32 v3, vcc, v3, v8
	s_waitcnt vmcnt(0)
	v_addc_co_u32_e32 v4, vcc, v4, v9, vcc
	v_lshlrev_b64 v[24:25], 1, v[3:4]
	s_branch .LBB4_2000
.LBB4_1999:                             ;   in Loop: Header=BB4_2000 Depth=2
	s_or_b64 exec, exec, s[26:27]
	v_add_u32_e32 v26, v56, v26
	v_cmp_ge_i32_e32 vcc, v26, v31
	s_xor_b64 s[26:27], s[42:43], -1
	s_or_b64 s[26:27], s[26:27], vcc
	s_and_b64 s[26:27], exec, s[26:27]
	s_or_b64 s[40:41], s[26:27], s[40:41]
	s_mov_b64 s[42:43], 0
	v_mov_b32_e32 v0, s8
	s_mov_b32 s8, 2
	s_andn2_b64 exec, exec, s[40:41]
	s_cbranch_execz .LBB4_2165
.LBB4_2000:                             ;   Parent Loop BB4_47 Depth=1
                                        ; =>  This Loop Header: Depth=2
                                        ;       Child Loop BB4_2008 Depth 3
                                        ;       Child Loop BB4_2032 Depth 3
	;; [unrolled: 1-line block ×9, first 2 shown]
	s_and_saveexec_b64 s[26:27], s[4:5]
	s_cbranch_execz .LBB4_2002
; %bb.2001:                             ;   in Loop: Header=BB4_2000 Depth=2
	s_trap 2
	ds_read_b128 v[8:11], v0
	v_ashrrev_i32_e32 v27, 31, v26
	v_lshlrev_b64 v[3:4], 1, v[26:27]
	s_waitcnt lgkmcnt(0)
	v_add_co_u32_e32 v0, vcc, v8, v24
	v_addc_co_u32_e32 v9, vcc, v9, v25, vcc
	v_add_co_u32_e32 v8, vcc, v0, v3
	v_addc_co_u32_e32 v9, vcc, v9, v4, vcc
	ds_write_b64 v0, v[8:9]
	v_add_co_u32_e32 v0, vcc, v10, v24
	v_addc_co_u32_e32 v8, vcc, v11, v25, vcc
	v_add_co_u32_e32 v0, vcc, v0, v3
	v_addc_co_u32_e32 v3, vcc, v8, v4, vcc
	v_cmp_ne_u64_e32 vcc, 0, v[10:11]
	v_cndmask_b32_e32 v4, 0, v3, vcc
	v_cndmask_b32_e32 v3, 0, v0, vcc
	ds_write_b64 v0, v[3:4]
.LBB4_2002:                             ;   in Loop: Header=BB4_2000 Depth=2
	s_or_b64 exec, exec, s[26:27]
	v_and_b32_e32 v0, 4, v5
	v_cmp_ne_u32_e32 vcc, 0, v0
	s_and_saveexec_b64 s[44:45], vcc
	s_cbranch_execz .LBB4_2024
; %bb.2003:                             ;   in Loop: Header=BB4_2000 Depth=2
	v_add_co_u32_e32 v8, vcc, 2, v46
	v_addc_co_u32_e32 v9, vcc, 0, v47, vcc
	v_cmp_lt_u64_e32 vcc, v[38:39], v[8:9]
	s_and_saveexec_b64 s[76:77], vcc
	s_cbranch_execz .LBB4_2015
; %bb.2004:                             ;   in Loop: Header=BB4_2000 Depth=2
	v_and_b32_e32 v0, 64, v5
	s_mov_b32 s9, 0
	v_cmp_eq_u32_e32 vcc, 0, v0
	s_mov_b64 s[78:79], 0
                                        ; implicit-def: $sgpr88_sgpr89
                                        ; implicit-def: $sgpr90_sgpr91
                                        ; implicit-def: $sgpr92_sgpr93
	s_branch .LBB4_2008
.LBB4_2005:                             ;   in Loop: Header=BB4_2008 Depth=3
	s_waitcnt vmcnt(0) lgkmcnt(0)
	v_cmp_ge_u64_e64 s[26:27], v[38:39], v[8:9]
	s_or_b64 s[34:35], s[34:35], exec
	s_orn2_b64 s[30:31], s[26:27], exec
.LBB4_2006:                             ;   in Loop: Header=BB4_2008 Depth=3
	s_or_b64 exec, exec, s[38:39]
	s_andn2_b64 s[26:27], s[92:93], exec
	s_and_b64 s[92:93], s[34:35], exec
	s_or_b64 s[92:93], s[26:27], s[92:93]
	s_andn2_b64 s[26:27], s[90:91], exec
	s_and_b64 s[90:91], s[30:31], exec
	s_or_b64 s[90:91], s[26:27], s[90:91]
.LBB4_2007:                             ;   in Loop: Header=BB4_2008 Depth=3
	s_or_b64 exec, exec, s[94:95]
	s_and_b64 s[26:27], exec, s[90:91]
	s_or_b64 s[78:79], s[26:27], s[78:79]
	s_andn2_b64 s[26:27], s[88:89], exec
	s_and_b64 s[88:89], s[92:93], exec
	s_or_b64 s[88:89], s[26:27], s[88:89]
	s_andn2_b64 exec, exec, s[78:79]
	s_cbranch_execz .LBB4_2012
.LBB4_2008:                             ;   Parent Loop BB4_47 Depth=1
                                        ;     Parent Loop BB4_2000 Depth=2
                                        ; =>    This Inner Loop Header: Depth=3
	s_sleep 1
	s_waitcnt vmcnt(0) lgkmcnt(0)
	flat_load_dwordx2 v[38:39], v[32:33] glc
	s_or_b64 s[92:93], s[92:93], exec
	s_or_b64 s[90:91], s[90:91], exec
                                        ; implicit-def: $vgpr0
	s_and_saveexec_b64 s[94:95], vcc
	s_cbranch_execz .LBB4_2007
; %bb.2009:                             ;   in Loop: Header=BB4_2008 Depth=3
	s_cmpk_lt_i32 s9, 0x270f
	s_cselect_b64 s[36:37], -1, 0
	s_cmpk_gt_i32 s9, 0x270e
	s_mov_b64 s[30:31], -1
	s_cbranch_scc0 .LBB4_2011
; %bb.2010:                             ;   in Loop: Header=BB4_2008 Depth=3
	s_trap 2
	ds_read_b64 v[3:4], v0
	s_andn2_b64 s[36:37], s[36:37], exec
	s_mov_b32 s9, 0
	s_mov_b64 s[34:35], 0
	s_waitcnt vmcnt(0) lgkmcnt(0)
	flat_load_dword v0, v[3:4] glc
	s_waitcnt vmcnt(0) lgkmcnt(0)
	buffer_wbinvl1_vol
	v_cmp_eq_u32_e64 s[26:27], 0, v0
	s_and_b64 s[26:27], s[26:27], exec
	s_or_b64 s[36:37], s[36:37], s[26:27]
	s_and_saveexec_b64 s[38:39], s[36:37]
	s_cbranch_execz .LBB4_2006
	s_branch .LBB4_2005
.LBB4_2011:                             ;   in Loop: Header=BB4_2008 Depth=3
	s_add_i32 s9, s9, 1
	s_mov_b64 s[34:35], -1
                                        ; implicit-def: $vgpr0
	s_and_saveexec_b64 s[38:39], s[36:37]
	s_cbranch_execz .LBB4_2006
	s_branch .LBB4_2005
.LBB4_2012:                             ;   in Loop: Header=BB4_2000 Depth=2
	s_or_b64 exec, exec, s[78:79]
	s_xor_b64 s[26:27], s[88:89], -1
	s_and_saveexec_b64 s[78:79], s[26:27]
	s_xor_b64 s[26:27], exec, s[78:79]
	s_cbranch_execz .LBB4_2014
; %bb.2013:                             ;   in Loop: Header=BB4_2000 Depth=2
	v_or_b32_e32 v5, 64, v5
	s_waitcnt lgkmcnt(0)
	ds_write_b32 v0, v0
	s_trap 2
.LBB4_2014:                             ;   in Loop: Header=BB4_2000 Depth=2
	s_or_b64 exec, exec, s[26:27]
.LBB4_2015:                             ;   in Loop: Header=BB4_2000 Depth=2
	s_or_b64 exec, exec, s[76:77]
	v_and_b32_e32 v0, 0x100, v5
	v_cmp_ne_u32_e32 vcc, 0, v0
	v_and_b32_e32 v0, 7, v46
	s_mov_b64 s[26:27], -1
	;;#ASMSTART
	s_wakeup
	;;#ASMEND
                                        ; implicit-def: $vgpr3_vgpr4
	s_and_saveexec_b64 s[76:77], vcc
	s_cbranch_execz .LBB4_2019
; %bb.2016:                             ;   in Loop: Header=BB4_2000 Depth=2
	buffer_load_dword v10, off, s[0:3], s33 offset:148 ; 4-byte Folded Reload
	buffer_load_dword v11, off, s[0:3], s33 offset:152 ; 4-byte Folded Reload
	;; [unrolled: 1-line block ×4, first 2 shown]
	s_waitcnt vmcnt(0)
	v_mad_u64_u32 v[10:11], s[26:27], v0, 24, v[10:11]
	flat_load_dword v3, v[10:11]
	s_waitcnt vmcnt(0) lgkmcnt(0)
	v_cmp_ne_u32_e32 vcc, 1, v3
	v_cmp_eq_u32_e64 s[26:27], 1, v3
                                        ; implicit-def: $vgpr3_vgpr4
	s_and_saveexec_b64 s[78:79], s[26:27]
	s_cbranch_execz .LBB4_2018
; %bb.2017:                             ;   in Loop: Header=BB4_2000 Depth=2
	flat_load_dword v3, v[10:11] offset:4 glc
	s_waitcnt vmcnt(0) lgkmcnt(0)
	v_ashrrev_i32_e32 v4, 31, v3
	v_lshrrev_b64 v[3:4], 1, v[3:4]
.LBB4_2018:                             ;   in Loop: Header=BB4_2000 Depth=2
	s_or_b64 exec, exec, s[78:79]
	s_orn2_b64 s[26:27], vcc, exec
.LBB4_2019:                             ;   in Loop: Header=BB4_2000 Depth=2
	s_or_b64 exec, exec, s[76:77]
	s_and_saveexec_b64 s[76:77], s[26:27]
	s_cbranch_execz .LBB4_2021
; %bb.2020:                             ;   in Loop: Header=BB4_2000 Depth=2
	buffer_load_dword v3, off, s[0:3], s33 offset:172 ; 4-byte Folded Reload
	s_waitcnt vmcnt(0)
	v_mad_i64_i32 v[3:4], s[26:27], v0, v3, 0
.LBB4_2021:                             ;   in Loop: Header=BB4_2000 Depth=2
	s_or_b64 exec, exec, s[76:77]
	buffer_load_dword v10, off, s[0:3], s33 offset:140 ; 4-byte Folded Reload
	buffer_load_dword v11, off, s[0:3], s33 offset:144 ; 4-byte Folded Reload
	v_lshlrev_b64 v[3:4], 1, v[3:4]
	s_waitcnt vmcnt(0)
	v_add_co_u32_e32 v3, vcc, v10, v3
	v_addc_co_u32_e32 v4, vcc, v11, v4, vcc
	ds_write_b64 v0, v[3:4] offset:720
	v_and_b32_e32 v0, 0x2000, v5
	v_cmp_ne_u32_e32 vcc, 0, v0
	s_and_saveexec_b64 s[26:27], vcc
	s_cbranch_execz .LBB4_2023
; %bb.2022:                             ;   in Loop: Header=BB4_2000 Depth=2
	ds_read_b64 v[3:4], v0 offset:872
	s_waitcnt lgkmcnt(0)
	v_add_co_u32_e32 v3, vcc, 1, v3
	v_addc_co_u32_e32 v4, vcc, 0, v4, vcc
	ds_write_b64 v0, v[3:4] offset:872
.LBB4_2023:                             ;   in Loop: Header=BB4_2000 Depth=2
	s_or_b64 exec, exec, s[26:27]
	v_mov_b32_e32 v47, v9
	v_mov_b32_e32 v46, v8
.LBB4_2024:                             ;   in Loop: Header=BB4_2000 Depth=2
	s_or_b64 exec, exec, s[44:45]
	s_and_saveexec_b64 s[26:27], s[10:11]
	s_cbranch_execz .LBB4_2043
; %bb.2025:                             ;   in Loop: Header=BB4_2000 Depth=2
	s_and_saveexec_b64 s[44:45], s[58:59]
	s_xor_b64 s[44:45], exec, s[44:45]
	s_cbranch_execz .LBB4_2040
; %bb.2026:                             ;   in Loop: Header=BB4_2000 Depth=2
	s_and_saveexec_b64 s[76:77], s[16:17]
	s_cbranch_execz .LBB4_2039
; %bb.2027:                             ;   in Loop: Header=BB4_2000 Depth=2
	s_mov_b64 s[88:89], exec
	v_mbcnt_lo_u32_b32 v0, s88, 0
	v_mbcnt_hi_u32_b32 v0, s89, v0
	v_cmp_eq_u32_e32 vcc, 0, v0
	s_waitcnt vmcnt(0) lgkmcnt(0)
	buffer_wbinvl1_vol
	s_and_saveexec_b64 s[78:79], vcc
	s_cbranch_execz .LBB4_2029
; %bb.2028:                             ;   in Loop: Header=BB4_2000 Depth=2
	s_bcnt1_i32_b64 s9, s[88:89]
	v_mov_b32_e32 v3, s9
	v_mov_b32_e32 v4, v2
	ds_add_u64 v0, v[3:4]
	s_trap 2
.LBB4_2029:                             ;   in Loop: Header=BB4_2000 Depth=2
	s_or_b64 exec, exec, s[78:79]
	s_trap 2
	ds_read_b64 v[3:4], v0
	s_waitcnt lgkmcnt(0)
	v_add_co_u32_e32 v48, vcc, v48, v57
	v_addc_co_u32_e32 v49, vcc, 0, v49, vcc
	v_cmp_lt_u64_e32 vcc, v[3:4], v[48:49]
	s_and_saveexec_b64 s[78:79], vcc
	s_cbranch_execz .LBB4_2038
; %bb.2030:                             ;   in Loop: Header=BB4_2000 Depth=2
	s_mov_b32 s9, 0
	s_mov_b64 s[88:89], 0
                                        ; implicit-def: $sgpr90_sgpr91
                                        ; implicit-def: $sgpr92_sgpr93
	s_branch .LBB4_2032
.LBB4_2031:                             ;   in Loop: Header=BB4_2032 Depth=3
	s_or_b64 exec, exec, s[30:31]
	s_and_b64 s[94:95], exec, vcc
	s_or_b64 s[88:89], s[94:95], s[88:89]
	s_andn2_b64 s[90:91], s[90:91], exec
	s_and_b64 s[94:95], s[92:93], exec
	s_or_b64 s[90:91], s[90:91], s[94:95]
	s_andn2_b64 exec, exec, s[88:89]
	s_cbranch_execz .LBB4_2036
.LBB4_2032:                             ;   Parent Loop BB4_47 Depth=1
                                        ;     Parent Loop BB4_2000 Depth=2
                                        ; =>    This Inner Loop Header: Depth=3
	s_add_i32 s9, s9, 1
	s_cmpk_lg_i32 s9, 0x2710
	s_cselect_b64 s[94:95], -1, 0
	s_and_b64 vcc, exec, s[94:95]
	s_cbranch_vccz .LBB4_2034
; %bb.2033:                             ;   in Loop: Header=BB4_2032 Depth=3
	s_mov_b64 vcc, -1
	s_or_b64 s[92:93], s[92:93], exec
	s_and_saveexec_b64 s[30:31], s[94:95]
	s_cbranch_execz .LBB4_2031
	s_branch .LBB4_2035
.LBB4_2034:                             ;   in Loop: Header=BB4_2032 Depth=3
	s_trap 2
	ds_read_b64 v[3:4], v0
	s_andn2_b64 s[94:95], s[94:95], exec
	s_mov_b32 s9, 0
	s_waitcnt lgkmcnt(0)
	flat_load_dword v0, v[3:4] glc
	s_waitcnt vmcnt(0) lgkmcnt(0)
	buffer_wbinvl1_vol
	v_cmp_eq_u32_e32 vcc, 0, v0
	s_and_b64 vcc, vcc, exec
	s_or_b64 s[94:95], s[94:95], vcc
	s_mov_b64 vcc, -1
	s_or_b64 s[92:93], s[92:93], exec
	s_and_saveexec_b64 s[30:31], s[94:95]
	s_cbranch_execz .LBB4_2031
.LBB4_2035:                             ;   in Loop: Header=BB4_2032 Depth=3
	s_sleep 1
	s_trap 2
	ds_read_b64 v[3:4], v0
	s_waitcnt lgkmcnt(0)
	s_andn2_b64 s[92:93], s[92:93], exec
	v_cmp_ge_u64_e32 vcc, v[3:4], v[48:49]
	s_orn2_b64 vcc, vcc, exec
	s_branch .LBB4_2031
.LBB4_2036:                             ;   in Loop: Header=BB4_2000 Depth=2
	s_or_b64 exec, exec, s[88:89]
	s_and_saveexec_b64 s[88:89], s[90:91]
	s_xor_b64 s[88:89], exec, s[88:89]
	s_cbranch_execz .LBB4_2038
; %bb.2037:                             ;   in Loop: Header=BB4_2000 Depth=2
	v_mov_b32_e32 v0, 1
	ds_write_b32 v0, v0
	s_trap 2
.LBB4_2038:                             ;   in Loop: Header=BB4_2000 Depth=2
	s_or_b64 exec, exec, s[78:79]
	;;#ASMSTART
	s_wakeup
	;;#ASMEND
.LBB4_2039:                             ;   in Loop: Header=BB4_2000 Depth=2
	s_or_b64 exec, exec, s[76:77]
.LBB4_2040:                             ;   in Loop: Header=BB4_2000 Depth=2
	s_andn2_saveexec_b64 s[44:45], s[44:45]
	s_cbranch_execz .LBB4_2042
; %bb.2041:                             ;   in Loop: Header=BB4_2000 Depth=2
	s_waitcnt vmcnt(0) lgkmcnt(0)
	buffer_wbinvl1_vol
	s_barrier
.LBB4_2042:                             ;   in Loop: Header=BB4_2000 Depth=2
	s_or_b64 exec, exec, s[44:45]
.LBB4_2043:                             ;   in Loop: Header=BB4_2000 Depth=2
	s_or_b64 exec, exec, s[26:27]
	s_trap 2
	ds_read_b32 v0, v0
	v_and_b32_e32 v3, 0x4000, v5
	v_cmp_ne_u32_e32 vcc, 0, v3
	s_xor_b64 s[26:27], s[6:7], -1
	s_and_b64 s[44:45], s[26:27], vcc
	s_and_saveexec_b64 s[26:27], s[44:45]
	s_cbranch_execz .LBB4_2062
; %bb.2044:                             ;   in Loop: Header=BB4_2000 Depth=2
	s_and_saveexec_b64 s[44:45], s[58:59]
	s_xor_b64 s[44:45], exec, s[44:45]
	s_cbranch_execz .LBB4_2059
; %bb.2045:                             ;   in Loop: Header=BB4_2000 Depth=2
	s_and_saveexec_b64 s[76:77], s[16:17]
	s_cbranch_execz .LBB4_2058
; %bb.2046:                             ;   in Loop: Header=BB4_2000 Depth=2
	s_mov_b64 s[88:89], exec
	v_mbcnt_lo_u32_b32 v3, s88, 0
	v_mbcnt_hi_u32_b32 v3, s89, v3
	v_cmp_eq_u32_e32 vcc, 0, v3
	s_waitcnt vmcnt(0) lgkmcnt(0)
	buffer_wbinvl1_vol
	s_and_saveexec_b64 s[78:79], vcc
	s_cbranch_execz .LBB4_2048
; %bb.2047:                             ;   in Loop: Header=BB4_2000 Depth=2
	s_bcnt1_i32_b64 s9, s[88:89]
	v_mov_b32_e32 v3, s9
	v_mov_b32_e32 v4, v2
	ds_add_u64 v0, v[3:4]
	s_trap 2
.LBB4_2048:                             ;   in Loop: Header=BB4_2000 Depth=2
	s_or_b64 exec, exec, s[78:79]
	s_trap 2
	ds_read_b64 v[3:4], v0
	s_waitcnt lgkmcnt(0)
	v_add_co_u32_e32 v48, vcc, v48, v57
	v_addc_co_u32_e32 v49, vcc, 0, v49, vcc
	v_cmp_lt_u64_e32 vcc, v[3:4], v[48:49]
	s_and_saveexec_b64 s[78:79], vcc
	s_cbranch_execz .LBB4_2057
; %bb.2049:                             ;   in Loop: Header=BB4_2000 Depth=2
	s_mov_b32 s9, 0
	s_mov_b64 s[88:89], 0
                                        ; implicit-def: $sgpr90_sgpr91
                                        ; implicit-def: $sgpr92_sgpr93
	s_branch .LBB4_2051
.LBB4_2050:                             ;   in Loop: Header=BB4_2051 Depth=3
	s_or_b64 exec, exec, s[30:31]
	s_and_b64 s[94:95], exec, vcc
	s_or_b64 s[88:89], s[94:95], s[88:89]
	s_andn2_b64 s[90:91], s[90:91], exec
	s_and_b64 s[94:95], s[92:93], exec
	s_or_b64 s[90:91], s[90:91], s[94:95]
	s_andn2_b64 exec, exec, s[88:89]
	s_cbranch_execz .LBB4_2055
.LBB4_2051:                             ;   Parent Loop BB4_47 Depth=1
                                        ;     Parent Loop BB4_2000 Depth=2
                                        ; =>    This Inner Loop Header: Depth=3
	s_add_i32 s9, s9, 1
	s_cmpk_lg_i32 s9, 0x2710
	s_cselect_b64 s[94:95], -1, 0
	s_and_b64 vcc, exec, s[94:95]
	s_cbranch_vccz .LBB4_2053
; %bb.2052:                             ;   in Loop: Header=BB4_2051 Depth=3
	s_mov_b64 vcc, -1
	s_or_b64 s[92:93], s[92:93], exec
	s_and_saveexec_b64 s[30:31], s[94:95]
	s_cbranch_execz .LBB4_2050
	s_branch .LBB4_2054
.LBB4_2053:                             ;   in Loop: Header=BB4_2051 Depth=3
	s_trap 2
	ds_read_b64 v[3:4], v0
	s_andn2_b64 s[94:95], s[94:95], exec
	s_mov_b32 s9, 0
	s_waitcnt lgkmcnt(0)
	flat_load_dword v3, v[3:4] glc
	s_waitcnt vmcnt(0) lgkmcnt(0)
	buffer_wbinvl1_vol
	v_cmp_eq_u32_e32 vcc, 0, v3
	s_and_b64 vcc, vcc, exec
	s_or_b64 s[94:95], s[94:95], vcc
	s_mov_b64 vcc, -1
	s_or_b64 s[92:93], s[92:93], exec
	s_and_saveexec_b64 s[30:31], s[94:95]
	s_cbranch_execz .LBB4_2050
.LBB4_2054:                             ;   in Loop: Header=BB4_2051 Depth=3
	s_sleep 1
	s_trap 2
	ds_read_b64 v[3:4], v0
	s_waitcnt lgkmcnt(0)
	s_andn2_b64 s[92:93], s[92:93], exec
	v_cmp_ge_u64_e32 vcc, v[3:4], v[48:49]
	s_orn2_b64 vcc, vcc, exec
	s_branch .LBB4_2050
.LBB4_2055:                             ;   in Loop: Header=BB4_2000 Depth=2
	s_or_b64 exec, exec, s[88:89]
	s_and_saveexec_b64 s[88:89], s[90:91]
	s_xor_b64 s[88:89], exec, s[88:89]
	s_cbranch_execz .LBB4_2057
; %bb.2056:                             ;   in Loop: Header=BB4_2000 Depth=2
	v_mov_b32_e32 v3, 1
	ds_write_b32 v0, v3
	s_trap 2
.LBB4_2057:                             ;   in Loop: Header=BB4_2000 Depth=2
	s_or_b64 exec, exec, s[78:79]
	;;#ASMSTART
	s_wakeup
	;;#ASMEND
.LBB4_2058:                             ;   in Loop: Header=BB4_2000 Depth=2
	s_or_b64 exec, exec, s[76:77]
.LBB4_2059:                             ;   in Loop: Header=BB4_2000 Depth=2
	s_andn2_saveexec_b64 s[44:45], s[44:45]
	s_cbranch_execz .LBB4_2061
; %bb.2060:                             ;   in Loop: Header=BB4_2000 Depth=2
	s_waitcnt vmcnt(0) lgkmcnt(0)
	buffer_wbinvl1_vol
	s_barrier
.LBB4_2061:                             ;   in Loop: Header=BB4_2000 Depth=2
	s_or_b64 exec, exec, s[44:45]
.LBB4_2062:                             ;   in Loop: Header=BB4_2000 Depth=2
	s_or_b64 exec, exec, s[26:27]
	s_trap 2
	s_waitcnt lgkmcnt(0)
	ds_read_b64 v[27:28], v0
	v_sub_u32_e32 v3, v31, v26
	v_min_i32_e32 v56, v56, v3
	s_waitcnt lgkmcnt(0)
	v_cmp_eq_u64_e32 vcc, 0, v[27:28]
	s_cbranch_vccnz .LBB4_2070
; %bb.2063:                             ;   in Loop: Header=BB4_2000 Depth=2
	s_trap 2
	ds_read_b64 v[29:30], v0
	s_waitcnt lgkmcnt(0)
	v_cmp_eq_u64_e32 vcc, 0, v[29:30]
	s_cbranch_vccnz .LBB4_2070
; %bb.2064:                             ;   in Loop: Header=BB4_2000 Depth=2
	s_mov_b64 s[44:45], -1
	s_and_saveexec_b64 s[26:27], s[20:21]
	s_cbranch_execz .LBB4_2066
; %bb.2065:                             ;   in Loop: Header=BB4_2000 Depth=2
	ds_read_b32 v3, v0 offset:720
	s_waitcnt lgkmcnt(0)
	v_and_b32_e32 v3, 15, v3
	v_cmp_eq_u32_e32 vcc, 0, v3
	s_orn2_b64 s[44:45], vcc, exec
.LBB4_2066:                             ;   in Loop: Header=BB4_2000 Depth=2
	s_or_b64 exec, exec, s[26:27]
	s_and_saveexec_b64 s[26:27], s[18:19]
	s_cbranch_execz .LBB4_2068
; %bb.2067:                             ;   in Loop: Header=BB4_2000 Depth=2
	ds_read_b32 v3, v0 offset:784
	s_waitcnt lgkmcnt(0)
	v_and_b32_e32 v3, 15, v3
	v_cmp_eq_u32_e32 vcc, 0, v3
	s_and_b64 s[76:77], s[44:45], vcc
	s_andn2_b64 s[44:45], s[44:45], exec
	s_and_b64 s[76:77], s[76:77], exec
	s_or_b64 s[44:45], s[44:45], s[76:77]
.LBB4_2068:                             ;   in Loop: Header=BB4_2000 Depth=2
	s_or_b64 exec, exec, s[26:27]
	s_xor_b64 s[44:45], s[44:45], -1
	v_cmp_eq_u32_e64 s[26:27], 0, v0
	v_cndmask_b32_e64 v0, 0, 1, s[44:45]
	s_mov_b64 s[76:77], -1
	v_cmp_ne_u32_e32 vcc, 0, v0
	s_cbranch_vccz .LBB4_2075
; %bb.2069:                             ;   in Loop: Header=BB4_2000 Depth=2
	s_mov_b64 s[76:77], 0
	s_mov_b64 s[44:45], -1
	s_branch .LBB4_2076
.LBB4_2070:                             ;   in Loop: Header=BB4_2000 Depth=2
	s_mov_b64 s[26:27], 0
	s_and_saveexec_b64 s[44:45], s[10:11]
	s_cbranch_execnz .LBB4_2126
.LBB4_2071:                             ;   in Loop: Header=BB4_2000 Depth=2
	s_or_b64 exec, exec, s[44:45]
	s_and_saveexec_b64 s[44:45], s[24:25]
	s_xor_b64 s[44:45], exec, s[44:45]
	s_cbranch_execz .LBB4_2144
.LBB4_2072:                             ;   in Loop: Header=BB4_2000 Depth=2
	s_waitcnt vmcnt(0)
	v_and_b32_e32 v0, 16, v5
	v_cmp_ne_u32_e32 vcc, 0, v0
	s_and_b64 s[76:77], vcc, s[26:27]
	s_and_saveexec_b64 s[26:27], s[76:77]
	s_cbranch_execz .LBB4_2074
; %bb.2073:                             ;   in Loop: Header=BB4_2000 Depth=2
	s_waitcnt lgkmcnt(0)
	buffer_wbinvl1_vol
.LBB4_2074:                             ;   in Loop: Header=BB4_2000 Depth=2
	s_or_b64 exec, exec, s[26:27]
	s_andn2_saveexec_b64 s[26:27], s[44:45]
	s_cbranch_execz .LBB4_2163
	s_branch .LBB4_2145
.LBB4_2075:                             ;   in Loop: Header=BB4_2000 Depth=2
	s_mov_b64 s[44:45], 0
.LBB4_2076:                             ;   in Loop: Header=BB4_2000 Depth=2
	v_cndmask_b32_e64 v60, 0, v56, s[26:27]
	v_lshlrev_b32_e32 v61, 1, v60
	s_andn2_b64 vcc, exec, s[76:77]
	v_mov_b32_e32 v12, 0
	s_cbranch_vccnz .LBB4_2084
; %bb.2077:                             ;   in Loop: Header=BB4_2000 Depth=2
	buffer_load_dword v3, off, s[0:3], s33 offset:208 ; 4-byte Folded Reload
	v_ashrrev_i32_e32 v0, 31, v61
	v_lshrrev_b32_e32 v0, 21, v0
	v_add_u32_e32 v0, v61, v0
	v_ashrrev_i32_e32 v0, 11, v0
	s_mov_b64 s[76:77], 0
                                        ; implicit-def: $vgpr8_vgpr9
                                        ; implicit-def: $vgpr12_vgpr13
	s_waitcnt vmcnt(0)
	v_sub_u32_e32 v34, v0, v3
	buffer_load_dword v3, off, s[0:3], s33 offset:212 ; 4-byte Folded Reload
	s_waitcnt vmcnt(0)
	v_add_co_u32_e32 v50, vcc, v29, v3
	v_addc_co_u32_e32 v51, vcc, 0, v30, vcc
	v_cmp_lt_i32_e32 vcc, 0, v34
	s_and_saveexec_b64 s[26:27], vcc
	s_cbranch_execz .LBB4_2086
; %bb.2078:                             ;   in Loop: Header=BB4_2000 Depth=2
	buffer_load_dword v3, off, s[0:3], s33 offset:212 ; 4-byte Folded Reload
	s_mov_b64 s[88:89], 0
                                        ; implicit-def: $sgpr78_sgpr79
                                        ; implicit-def: $vgpr8_vgpr9
                                        ; implicit-def: $vgpr12_vgpr13
	s_waitcnt vmcnt(0)
	v_add_co_u32_e32 v3, vcc, v27, v3
	v_addc_co_u32_e32 v4, vcc, 0, v28, vcc
	s_branch .LBB4_2080
.LBB4_2079:                             ;   in Loop: Header=BB4_2080 Depth=3
	s_or_b64 exec, exec, s[90:91]
	global_store_dwordx4 v[50:51], v[16:19], off glc slc
	global_store_dwordx4 v[50:51], v[20:23], off offset:1024 glc slc
	s_waitcnt vmcnt(3)
	v_add_co_u32_e32 v16, vcc, v50, v52
	s_waitcnt vmcnt(2)
	v_addc_co_u32_e32 v17, vcc, v51, v53, vcc
	v_add_co_u32_e32 v50, vcc, 0x800, v16
	v_addc_co_u32_e32 v51, vcc, 0, v17, vcc
	v_add_co_u32_e32 v3, vcc, v3, v52
	v_addc_co_u32_e32 v4, vcc, v4, v53, vcc
	v_sub_u32_e32 v34, v34, v35
	v_cmp_gt_i32_e32 vcc, 1, v34
	s_or_b64 s[76:77], vcc, s[76:77]
	s_andn2_b64 s[78:79], s[78:79], exec
	s_and_b64 s[90:91], s[88:89], exec
	s_or_b64 s[78:79], s[78:79], s[90:91]
	s_andn2_b64 exec, exec, s[76:77]
	s_cbranch_execz .LBB4_2085
.LBB4_2080:                             ;   Parent Loop BB4_47 Depth=1
                                        ;     Parent Loop BB4_2000 Depth=2
                                        ; =>    This Inner Loop Header: Depth=3
	global_load_dwordx4 v[16:19], v[3:4], off glc slc
	global_load_dwordx4 v[20:23], v[3:4], off offset:1024 glc slc
	s_and_saveexec_b64 s[90:91], s[88:89]
	s_cbranch_execz .LBB4_2082
; %bb.2081:                             ;   in Loop: Header=BB4_2080 Depth=3
	buffer_load_dword v35, off, s[0:3], s33 offset:132 ; 4-byte Folded Reload
	s_waitcnt vmcnt(0)
	v_add_co_u32_e32 v52, vcc, v50, v35
	buffer_load_dword v35, off, s[0:3], s33 offset:136 ; 4-byte Folded Reload
	s_nop 0
	global_store_dwordx4 v[50:51], v[8:11], off glc slc
	global_store_dwordx4 v[50:51], v[12:15], off offset:1024 glc slc
	s_waitcnt vmcnt(2)
	v_addc_co_u32_e32 v53, vcc, v51, v35, vcc
	v_mov_b32_e32 v50, v52
	v_mov_b32_e32 v51, v53
.LBB4_2082:                             ;   in Loop: Header=BB4_2080 Depth=3
	s_or_b64 exec, exec, s[90:91]
	buffer_load_dword v35, off, s[0:3], s33 offset:132 ; 4-byte Folded Reload
	v_sub_u32_e32 v34, v34, v57
	v_mov_b32_e32 v52, 0
	v_mov_b32_e32 v53, 0
	v_cmp_lt_i32_e64 s[88:89], 0, v34
	s_waitcnt vmcnt(0)
	v_add_co_u32_e32 v3, vcc, v3, v35
	buffer_load_dword v35, off, s[0:3], s33 offset:136 ; 4-byte Folded Reload
	s_waitcnt vmcnt(0)
	v_addc_co_u32_e32 v4, vcc, v4, v35, vcc
	v_mov_b32_e32 v35, 0
	s_and_saveexec_b64 s[90:91], s[88:89]
	s_cbranch_execz .LBB4_2079
; %bb.2083:                             ;   in Loop: Header=BB4_2080 Depth=3
	global_load_dwordx4 v[8:11], v[3:4], off glc slc
	global_load_dwordx4 v[12:15], v[3:4], off offset:1024 glc slc
	buffer_load_dword v52, off, s[0:3], s33 offset:180 ; 4-byte Folded Reload
	buffer_load_dword v53, off, s[0:3], s33 offset:184 ; 4-byte Folded Reload
	v_add_co_u32_e32 v3, vcc, 0x800, v3
	v_addc_co_u32_e32 v4, vcc, 0, v4, vcc
	v_mov_b32_e32 v35, v57
	s_branch .LBB4_2079
.LBB4_2084:                             ;   in Loop: Header=BB4_2000 Depth=2
	buffer_load_dword v8, off, s[0:3], s33 offset:204 ; 4-byte Folded Reload
	buffer_load_dword v0, off, s[0:3], s33 offset:188 ; 4-byte Folded Reload
	s_and_saveexec_b64 s[26:27], s[44:45]
	s_cbranch_execnz .LBB4_2105
	s_branch .LBB4_2125
.LBB4_2085:                             ;   in Loop: Header=BB4_2000 Depth=2
	s_or_b64 exec, exec, s[76:77]
	s_and_b64 s[76:77], s[78:79], exec
.LBB4_2086:                             ;   in Loop: Header=BB4_2000 Depth=2
	s_or_b64 exec, exec, s[26:27]
	s_and_saveexec_b64 s[26:27], s[76:77]
	s_cbranch_execz .LBB4_2088
; %bb.2087:                             ;   in Loop: Header=BB4_2000 Depth=2
	global_store_dwordx4 v[50:51], v[8:11], off glc slc
	global_store_dwordx4 v[50:51], v[12:15], off offset:1024 glc slc
.LBB4_2088:                             ;   in Loop: Header=BB4_2000 Depth=2
	s_or_b64 exec, exec, s[26:27]
	v_lshlrev_b32_e32 v3, 11, v0
	v_cmp_ne_u32_e32 vcc, v61, v3
                                        ; implicit-def: $vgpr12
                                        ; implicit-def: $vgpr8
                                        ; implicit-def: $vgpr0
	s_and_saveexec_b64 s[76:77], vcc
	s_cbranch_execz .LBB4_2104
; %bb.2089:                             ;   in Loop: Header=BB4_2000 Depth=2
	buffer_load_dword v4, off, s[0:3], s33 offset:188 ; 4-byte Folded Reload
	v_lshlrev_b32_e32 v0, 6, v34
	v_sub_u32_e32 v8, v61, v3
	v_ashrrev_i32_e32 v11, 31, v8
	v_lshrrev_b32_e32 v11, 22, v11
	v_add_u32_e32 v11, v8, v11
	v_and_b32_e32 v20, 0xfffffc00, v11
	v_sub_u32_e32 v22, v8, v20
	v_ashrrev_i32_e32 v12, 10, v11
	v_cmp_lt_i32_e64 s[26:27], 15, v22
	s_mov_b64 s[88:89], 0
	s_waitcnt vmcnt(0)
	v_sub_u32_e32 v0, v4, v0
	v_ashrrev_i32_e32 v4, 31, v0
	v_lshrrev_b32_e32 v4, 26, v4
	v_add_u32_e32 v4, v0, v4
	v_ashrrev_i32_e32 v9, 6, v4
	v_and_b32_e32 v4, 0xffffffc0, v4
	v_sub_u32_e32 v4, v0, v4
	v_lshlrev_b32_e32 v0, 4, v4
	v_lshl_add_u32 v0, v9, 10, v0
	v_add_u32_e32 v10, v0, v3
	v_sub_u32_e32 v0, v8, v0
	v_addc_co_u32_e64 v8, vcc, 0, v12, s[26:27]
	v_ashrrev_i32_e32 v11, 31, v10
	v_add_co_u32_e32 v16, vcc, v10, v29
	v_addc_co_u32_e32 v17, vcc, v11, v30, vcc
	v_sub_u32_e32 v21, v8, v9
	v_cmp_lt_i32_e32 vcc, 15, v0
                                        ; implicit-def: $vgpr8_vgpr9
	s_and_saveexec_b64 s[78:79], vcc
	s_cbranch_execz .LBB4_2099
; %bb.2090:                             ;   in Loop: Header=BB4_2000 Depth=2
	v_add_co_u32_e32 v18, vcc, v10, v27
	v_addc_co_u32_e32 v19, vcc, v11, v28, vcc
	s_mov_b64 s[92:93], 0
                                        ; implicit-def: $sgpr90_sgpr91
                                        ; implicit-def: $vgpr8_vgpr9
	s_branch .LBB4_2092
.LBB4_2091:                             ;   in Loop: Header=BB4_2092 Depth=3
	s_or_b64 exec, exec, s[94:95]
	v_cmp_gt_i32_e32 vcc, 16, v0
	s_or_b64 s[88:89], vcc, s[88:89]
	s_andn2_b64 s[90:91], s[90:91], exec
	s_and_b64 s[94:95], s[92:93], exec
	s_or_b64 s[90:91], s[90:91], s[94:95]
	s_andn2_b64 exec, exec, s[88:89]
	s_cbranch_execz .LBB4_2098
.LBB4_2092:                             ;   Parent Loop BB4_47 Depth=1
                                        ;     Parent Loop BB4_2000 Depth=2
                                        ; =>    This Inner Loop Header: Depth=3
	global_load_dwordx4 v[12:15], v[18:19], off glc slc
	s_and_saveexec_b64 s[94:95], s[92:93]
	s_cbranch_execz .LBB4_2094
; %bb.2093:                             ;   in Loop: Header=BB4_2092 Depth=3
	v_add_co_u32_e32 v34, vcc, v16, v36
	v_addc_co_u32_e32 v35, vcc, v17, v37, vcc
	global_store_dwordx4 v[16:17], v[8:11], off glc slc
	v_mov_b32_e32 v16, v34
	v_mov_b32_e32 v17, v35
.LBB4_2094:                             ;   in Loop: Header=BB4_2092 Depth=3
	s_or_b64 exec, exec, s[94:95]
	v_add_co_u32_e32 v18, vcc, v18, v36
	v_sub_u32_e32 v0, v0, v1
	v_addc_co_u32_e32 v19, vcc, v19, v37, vcc
	v_cmp_lt_i32_e64 s[92:93], 15, v0
	s_and_saveexec_b64 s[94:95], s[92:93]
	s_cbranch_execz .LBB4_2096
; %bb.2095:                             ;   in Loop: Header=BB4_2092 Depth=3
	global_load_dwordx4 v[8:11], v[18:19], off glc slc
	v_add_co_u32_e32 v18, vcc, 0x400, v18
	v_addc_co_u32_e32 v19, vcc, 0, v19, vcc
.LBB4_2096:                             ;   in Loop: Header=BB4_2092 Depth=3
	s_or_b64 exec, exec, s[94:95]
	s_waitcnt vmcnt(0)
	global_store_dwordx4 v[16:17], v[12:15], off glc slc
	v_add_co_u32_e32 v16, vcc, 0x400, v16
	v_sub_u32_e32 v21, v21, v57
	v_addc_co_u32_e32 v17, vcc, 0, v17, vcc
	s_and_saveexec_b64 s[94:95], s[92:93]
	s_cbranch_execz .LBB4_2091
; %bb.2097:                             ;   in Loop: Header=BB4_2092 Depth=3
	v_add_co_u32_e32 v18, vcc, v18, v6
	v_addc_co_u32_e32 v19, vcc, v19, v43, vcc
	v_add_co_u32_e32 v16, vcc, v16, v6
	v_sub_u32_e32 v21, v21, v57
	v_sub_u32_e32 v0, v0, v1
	v_addc_co_u32_e32 v17, vcc, v17, v43, vcc
	s_branch .LBB4_2091
.LBB4_2098:                             ;   in Loop: Header=BB4_2000 Depth=2
	s_or_b64 exec, exec, s[88:89]
	s_and_b64 s[88:89], s[90:91], exec
.LBB4_2099:                             ;   in Loop: Header=BB4_2000 Depth=2
	s_or_b64 exec, exec, s[78:79]
	s_and_saveexec_b64 s[78:79], s[88:89]
	s_cbranch_execz .LBB4_2101
; %bb.2100:                             ;   in Loop: Header=BB4_2000 Depth=2
	global_store_dwordx4 v[16:17], v[8:11], off glc slc
.LBB4_2101:                             ;   in Loop: Header=BB4_2000 Depth=2
	s_or_b64 exec, exec, s[78:79]
	v_and_b32_e32 v9, 14, v61
	v_cndmask_b32_e64 v61, v22, v9, s[26:27]
	v_cmp_ne_u32_e32 vcc, 0, v61
	s_mov_b64 s[88:89], s[44:45]
                                        ; implicit-def: $vgpr12
                                        ; implicit-def: $vgpr8
                                        ; implicit-def: $vgpr0
	s_and_saveexec_b64 s[78:79], vcc
	s_cbranch_execz .LBB4_2103
; %bb.2102:                             ;   in Loop: Header=BB4_2000 Depth=2
	v_sub_u32_e32 v0, v22, v9
	v_cndmask_b32_e64 v0, 0, v0, s[26:27]
	v_cmp_lt_i32_e32 vcc, 0, v21
	v_add3_u32 v12, v20, v3, v0
	v_cndmask_b32_e32 v0, 0, v57, vcc
	v_sub_u32_e32 v0, v0, v21
	v_lshl_add_u32 v8, v0, 6, v4
	v_ashrrev_i32_e32 v0, 31, v8
	v_lshrrev_b32_e32 v0, 26, v0
	v_add_u32_e32 v0, v8, v0
	v_and_b32_e32 v0, 0xffffffc0, v0
	v_sub_u32_e32 v0, v8, v0
	s_or_b64 s[88:89], s[44:45], exec
.LBB4_2103:                             ;   in Loop: Header=BB4_2000 Depth=2
	s_or_b64 exec, exec, s[78:79]
	s_andn2_b64 s[26:27], s[44:45], exec
	s_and_b64 s[44:45], s[88:89], exec
	s_or_b64 s[44:45], s[26:27], s[44:45]
.LBB4_2104:                             ;   in Loop: Header=BB4_2000 Depth=2
	s_or_b64 exec, exec, s[76:77]
	s_and_saveexec_b64 s[26:27], s[44:45]
	s_cbranch_execz .LBB4_2125
.LBB4_2105:                             ;   in Loop: Header=BB4_2000 Depth=2
	s_waitcnt vmcnt(0)
	v_ashrrev_i32_e32 v3, 31, v8
	v_lshrrev_b32_e32 v3, 26, v3
	v_add_u32_e32 v3, v8, v3
	v_ashrrev_i32_e32 v4, 6, v3
	v_lshlrev_b32_e32 v3, 9, v4
	s_waitcnt vmcnt(0)
	v_lshlrev_b32_e32 v8, 1, v0
	v_add3_u32 v3, v12, v8, v3
	v_ashrrev_i32_e32 v8, 31, v61
	v_lshrrev_b32_e32 v8, 23, v8
	v_add_u32_e32 v8, v61, v8
	v_ashrrev_i32_e32 v13, 9, v8
	v_sub_u32_e32 v10, v13, v4
	v_ashrrev_i32_e32 v4, 31, v3
	v_add_co_u32_e32 v8, vcc, v29, v3
	v_addc_co_u32_e32 v9, vcc, v30, v4, vcc
	v_cmp_lt_i32_e32 vcc, 0, v10
	s_mov_b64 s[76:77], 0
                                        ; implicit-def: $vgpr14
                                        ; implicit-def: $vgpr15
                                        ; implicit-def: $vgpr16
                                        ; implicit-def: $vgpr17
	s_and_saveexec_b64 s[44:45], vcc
	s_cbranch_execz .LBB4_2113
; %bb.2106:                             ;   in Loop: Header=BB4_2000 Depth=2
	v_add_co_u32_e32 v3, vcc, v3, v27
	v_addc_co_u32_e32 v4, vcc, v4, v28, vcc
	s_mov_b64 s[88:89], 0
                                        ; implicit-def: $sgpr78_sgpr79
                                        ; implicit-def: $vgpr14
                                        ; implicit-def: $vgpr15
                                        ; implicit-def: $vgpr16
                                        ; implicit-def: $vgpr17
	s_branch .LBB4_2108
.LBB4_2107:                             ;   in Loop: Header=BB4_2108 Depth=3
	s_or_b64 exec, exec, s[90:91]
	s_waitcnt vmcnt(0) lgkmcnt(0)
	flat_store_short v[8:9], v18 glc slc
	flat_store_short v[8:9], v19 offset:128 glc slc
	flat_store_short v[8:9], v20 offset:256 glc slc
	;; [unrolled: 1-line block ×3, first 2 shown]
	v_add_co_u32_e32 v8, vcc, v8, v10
	v_addc_co_u32_e32 v9, vcc, v9, v11, vcc
	v_add_co_u32_e32 v8, vcc, 0x200, v8
	v_addc_co_u32_e32 v9, vcc, 0, v9, vcc
	;; [unrolled: 2-line block ×3, first 2 shown]
	v_sub_u32_e32 v10, v22, v23
	v_cmp_gt_i32_e32 vcc, 1, v10
	s_or_b64 s[76:77], vcc, s[76:77]
	s_andn2_b64 s[78:79], s[78:79], exec
	s_and_b64 s[90:91], s[88:89], exec
	s_or_b64 s[78:79], s[78:79], s[90:91]
	s_andn2_b64 exec, exec, s[76:77]
	s_cbranch_execz .LBB4_2112
.LBB4_2108:                             ;   Parent Loop BB4_47 Depth=1
                                        ;     Parent Loop BB4_2000 Depth=2
                                        ; =>    This Inner Loop Header: Depth=3
	flat_load_ushort v18, v[3:4] glc slc
	flat_load_ushort v19, v[3:4] offset:128 glc slc
	flat_load_ushort v20, v[3:4] offset:256 glc slc
	;; [unrolled: 1-line block ×3, first 2 shown]
	s_and_saveexec_b64 s[90:91], s[88:89]
	s_cbranch_execz .LBB4_2110
; %bb.2109:                             ;   in Loop: Header=BB4_2108 Depth=3
	flat_store_short v[8:9], v14 glc slc
	flat_store_short v[8:9], v15 offset:128 glc slc
	flat_store_short v[8:9], v16 offset:256 glc slc
	;; [unrolled: 1-line block ×3, first 2 shown]
	v_add_co_u32_e32 v8, vcc, v8, v44
	v_addc_co_u32_e32 v9, vcc, v9, v45, vcc
.LBB4_2110:                             ;   in Loop: Header=BB4_2108 Depth=3
	s_or_b64 exec, exec, s[90:91]
	v_add_co_u32_e32 v3, vcc, v3, v44
	v_sub_u32_e32 v22, v10, v57
	v_mov_b32_e32 v10, 0
	v_addc_co_u32_e32 v4, vcc, v4, v45, vcc
	v_mov_b32_e32 v23, 0
	v_mov_b32_e32 v11, 0
	v_cmp_lt_i32_e64 s[88:89], 0, v22
	s_and_saveexec_b64 s[90:91], s[88:89]
	s_cbranch_execz .LBB4_2107
; %bb.2111:                             ;   in Loop: Header=BB4_2108 Depth=3
	flat_load_ushort v14, v[3:4] glc slc
	flat_load_ushort v15, v[3:4] offset:128 glc slc
	flat_load_ushort v16, v[3:4] offset:256 glc slc
	;; [unrolled: 1-line block ×3, first 2 shown]
	v_add_co_u32_e32 v3, vcc, 0x200, v3
	v_mov_b32_e32 v10, v54
	v_addc_co_u32_e32 v4, vcc, 0, v4, vcc
	v_mov_b32_e32 v23, v57
	v_mov_b32_e32 v11, v55
	s_branch .LBB4_2107
.LBB4_2112:                             ;   in Loop: Header=BB4_2000 Depth=2
	s_or_b64 exec, exec, s[76:77]
	s_and_b64 s[76:77], s[78:79], exec
.LBB4_2113:                             ;   in Loop: Header=BB4_2000 Depth=2
	s_or_b64 exec, exec, s[44:45]
	s_and_saveexec_b64 s[44:45], s[76:77]
	s_cbranch_execz .LBB4_2115
; %bb.2114:                             ;   in Loop: Header=BB4_2000 Depth=2
	flat_store_short v[8:9], v14 glc slc
	flat_store_short v[8:9], v15 offset:128 glc slc
	flat_store_short v[8:9], v16 offset:256 glc slc
	;; [unrolled: 1-line block ×3, first 2 shown]
.LBB4_2115:                             ;   in Loop: Header=BB4_2000 Depth=2
	s_or_b64 exec, exec, s[44:45]
	v_lshlrev_b32_e32 v3, 9, v13
	v_cmp_ne_u32_e32 vcc, v61, v3
	s_and_b64 exec, exec, vcc
	s_cbranch_execz .LBB4_2125
; %bb.2116:                             ;   in Loop: Header=BB4_2000 Depth=2
	v_lshlrev_b32_e32 v4, 6, v10
	v_sub_u32_e32 v0, v0, v4
	v_ashrrev_i32_e32 v4, 31, v0
	v_lshrrev_b32_e32 v4, 26, v4
	v_add_u32_e32 v4, v0, v4
	v_and_b32_e32 v8, 0x7fffffc0, v4
	v_sub_u32_e32 v0, v0, v8
	v_lshlrev_b32_e32 v4, 1, v4
	v_and_b32_e32 v4, 0xffffff80, v4
	v_lshlrev_b32_e32 v0, 1, v0
	v_add3_u32 v0, v4, v0, v3
	v_sub_u32_e32 v10, v61, v0
	v_cmp_lt_i32_e32 vcc, 1, v10
	s_and_b64 exec, exec, vcc
	s_cbranch_execz .LBB4_2125
; %bb.2117:                             ;   in Loop: Header=BB4_2000 Depth=2
	v_add_u32_e32 v0, v0, v12
	v_ashrrev_i32_e32 v4, 31, v0
	v_add_co_u32_e32 v8, vcc, v29, v0
	v_addc_co_u32_e32 v9, vcc, v30, v4, vcc
	v_add_co_u32_e32 v3, vcc, v0, v27
	v_addc_co_u32_e32 v4, vcc, v4, v28, vcc
	s_mov_b64 s[78:79], 0
	s_mov_b64 s[44:45], 0
                                        ; implicit-def: $sgpr76_sgpr77
                                        ; implicit-def: $vgpr0
	s_branch .LBB4_2119
.LBB4_2118:                             ;   in Loop: Header=BB4_2119 Depth=3
	s_or_b64 exec, exec, s[88:89]
	s_waitcnt lgkmcnt(0)
	flat_store_short v[8:9], v12 glc slc
	v_add_co_u32_e32 v8, vcc, v8, v10
	v_addc_co_u32_e32 v9, vcc, v9, v11, vcc
	v_add_co_u32_e32 v3, vcc, v3, v10
	v_addc_co_u32_e32 v4, vcc, v4, v11, vcc
	;; [unrolled: 2-line block ×3, first 2 shown]
	v_sub_u32_e32 v10, v13, v14
	v_cmp_gt_i32_e32 vcc, 2, v10
	s_or_b64 s[44:45], vcc, s[44:45]
	s_andn2_b64 s[76:77], s[76:77], exec
	s_and_b64 s[88:89], s[78:79], exec
	s_or_b64 s[76:77], s[76:77], s[88:89]
	s_andn2_b64 exec, exec, s[44:45]
	s_cbranch_execz .LBB4_2123
.LBB4_2119:                             ;   Parent Loop BB4_47 Depth=1
                                        ;     Parent Loop BB4_2000 Depth=2
                                        ; =>    This Inner Loop Header: Depth=3
	flat_load_ushort v12, v[3:4] glc slc
	s_and_saveexec_b64 s[88:89], s[78:79]
	s_cbranch_execz .LBB4_2121
; %bb.2120:                             ;   in Loop: Header=BB4_2119 Depth=3
	buffer_load_dword v11, off, s[0:3], s33 offset:128 ; 4-byte Folded Reload
	s_waitcnt vmcnt(0)
	v_add_co_u32_e32 v13, vcc, v8, v11
	v_addc_co_u32_e32 v14, vcc, v9, v7, vcc
	flat_store_short v[8:9], v0 glc slc
	v_mov_b32_e32 v8, v13
	v_mov_b32_e32 v9, v14
.LBB4_2121:                             ;   in Loop: Header=BB4_2119 Depth=3
	s_or_b64 exec, exec, s[88:89]
	buffer_load_dword v11, off, s[0:3], s33 offset:128 ; 4-byte Folded Reload
	v_mov_b32_e32 v14, 0
	s_waitcnt vmcnt(0)
	v_add_co_u32_e32 v3, vcc, v3, v11
	v_lshlrev_b32_e32 v11, 7, v57
	v_sub_u32_e32 v13, v10, v11
	v_mov_b32_e32 v10, 0
	v_addc_co_u32_e32 v4, vcc, v4, v7, vcc
	v_cmp_lt_i32_e64 s[78:79], 1, v13
	v_mov_b32_e32 v11, 0
	s_and_saveexec_b64 s[88:89], s[78:79]
	s_cbranch_execz .LBB4_2118
; %bb.2122:                             ;   in Loop: Header=BB4_2119 Depth=3
	flat_load_ushort v0, v[3:4] glc slc
	v_add_co_u32_e32 v3, vcc, 0x80, v3
	v_mov_b32_e32 v10, v40
	v_addc_co_u32_e32 v4, vcc, 0, v4, vcc
	v_lshlrev_b32_e32 v14, 7, v57
	v_mov_b32_e32 v11, v41
	s_branch .LBB4_2118
.LBB4_2123:                             ;   in Loop: Header=BB4_2000 Depth=2
	s_or_b64 exec, exec, s[44:45]
	s_and_b64 exec, exec, s[76:77]
	s_cbranch_execz .LBB4_2125
; %bb.2124:                             ;   in Loop: Header=BB4_2000 Depth=2
	s_waitcnt vmcnt(0)
	flat_store_short v[8:9], v0 glc slc
.LBB4_2125:                             ;   in Loop: Header=BB4_2000 Depth=2
	s_or_b64 exec, exec, s[26:27]
	v_cmp_lt_i32_e64 s[26:27], 0, v60
	s_and_saveexec_b64 s[44:45], s[10:11]
	s_cbranch_execz .LBB4_2071
.LBB4_2126:                             ;   in Loop: Header=BB4_2000 Depth=2
	s_and_saveexec_b64 s[76:77], s[58:59]
	s_xor_b64 s[76:77], exec, s[76:77]
	s_cbranch_execz .LBB4_2141
; %bb.2127:                             ;   in Loop: Header=BB4_2000 Depth=2
	s_and_saveexec_b64 s[78:79], s[16:17]
	s_cbranch_execz .LBB4_2140
; %bb.2128:                             ;   in Loop: Header=BB4_2000 Depth=2
	s_mov_b64 s[90:91], exec
	s_waitcnt vmcnt(0)
	v_mbcnt_lo_u32_b32 v0, s90, 0
	v_mbcnt_hi_u32_b32 v0, s91, v0
	v_cmp_eq_u32_e32 vcc, 0, v0
	s_waitcnt lgkmcnt(0)
	buffer_wbinvl1_vol
	s_and_saveexec_b64 s[88:89], vcc
	s_cbranch_execz .LBB4_2130
; %bb.2129:                             ;   in Loop: Header=BB4_2000 Depth=2
	s_bcnt1_i32_b64 s9, s[90:91]
	v_mov_b32_e32 v3, s9
	v_mov_b32_e32 v4, v2
	ds_add_u64 v0, v[3:4]
	s_trap 2
.LBB4_2130:                             ;   in Loop: Header=BB4_2000 Depth=2
	s_or_b64 exec, exec, s[88:89]
	s_trap 2
	ds_read_b64 v[3:4], v0
	s_waitcnt lgkmcnt(0)
	v_add_co_u32_e32 v48, vcc, v48, v57
	v_addc_co_u32_e32 v49, vcc, 0, v49, vcc
	v_cmp_lt_u64_e32 vcc, v[3:4], v[48:49]
	s_and_saveexec_b64 s[88:89], vcc
	s_cbranch_execz .LBB4_2139
; %bb.2131:                             ;   in Loop: Header=BB4_2000 Depth=2
	s_mov_b32 s9, 0
	s_mov_b64 s[90:91], 0
                                        ; implicit-def: $sgpr92_sgpr93
                                        ; implicit-def: $sgpr94_sgpr95
	s_branch .LBB4_2133
.LBB4_2132:                             ;   in Loop: Header=BB4_2133 Depth=3
	s_or_b64 exec, exec, s[34:35]
	s_and_b64 vcc, exec, vcc
	s_or_b64 s[90:91], vcc, s[90:91]
	s_andn2_b64 s[92:93], s[92:93], exec
	s_and_b64 vcc, s[94:95], exec
	s_or_b64 s[92:93], s[92:93], vcc
	s_andn2_b64 exec, exec, s[90:91]
	s_cbranch_execz .LBB4_2137
.LBB4_2133:                             ;   Parent Loop BB4_47 Depth=1
                                        ;     Parent Loop BB4_2000 Depth=2
                                        ; =>    This Inner Loop Header: Depth=3
	s_add_i32 s9, s9, 1
	s_cmpk_lg_i32 s9, 0x2710
	s_cselect_b64 s[30:31], -1, 0
	s_and_b64 vcc, exec, s[30:31]
	s_cbranch_vccz .LBB4_2135
; %bb.2134:                             ;   in Loop: Header=BB4_2133 Depth=3
	s_mov_b64 vcc, -1
	s_or_b64 s[94:95], s[94:95], exec
	s_and_saveexec_b64 s[34:35], s[30:31]
	s_cbranch_execz .LBB4_2132
	s_branch .LBB4_2136
.LBB4_2135:                             ;   in Loop: Header=BB4_2133 Depth=3
	s_trap 2
	ds_read_b64 v[3:4], v0
	s_andn2_b64 s[30:31], s[30:31], exec
	s_mov_b32 s9, 0
	s_waitcnt lgkmcnt(0)
	flat_load_dword v0, v[3:4] glc
	s_waitcnt vmcnt(0) lgkmcnt(0)
	buffer_wbinvl1_vol
	v_cmp_eq_u32_e32 vcc, 0, v0
	s_and_b64 vcc, vcc, exec
	s_or_b64 s[30:31], s[30:31], vcc
	s_mov_b64 vcc, -1
	s_or_b64 s[94:95], s[94:95], exec
	s_and_saveexec_b64 s[34:35], s[30:31]
	s_cbranch_execz .LBB4_2132
.LBB4_2136:                             ;   in Loop: Header=BB4_2133 Depth=3
	s_sleep 1
	s_trap 2
	ds_read_b64 v[3:4], v0
	s_waitcnt lgkmcnt(0)
	s_andn2_b64 s[94:95], s[94:95], exec
	v_cmp_ge_u64_e32 vcc, v[3:4], v[48:49]
	s_orn2_b64 vcc, vcc, exec
	s_branch .LBB4_2132
.LBB4_2137:                             ;   in Loop: Header=BB4_2000 Depth=2
	s_or_b64 exec, exec, s[90:91]
	s_and_saveexec_b64 s[90:91], s[92:93]
	s_xor_b64 s[90:91], exec, s[90:91]
	s_cbranch_execz .LBB4_2139
; %bb.2138:                             ;   in Loop: Header=BB4_2000 Depth=2
	v_mov_b32_e32 v0, 1
	ds_write_b32 v0, v0
	s_trap 2
.LBB4_2139:                             ;   in Loop: Header=BB4_2000 Depth=2
	s_or_b64 exec, exec, s[88:89]
	;;#ASMSTART
	s_wakeup
	;;#ASMEND
.LBB4_2140:                             ;   in Loop: Header=BB4_2000 Depth=2
	s_or_b64 exec, exec, s[78:79]
.LBB4_2141:                             ;   in Loop: Header=BB4_2000 Depth=2
	s_andn2_saveexec_b64 s[76:77], s[76:77]
	s_cbranch_execz .LBB4_2143
; %bb.2142:                             ;   in Loop: Header=BB4_2000 Depth=2
	s_waitcnt vmcnt(0) lgkmcnt(0)
	buffer_wbinvl1_vol
	s_barrier
.LBB4_2143:                             ;   in Loop: Header=BB4_2000 Depth=2
	s_or_b64 exec, exec, s[76:77]
	s_or_b64 exec, exec, s[44:45]
	s_and_saveexec_b64 s[44:45], s[24:25]
	s_xor_b64 s[44:45], exec, s[44:45]
	s_cbranch_execnz .LBB4_2072
.LBB4_2144:                             ;   in Loop: Header=BB4_2000 Depth=2
	s_andn2_saveexec_b64 s[26:27], s[44:45]
	s_cbranch_execz .LBB4_2163
.LBB4_2145:                             ;   in Loop: Header=BB4_2000 Depth=2
	s_and_saveexec_b64 s[44:45], s[58:59]
	s_xor_b64 s[44:45], exec, s[44:45]
	s_cbranch_execz .LBB4_2160
; %bb.2146:                             ;   in Loop: Header=BB4_2000 Depth=2
	s_and_saveexec_b64 s[76:77], s[16:17]
	s_cbranch_execz .LBB4_2159
; %bb.2147:                             ;   in Loop: Header=BB4_2000 Depth=2
	s_mov_b64 s[88:89], exec
	s_waitcnt vmcnt(0)
	v_mbcnt_lo_u32_b32 v0, s88, 0
	v_mbcnt_hi_u32_b32 v0, s89, v0
	v_cmp_eq_u32_e32 vcc, 0, v0
	;;#ASMSTART
	s_waitcnt lgkmcnt(0) vmcnt(0)
	;;#ASMEND
	s_and_saveexec_b64 s[78:79], vcc
	s_cbranch_execz .LBB4_2149
; %bb.2148:                             ;   in Loop: Header=BB4_2000 Depth=2
	s_bcnt1_i32_b64 s9, s[88:89]
	v_mov_b32_e32 v3, s9
	v_mov_b32_e32 v4, v2
	s_waitcnt lgkmcnt(0)
	ds_add_u64 v0, v[3:4]
	s_trap 2
.LBB4_2149:                             ;   in Loop: Header=BB4_2000 Depth=2
	s_or_b64 exec, exec, s[78:79]
	s_trap 2
	ds_read_b64 v[3:4], v0
	s_waitcnt lgkmcnt(0)
	v_add_co_u32_e32 v48, vcc, v48, v57
	v_addc_co_u32_e32 v49, vcc, 0, v49, vcc
	v_cmp_lt_u64_e32 vcc, v[3:4], v[48:49]
	s_and_saveexec_b64 s[78:79], vcc
	s_cbranch_execz .LBB4_2158
; %bb.2150:                             ;   in Loop: Header=BB4_2000 Depth=2
	s_mov_b32 s9, 0
	s_mov_b64 s[88:89], 0
                                        ; implicit-def: $sgpr90_sgpr91
                                        ; implicit-def: $sgpr92_sgpr93
	s_branch .LBB4_2152
.LBB4_2151:                             ;   in Loop: Header=BB4_2152 Depth=3
	s_or_b64 exec, exec, s[30:31]
	s_and_b64 s[94:95], exec, vcc
	s_or_b64 s[88:89], s[94:95], s[88:89]
	s_andn2_b64 s[90:91], s[90:91], exec
	s_and_b64 s[94:95], s[92:93], exec
	s_or_b64 s[90:91], s[90:91], s[94:95]
	s_andn2_b64 exec, exec, s[88:89]
	s_cbranch_execz .LBB4_2156
.LBB4_2152:                             ;   Parent Loop BB4_47 Depth=1
                                        ;     Parent Loop BB4_2000 Depth=2
                                        ; =>    This Inner Loop Header: Depth=3
	s_add_i32 s9, s9, 1
	s_cmpk_lg_i32 s9, 0x2710
	s_cselect_b64 s[94:95], -1, 0
	s_and_b64 vcc, exec, s[94:95]
	s_cbranch_vccz .LBB4_2154
; %bb.2153:                             ;   in Loop: Header=BB4_2152 Depth=3
	s_mov_b64 vcc, -1
	s_or_b64 s[92:93], s[92:93], exec
	s_and_saveexec_b64 s[30:31], s[94:95]
	s_cbranch_execz .LBB4_2151
	s_branch .LBB4_2155
.LBB4_2154:                             ;   in Loop: Header=BB4_2152 Depth=3
	s_trap 2
	ds_read_b64 v[3:4], v0
	s_andn2_b64 s[94:95], s[94:95], exec
	s_mov_b32 s9, 0
	s_waitcnt lgkmcnt(0)
	flat_load_dword v0, v[3:4] glc
	s_waitcnt vmcnt(0) lgkmcnt(0)
	buffer_wbinvl1_vol
	v_cmp_eq_u32_e32 vcc, 0, v0
	s_and_b64 vcc, vcc, exec
	s_or_b64 s[94:95], s[94:95], vcc
	s_mov_b64 vcc, -1
	s_or_b64 s[92:93], s[92:93], exec
	s_and_saveexec_b64 s[30:31], s[94:95]
	s_cbranch_execz .LBB4_2151
.LBB4_2155:                             ;   in Loop: Header=BB4_2152 Depth=3
	s_sleep 1
	s_trap 2
	ds_read_b64 v[3:4], v0
	s_waitcnt lgkmcnt(0)
	s_andn2_b64 s[92:93], s[92:93], exec
	v_cmp_ge_u64_e32 vcc, v[3:4], v[48:49]
	s_orn2_b64 vcc, vcc, exec
	s_branch .LBB4_2151
.LBB4_2156:                             ;   in Loop: Header=BB4_2000 Depth=2
	s_or_b64 exec, exec, s[88:89]
	s_and_saveexec_b64 s[88:89], s[90:91]
	s_xor_b64 s[88:89], exec, s[88:89]
	s_cbranch_execz .LBB4_2158
; %bb.2157:                             ;   in Loop: Header=BB4_2000 Depth=2
	v_mov_b32_e32 v0, 1
	ds_write_b32 v0, v0
	s_trap 2
.LBB4_2158:                             ;   in Loop: Header=BB4_2000 Depth=2
	s_or_b64 exec, exec, s[78:79]
	;;#ASMSTART
	s_wakeup
	;;#ASMEND
.LBB4_2159:                             ;   in Loop: Header=BB4_2000 Depth=2
	s_or_b64 exec, exec, s[76:77]
.LBB4_2160:                             ;   in Loop: Header=BB4_2000 Depth=2
	s_andn2_saveexec_b64 s[44:45], s[44:45]
	s_cbranch_execz .LBB4_2162
; %bb.2161:                             ;   in Loop: Header=BB4_2000 Depth=2
	;;#ASMSTART
	s_waitcnt lgkmcnt(0) vmcnt(0)
	;;#ASMEND
	s_waitcnt vmcnt(0) lgkmcnt(0)
	s_barrier
.LBB4_2162:                             ;   in Loop: Header=BB4_2000 Depth=2
	s_or_b64 exec, exec, s[44:45]
.LBB4_2163:                             ;   in Loop: Header=BB4_2000 Depth=2
	s_or_b64 exec, exec, s[26:27]
	s_waitcnt vmcnt(0)
	v_and_b32_e32 v0, 32, v5
	v_cmp_ne_u32_e32 vcc, 0, v0
	s_and_saveexec_b64 s[26:27], vcc
	s_cbranch_execz .LBB4_1999
; %bb.2164:                             ;   in Loop: Header=BB4_2000 Depth=2
	v_add_co_u32_e32 v46, vcc, 2, v46
	v_addc_co_u32_e32 v47, vcc, 0, v47, vcc
	flat_store_dwordx2 v[32:33], v[46:47]
	s_branch .LBB4_1999
.LBB4_2165:                             ;   in Loop: Header=BB4_47 Depth=1
	s_or_b64 exec, exec, s[40:41]
.LBB4_2166:                             ;   in Loop: Header=BB4_47 Depth=1
	s_or_b64 exec, exec, s[28:29]
	v_cmp_gt_i32_e32 vcc, 2, v0
	s_and_saveexec_b64 s[28:29], vcc
	s_cbranch_execz .LBB4_46
; %bb.2167:                             ;   in Loop: Header=BB4_47 Depth=1
	v_cmp_eq_u32_e64 s[42:43], 0, v0
	s_mov_b64 s[40:41], 0
	s_branch .LBB4_2169
.LBB4_2168:                             ;   in Loop: Header=BB4_2169 Depth=2
	s_or_b64 exec, exec, s[26:27]
	v_add_u32_e32 v26, v56, v26
	s_mov_b64 s[42:43], 0
	s_andn2_b64 exec, exec, s[40:41]
	s_cbranch_execz .LBB4_45
.LBB4_2169:                             ;   Parent Loop BB4_47 Depth=1
                                        ; =>  This Loop Header: Depth=2
                                        ;       Child Loop BB4_2175 Depth 3
                                        ;       Child Loop BB4_2199 Depth 3
	;; [unrolled: 1-line block ×3, first 2 shown]
	v_and_b32_e32 v0, 4, v5
	v_cmp_ne_u32_e32 vcc, 0, v0
	s_and_saveexec_b64 s[44:45], vcc
	s_cbranch_execz .LBB4_2191
; %bb.2170:                             ;   in Loop: Header=BB4_2169 Depth=2
	v_add_co_u32_e32 v8, vcc, 2, v46
	v_addc_co_u32_e32 v9, vcc, 0, v47, vcc
	s_waitcnt lgkmcnt(0)
	v_cmp_lt_u64_e32 vcc, v[38:39], v[8:9]
	s_and_saveexec_b64 s[76:77], vcc
	s_cbranch_execz .LBB4_2182
; %bb.2171:                             ;   in Loop: Header=BB4_2169 Depth=2
	v_and_b32_e32 v0, 64, v5
	s_mov_b32 s8, 0
	v_cmp_eq_u32_e32 vcc, 0, v0
	s_mov_b64 s[78:79], 0
                                        ; implicit-def: $sgpr88_sgpr89
                                        ; implicit-def: $sgpr90_sgpr91
                                        ; implicit-def: $sgpr92_sgpr93
	s_branch .LBB4_2175
.LBB4_2172:                             ;   in Loop: Header=BB4_2175 Depth=3
	s_waitcnt vmcnt(0) lgkmcnt(0)
	v_cmp_ge_u64_e64 s[26:27], v[38:39], v[8:9]
	s_or_b64 s[34:35], s[34:35], exec
	s_orn2_b64 s[30:31], s[26:27], exec
.LBB4_2173:                             ;   in Loop: Header=BB4_2175 Depth=3
	s_or_b64 exec, exec, s[38:39]
	s_andn2_b64 s[26:27], s[92:93], exec
	s_and_b64 s[92:93], s[34:35], exec
	s_or_b64 s[92:93], s[26:27], s[92:93]
	s_andn2_b64 s[26:27], s[90:91], exec
	s_and_b64 s[90:91], s[30:31], exec
	s_or_b64 s[90:91], s[26:27], s[90:91]
.LBB4_2174:                             ;   in Loop: Header=BB4_2175 Depth=3
	s_or_b64 exec, exec, s[94:95]
	s_and_b64 s[26:27], exec, s[90:91]
	s_or_b64 s[78:79], s[26:27], s[78:79]
	s_andn2_b64 s[26:27], s[88:89], exec
	s_and_b64 s[88:89], s[92:93], exec
	s_or_b64 s[88:89], s[26:27], s[88:89]
	s_andn2_b64 exec, exec, s[78:79]
	s_cbranch_execz .LBB4_2179
.LBB4_2175:                             ;   Parent Loop BB4_47 Depth=1
                                        ;     Parent Loop BB4_2169 Depth=2
                                        ; =>    This Inner Loop Header: Depth=3
	s_sleep 1
	s_waitcnt vmcnt(0) lgkmcnt(0)
	flat_load_dwordx2 v[38:39], v[32:33] glc
	s_or_b64 s[92:93], s[92:93], exec
	s_or_b64 s[90:91], s[90:91], exec
                                        ; implicit-def: $vgpr0
	s_and_saveexec_b64 s[94:95], vcc
	s_cbranch_execz .LBB4_2174
; %bb.2176:                             ;   in Loop: Header=BB4_2175 Depth=3
	s_cmpk_lt_i32 s8, 0x270f
	s_cselect_b64 s[36:37], -1, 0
	s_cmpk_gt_i32 s8, 0x270e
	s_mov_b64 s[30:31], -1
	s_cbranch_scc0 .LBB4_2178
; %bb.2177:                             ;   in Loop: Header=BB4_2175 Depth=3
	s_trap 2
	ds_read_b64 v[3:4], v0
	s_andn2_b64 s[36:37], s[36:37], exec
	s_mov_b32 s8, 0
	s_mov_b64 s[34:35], 0
	s_waitcnt vmcnt(0) lgkmcnt(0)
	flat_load_dword v0, v[3:4] glc
	s_waitcnt vmcnt(0) lgkmcnt(0)
	buffer_wbinvl1_vol
	v_cmp_eq_u32_e64 s[26:27], 0, v0
	s_and_b64 s[26:27], s[26:27], exec
	s_or_b64 s[36:37], s[36:37], s[26:27]
	s_and_saveexec_b64 s[38:39], s[36:37]
	s_cbranch_execz .LBB4_2173
	s_branch .LBB4_2172
.LBB4_2178:                             ;   in Loop: Header=BB4_2175 Depth=3
	s_add_i32 s8, s8, 1
	s_mov_b64 s[34:35], -1
                                        ; implicit-def: $vgpr0
	s_and_saveexec_b64 s[38:39], s[36:37]
	s_cbranch_execz .LBB4_2173
	s_branch .LBB4_2172
.LBB4_2179:                             ;   in Loop: Header=BB4_2169 Depth=2
	s_or_b64 exec, exec, s[78:79]
	s_xor_b64 s[8:9], s[88:89], -1
	s_and_saveexec_b64 s[26:27], s[8:9]
	s_xor_b64 s[26:27], exec, s[26:27]
	s_cbranch_execz .LBB4_2181
; %bb.2180:                             ;   in Loop: Header=BB4_2169 Depth=2
	v_or_b32_e32 v5, 64, v5
	s_waitcnt lgkmcnt(0)
	ds_write_b32 v0, v0
	s_trap 2
.LBB4_2181:                             ;   in Loop: Header=BB4_2169 Depth=2
	s_or_b64 exec, exec, s[26:27]
.LBB4_2182:                             ;   in Loop: Header=BB4_2169 Depth=2
	s_or_b64 exec, exec, s[76:77]
	v_and_b32_e32 v0, 0x100, v5
	v_cmp_ne_u32_e32 vcc, 0, v0
	v_and_b32_e32 v0, 7, v46
	s_mov_b64 s[26:27], -1
	;;#ASMSTART
	s_wakeup
	;;#ASMEND
                                        ; implicit-def: $vgpr3_vgpr4
	s_and_saveexec_b64 s[76:77], vcc
	s_cbranch_execz .LBB4_2186
; %bb.2183:                             ;   in Loop: Header=BB4_2169 Depth=2
	buffer_load_dword v10, off, s[0:3], s33 offset:148 ; 4-byte Folded Reload
	buffer_load_dword v11, off, s[0:3], s33 offset:152 ; 4-byte Folded Reload
	;; [unrolled: 1-line block ×4, first 2 shown]
	s_waitcnt vmcnt(0)
	v_mad_u64_u32 v[10:11], s[8:9], v0, 24, v[10:11]
	flat_load_dword v3, v[10:11]
	s_waitcnt vmcnt(0) lgkmcnt(0)
	v_cmp_ne_u32_e32 vcc, 1, v3
	v_cmp_eq_u32_e64 s[26:27], 1, v3
                                        ; implicit-def: $vgpr3_vgpr4
	s_and_saveexec_b64 s[78:79], s[26:27]
	s_cbranch_execz .LBB4_2185
; %bb.2184:                             ;   in Loop: Header=BB4_2169 Depth=2
	flat_load_dword v3, v[10:11] offset:4 glc
	s_waitcnt vmcnt(0) lgkmcnt(0)
	v_ashrrev_i32_e32 v4, 31, v3
	v_lshrrev_b64 v[3:4], 1, v[3:4]
.LBB4_2185:                             ;   in Loop: Header=BB4_2169 Depth=2
	s_or_b64 exec, exec, s[78:79]
	s_orn2_b64 s[26:27], vcc, exec
.LBB4_2186:                             ;   in Loop: Header=BB4_2169 Depth=2
	s_or_b64 exec, exec, s[76:77]
	s_and_saveexec_b64 s[76:77], s[26:27]
	s_cbranch_execz .LBB4_2188
; %bb.2187:                             ;   in Loop: Header=BB4_2169 Depth=2
	buffer_load_dword v3, off, s[0:3], s33 offset:172 ; 4-byte Folded Reload
	s_waitcnt vmcnt(0)
	v_mad_i64_i32 v[3:4], s[8:9], v0, v3, 0
.LBB4_2188:                             ;   in Loop: Header=BB4_2169 Depth=2
	s_or_b64 exec, exec, s[76:77]
	buffer_load_dword v10, off, s[0:3], s33 offset:140 ; 4-byte Folded Reload
	buffer_load_dword v11, off, s[0:3], s33 offset:144 ; 4-byte Folded Reload
	v_lshlrev_b64 v[3:4], 1, v[3:4]
	s_waitcnt vmcnt(0)
	v_add_co_u32_e32 v3, vcc, v10, v3
	v_addc_co_u32_e32 v4, vcc, v11, v4, vcc
	ds_write_b64 v0, v[3:4] offset:720
	v_and_b32_e32 v0, 0x2000, v5
	v_cmp_ne_u32_e32 vcc, 0, v0
	s_and_saveexec_b64 s[26:27], vcc
	s_cbranch_execz .LBB4_2190
; %bb.2189:                             ;   in Loop: Header=BB4_2169 Depth=2
	ds_read_b64 v[3:4], v0 offset:872
	s_waitcnt lgkmcnt(0)
	v_add_co_u32_e32 v3, vcc, 1, v3
	v_addc_co_u32_e32 v4, vcc, 0, v4, vcc
	ds_write_b64 v0, v[3:4] offset:872
.LBB4_2190:                             ;   in Loop: Header=BB4_2169 Depth=2
	s_or_b64 exec, exec, s[26:27]
	v_mov_b32_e32 v47, v9
	v_mov_b32_e32 v46, v8
.LBB4_2191:                             ;   in Loop: Header=BB4_2169 Depth=2
	s_or_b64 exec, exec, s[44:45]
	s_xor_b64 s[8:9], s[42:43], -1
	s_and_b64 s[8:9], exec, s[8:9]
	s_or_b64 s[40:41], s[8:9], s[40:41]
	s_and_saveexec_b64 s[26:27], s[10:11]
	s_cbranch_execz .LBB4_2210
; %bb.2192:                             ;   in Loop: Header=BB4_2169 Depth=2
	s_and_saveexec_b64 s[8:9], s[58:59]
	s_xor_b64 s[42:43], exec, s[8:9]
	s_cbranch_execz .LBB4_2207
; %bb.2193:                             ;   in Loop: Header=BB4_2169 Depth=2
	s_and_saveexec_b64 s[44:45], s[16:17]
	s_cbranch_execz .LBB4_2206
; %bb.2194:                             ;   in Loop: Header=BB4_2169 Depth=2
	s_mov_b64 s[78:79], exec
	v_mbcnt_lo_u32_b32 v0, s78, 0
	v_mbcnt_hi_u32_b32 v0, s79, v0
	v_cmp_eq_u32_e32 vcc, 0, v0
	s_waitcnt vmcnt(0) lgkmcnt(0)
	buffer_wbinvl1_vol
	s_and_saveexec_b64 s[76:77], vcc
	s_cbranch_execz .LBB4_2196
; %bb.2195:                             ;   in Loop: Header=BB4_2169 Depth=2
	s_bcnt1_i32_b64 s8, s[78:79]
	v_mov_b32_e32 v3, s8
	v_mov_b32_e32 v4, v2
	ds_add_u64 v0, v[3:4]
	s_trap 2
.LBB4_2196:                             ;   in Loop: Header=BB4_2169 Depth=2
	s_or_b64 exec, exec, s[76:77]
	s_trap 2
	ds_read_b64 v[3:4], v0
	s_waitcnt lgkmcnt(0)
	v_add_co_u32_e32 v48, vcc, v48, v57
	v_addc_co_u32_e32 v49, vcc, 0, v49, vcc
	v_cmp_lt_u64_e32 vcc, v[3:4], v[48:49]
	s_and_saveexec_b64 s[76:77], vcc
	s_cbranch_execz .LBB4_2205
; %bb.2197:                             ;   in Loop: Header=BB4_2169 Depth=2
	s_mov_b32 s8, 0
	s_mov_b64 s[78:79], 0
                                        ; implicit-def: $sgpr88_sgpr89
                                        ; implicit-def: $sgpr90_sgpr91
	s_branch .LBB4_2199
.LBB4_2198:                             ;   in Loop: Header=BB4_2199 Depth=3
	s_or_b64 exec, exec, s[94:95]
	s_and_b64 s[92:93], exec, vcc
	s_or_b64 s[78:79], s[92:93], s[78:79]
	s_andn2_b64 s[88:89], s[88:89], exec
	s_and_b64 s[92:93], s[90:91], exec
	s_or_b64 s[88:89], s[88:89], s[92:93]
	s_andn2_b64 exec, exec, s[78:79]
	s_cbranch_execz .LBB4_2203
.LBB4_2199:                             ;   Parent Loop BB4_47 Depth=1
                                        ;     Parent Loop BB4_2169 Depth=2
                                        ; =>    This Inner Loop Header: Depth=3
	s_add_i32 s8, s8, 1
	s_cmpk_lg_i32 s8, 0x2710
	s_cselect_b64 s[92:93], -1, 0
	s_and_b64 vcc, exec, s[92:93]
	s_cbranch_vccz .LBB4_2201
; %bb.2200:                             ;   in Loop: Header=BB4_2199 Depth=3
	s_mov_b64 vcc, -1
	s_or_b64 s[90:91], s[90:91], exec
	s_and_saveexec_b64 s[94:95], s[92:93]
	s_cbranch_execz .LBB4_2198
	s_branch .LBB4_2202
.LBB4_2201:                             ;   in Loop: Header=BB4_2199 Depth=3
	s_trap 2
	ds_read_b64 v[3:4], v0
	s_andn2_b64 s[92:93], s[92:93], exec
	s_mov_b32 s8, 0
	s_waitcnt lgkmcnt(0)
	flat_load_dword v0, v[3:4] glc
	s_waitcnt vmcnt(0) lgkmcnt(0)
	buffer_wbinvl1_vol
	v_cmp_eq_u32_e32 vcc, 0, v0
	s_and_b64 s[94:95], vcc, exec
	s_or_b64 s[92:93], s[92:93], s[94:95]
	s_mov_b64 vcc, -1
	s_or_b64 s[90:91], s[90:91], exec
	s_and_saveexec_b64 s[94:95], s[92:93]
	s_cbranch_execz .LBB4_2198
.LBB4_2202:                             ;   in Loop: Header=BB4_2199 Depth=3
	s_sleep 1
	s_trap 2
	ds_read_b64 v[3:4], v0
	s_waitcnt lgkmcnt(0)
	s_andn2_b64 s[90:91], s[90:91], exec
	v_cmp_ge_u64_e32 vcc, v[3:4], v[48:49]
	s_orn2_b64 vcc, vcc, exec
	s_branch .LBB4_2198
.LBB4_2203:                             ;   in Loop: Header=BB4_2169 Depth=2
	s_or_b64 exec, exec, s[78:79]
	s_and_saveexec_b64 s[8:9], s[88:89]
	s_xor_b64 s[8:9], exec, s[8:9]
	s_cbranch_execz .LBB4_2205
; %bb.2204:                             ;   in Loop: Header=BB4_2169 Depth=2
	v_mov_b32_e32 v0, 1
	ds_write_b32 v0, v0
	s_trap 2
.LBB4_2205:                             ;   in Loop: Header=BB4_2169 Depth=2
	s_or_b64 exec, exec, s[76:77]
	;;#ASMSTART
	s_wakeup
	;;#ASMEND
.LBB4_2206:                             ;   in Loop: Header=BB4_2169 Depth=2
	s_or_b64 exec, exec, s[44:45]
.LBB4_2207:                             ;   in Loop: Header=BB4_2169 Depth=2
	s_andn2_saveexec_b64 s[42:43], s[42:43]
	s_cbranch_execz .LBB4_2209
; %bb.2208:                             ;   in Loop: Header=BB4_2169 Depth=2
	s_waitcnt vmcnt(0) lgkmcnt(0)
	buffer_wbinvl1_vol
	s_barrier
.LBB4_2209:                             ;   in Loop: Header=BB4_2169 Depth=2
	s_or_b64 exec, exec, s[42:43]
.LBB4_2210:                             ;   in Loop: Header=BB4_2169 Depth=2
	s_or_b64 exec, exec, s[26:27]
	v_sub_u32_e32 v0, v31, v26
	v_min_i32_e32 v56, v56, v0
	s_and_saveexec_b64 s[8:9], s[24:25]
	s_xor_b64 s[26:27], exec, s[8:9]
	s_cbranch_execz .LBB4_2214
; %bb.2211:                             ;   in Loop: Header=BB4_2169 Depth=2
	s_trap 2
	ds_read_b32 v0, v0
	v_cmp_lt_i32_e32 vcc, 0, v56
	s_waitcnt lgkmcnt(0)
	v_readfirstlane_b32 s8, v0
	s_cmp_eq_u32 s8, 0
	s_cselect_b64 s[8:9], -1, 0
	v_and_b32_e32 v0, 16, v5
	s_and_b64 s[8:9], vcc, s[8:9]
	v_cmp_ne_u32_e32 vcc, 0, v0
	s_and_b64 s[8:9], vcc, s[8:9]
	s_and_saveexec_b64 s[42:43], s[8:9]
	s_cbranch_execz .LBB4_2213
; %bb.2212:                             ;   in Loop: Header=BB4_2169 Depth=2
	s_waitcnt vmcnt(0)
	buffer_wbinvl1_vol
.LBB4_2213:                             ;   in Loop: Header=BB4_2169 Depth=2
	s_or_b64 exec, exec, s[42:43]
.LBB4_2214:                             ;   in Loop: Header=BB4_2169 Depth=2
	s_andn2_saveexec_b64 s[26:27], s[26:27]
	s_cbranch_execz .LBB4_2233
; %bb.2215:                             ;   in Loop: Header=BB4_2169 Depth=2
	s_and_saveexec_b64 s[8:9], s[58:59]
	s_xor_b64 s[42:43], exec, s[8:9]
	s_cbranch_execz .LBB4_2230
; %bb.2216:                             ;   in Loop: Header=BB4_2169 Depth=2
	s_and_saveexec_b64 s[44:45], s[16:17]
	s_cbranch_execz .LBB4_2229
; %bb.2217:                             ;   in Loop: Header=BB4_2169 Depth=2
	s_mov_b64 s[78:79], exec
	v_mbcnt_lo_u32_b32 v0, s78, 0
	v_mbcnt_hi_u32_b32 v0, s79, v0
	v_cmp_eq_u32_e32 vcc, 0, v0
	;;#ASMSTART
	s_waitcnt lgkmcnt(0) vmcnt(0)
	;;#ASMEND
	s_and_saveexec_b64 s[76:77], vcc
	s_cbranch_execz .LBB4_2219
; %bb.2218:                             ;   in Loop: Header=BB4_2169 Depth=2
	s_bcnt1_i32_b64 s8, s[78:79]
	v_mov_b32_e32 v3, s8
	v_mov_b32_e32 v4, v2
	s_waitcnt lgkmcnt(0)
	ds_add_u64 v0, v[3:4]
	s_trap 2
.LBB4_2219:                             ;   in Loop: Header=BB4_2169 Depth=2
	s_or_b64 exec, exec, s[76:77]
	s_trap 2
	ds_read_b64 v[3:4], v0
	s_waitcnt lgkmcnt(0)
	v_add_co_u32_e32 v48, vcc, v48, v57
	v_addc_co_u32_e32 v49, vcc, 0, v49, vcc
	v_cmp_lt_u64_e32 vcc, v[3:4], v[48:49]
	s_and_saveexec_b64 s[76:77], vcc
	s_cbranch_execz .LBB4_2228
; %bb.2220:                             ;   in Loop: Header=BB4_2169 Depth=2
	s_mov_b32 s8, 0
	s_mov_b64 s[78:79], 0
                                        ; implicit-def: $sgpr88_sgpr89
                                        ; implicit-def: $sgpr90_sgpr91
	s_branch .LBB4_2222
.LBB4_2221:                             ;   in Loop: Header=BB4_2222 Depth=3
	s_or_b64 exec, exec, s[94:95]
	s_and_b64 s[92:93], exec, vcc
	s_or_b64 s[78:79], s[92:93], s[78:79]
	s_andn2_b64 s[88:89], s[88:89], exec
	s_and_b64 s[92:93], s[90:91], exec
	s_or_b64 s[88:89], s[88:89], s[92:93]
	s_andn2_b64 exec, exec, s[78:79]
	s_cbranch_execz .LBB4_2226
.LBB4_2222:                             ;   Parent Loop BB4_47 Depth=1
                                        ;     Parent Loop BB4_2169 Depth=2
                                        ; =>    This Inner Loop Header: Depth=3
	s_add_i32 s8, s8, 1
	s_cmpk_lg_i32 s8, 0x2710
	s_cselect_b64 s[92:93], -1, 0
	s_and_b64 vcc, exec, s[92:93]
	s_cbranch_vccz .LBB4_2224
; %bb.2223:                             ;   in Loop: Header=BB4_2222 Depth=3
	s_mov_b64 vcc, -1
	s_or_b64 s[90:91], s[90:91], exec
	s_and_saveexec_b64 s[94:95], s[92:93]
	s_cbranch_execz .LBB4_2221
	s_branch .LBB4_2225
.LBB4_2224:                             ;   in Loop: Header=BB4_2222 Depth=3
	s_trap 2
	ds_read_b64 v[3:4], v0
	s_andn2_b64 s[92:93], s[92:93], exec
	s_mov_b32 s8, 0
	s_waitcnt vmcnt(0) lgkmcnt(0)
	flat_load_dword v0, v[3:4] glc
	s_waitcnt vmcnt(0) lgkmcnt(0)
	buffer_wbinvl1_vol
	v_cmp_eq_u32_e32 vcc, 0, v0
	s_and_b64 s[94:95], vcc, exec
	s_or_b64 s[92:93], s[92:93], s[94:95]
	s_mov_b64 vcc, -1
	s_or_b64 s[90:91], s[90:91], exec
	s_and_saveexec_b64 s[94:95], s[92:93]
	s_cbranch_execz .LBB4_2221
.LBB4_2225:                             ;   in Loop: Header=BB4_2222 Depth=3
	s_sleep 1
	s_trap 2
	ds_read_b64 v[3:4], v0
	s_waitcnt lgkmcnt(0)
	s_andn2_b64 s[90:91], s[90:91], exec
	v_cmp_ge_u64_e32 vcc, v[3:4], v[48:49]
	s_orn2_b64 vcc, vcc, exec
	s_branch .LBB4_2221
.LBB4_2226:                             ;   in Loop: Header=BB4_2169 Depth=2
	s_or_b64 exec, exec, s[78:79]
	s_and_saveexec_b64 s[8:9], s[88:89]
	s_xor_b64 s[8:9], exec, s[8:9]
	s_cbranch_execz .LBB4_2228
; %bb.2227:                             ;   in Loop: Header=BB4_2169 Depth=2
	v_mov_b32_e32 v0, 1
	ds_write_b32 v0, v0
	s_trap 2
.LBB4_2228:                             ;   in Loop: Header=BB4_2169 Depth=2
	s_or_b64 exec, exec, s[76:77]
	;;#ASMSTART
	s_wakeup
	;;#ASMEND
.LBB4_2229:                             ;   in Loop: Header=BB4_2169 Depth=2
	s_or_b64 exec, exec, s[44:45]
.LBB4_2230:                             ;   in Loop: Header=BB4_2169 Depth=2
	s_andn2_saveexec_b64 s[42:43], s[42:43]
	s_cbranch_execz .LBB4_2232
; %bb.2231:                             ;   in Loop: Header=BB4_2169 Depth=2
	;;#ASMSTART
	s_waitcnt lgkmcnt(0) vmcnt(0)
	;;#ASMEND
	s_waitcnt vmcnt(0) lgkmcnt(0)
	s_barrier
.LBB4_2232:                             ;   in Loop: Header=BB4_2169 Depth=2
	s_or_b64 exec, exec, s[42:43]
.LBB4_2233:                             ;   in Loop: Header=BB4_2169 Depth=2
	s_or_b64 exec, exec, s[26:27]
	v_and_b32_e32 v0, 32, v5
	v_cmp_ne_u32_e32 vcc, 0, v0
	s_and_saveexec_b64 s[26:27], vcc
	s_cbranch_execz .LBB4_2168
; %bb.2234:                             ;   in Loop: Header=BB4_2169 Depth=2
	v_add_co_u32_e32 v46, vcc, 2, v46
	v_addc_co_u32_e32 v47, vcc, 0, v47, vcc
	flat_store_dwordx2 v[32:33], v[46:47]
	s_branch .LBB4_2168
.LBB4_2235:
	s_or_b64 exec, exec, s[60:61]
	buffer_load_dword v19, off, s[0:3], s33 offset:300 ; 4-byte Folded Reload
	buffer_load_dword v31, off, s[0:3], s33 offset:304 ; 4-byte Folded Reload
	;; [unrolled: 1-line block ×3, first 2 shown]
	v_readlane_b32 s28, v62, 4
	v_readlane_b32 s29, v62, 5
.LBB4_2236:
	v_readlane_b32 s4, v62, 2
	v_readlane_b32 s5, v62, 3
	s_or_b64 exec, exec, s[4:5]
	v_and_b32_e32 v0, 0x800, v5
	v_cmp_eq_u32_e32 vcc, 0, v0
	s_and_saveexec_b64 s[6:7], vcc
	s_cbranch_execz .LBB4_2269
; %bb.2237:
	v_and_b32_e32 v0, 48, v5
	v_cmp_ne_u32_e32 vcc, 0, v0
	s_and_saveexec_b64 s[4:5], vcc
	s_cbranch_execz .LBB4_2239
; %bb.2238:
	buffer_load_dword v0, off, s[0:3], s33 offset:292 ; 4-byte Folded Reload
	buffer_load_dword v1, off, s[0:3], s33 offset:296 ; 4-byte Folded Reload
	s_waitcnt vmcnt(0)
	flat_store_dwordx2 v[0:1], v[46:47] offset:104
.LBB4_2239:
	s_or_b64 exec, exec, s[4:5]
	s_movk_i32 s4, 0x88
	v_and_b32_e32 v0, 0x88, v5
	v_cmp_eq_u32_e32 vcc, s4, v0
	s_and_saveexec_b64 s[10:11], vcc
	s_cbranch_execz .LBB4_2249
; %bb.2240:
	buffer_load_dword v1, off, s[0:3], s33 offset:148 ; 4-byte Folded Reload
	buffer_load_dword v2, off, s[0:3], s33 offset:152 ; 4-byte Folded Reload
	;; [unrolled: 1-line block ×4, first 2 shown]
	v_add_u32_e32 v0, 6, v46
	v_and_b32_e32 v0, 7, v0
	s_waitcnt vmcnt(0)
	v_and_b32_e32 v4, 64, v5
	s_mov_b32 s8, 0
	v_mad_u64_u32 v[2:3], s[4:5], v0, 24, v[1:2]
	v_cmp_eq_u32_e64 s[4:5], 0, v4
	flat_load_dwordx2 v[0:1], v[2:3] offset:8 glc
	s_waitcnt vmcnt(0) lgkmcnt(0)
	v_cmp_ne_u64_e32 vcc, -1, v[0:1]
	s_and_b64 s[4:5], vcc, s[4:5]
	s_and_b64 exec, exec, s[4:5]
	s_cbranch_execz .LBB4_2249
; %bb.2241:
	s_mov_b64 s[4:5], 0
                                        ; implicit-def: $sgpr12_sgpr13
                                        ; implicit-def: $sgpr14_sgpr15
	s_branch .LBB4_2244
.LBB4_2242:                             ;   in Loop: Header=BB4_2244 Depth=1
	flat_load_dwordx2 v[6:7], v[2:3] offset:8 glc
	s_waitcnt vmcnt(0)
	s_andn2_b64 s[14:15], s[14:15], exec
	s_waitcnt lgkmcnt(0)
	v_cmp_eq_u64_e32 vcc, -1, v[6:7]
	s_orn2_b64 s[18:19], vcc, exec
.LBB4_2243:                             ;   in Loop: Header=BB4_2244 Depth=1
	s_or_b64 exec, exec, s[20:21]
	s_and_b64 s[16:17], exec, s[18:19]
	s_or_b64 s[4:5], s[16:17], s[4:5]
	s_andn2_b64 s[12:13], s[12:13], exec
	s_and_b64 s[16:17], s[14:15], exec
	s_or_b64 s[12:13], s[12:13], s[16:17]
	s_andn2_b64 exec, exec, s[4:5]
	s_cbranch_execz .LBB4_2247
.LBB4_2244:                             ; =>This Inner Loop Header: Depth=1
	s_cmpk_lt_i32 s8, 0x270f
	s_cselect_b64 s[16:17], -1, 0
	s_and_b64 vcc, exec, s[16:17]
	s_cbranch_vccnz .LBB4_2246
; %bb.2245:                             ;   in Loop: Header=BB4_2244 Depth=1
	s_trap 2
	ds_read_b64 v[0:1], v0
	s_andn2_b64 s[16:17], s[16:17], exec
	s_mov_b32 s8, 0
	s_waitcnt lgkmcnt(0)
	flat_load_dword v0, v[0:1] glc
	s_waitcnt vmcnt(0) lgkmcnt(0)
	buffer_wbinvl1_vol
	v_cmp_eq_u32_e32 vcc, 0, v0
	s_and_b64 s[18:19], vcc, exec
	s_or_b64 s[16:17], s[16:17], s[18:19]
	s_mov_b64 s[18:19], -1
	s_or_b64 s[14:15], s[14:15], exec
	s_and_saveexec_b64 s[20:21], s[16:17]
	s_cbranch_execz .LBB4_2243
	s_branch .LBB4_2242
.LBB4_2246:                             ;   in Loop: Header=BB4_2244 Depth=1
	s_add_i32 s8, s8, 1
                                        ; implicit-def: $vgpr0
	s_mov_b64 s[18:19], -1
	s_or_b64 s[14:15], s[14:15], exec
	s_and_saveexec_b64 s[20:21], s[16:17]
	s_cbranch_execz .LBB4_2243
	s_branch .LBB4_2242
.LBB4_2247:
	s_or_b64 exec, exec, s[4:5]
	s_and_saveexec_b64 s[4:5], s[12:13]
	s_xor_b64 s[4:5], exec, s[4:5]
	s_cbranch_execz .LBB4_2249
; %bb.2248:
	ds_write_b32 v0, v0
	s_trap 2
.LBB4_2249:
	s_or_b64 exec, exec, s[10:11]
	v_and_b32_e32 v0, 0x2000, v5
	v_cmp_ne_u32_e32 vcc, 0, v0
	s_and_saveexec_b64 s[4:5], vcc
	s_cbranch_execz .LBB4_2251
; %bb.2250:
	s_trap 2
	ds_read_b64 v[0:1], v0
	buffer_load_dword v2, off, s[0:3], s33 offset:312 ; 4-byte Folded Reload
	buffer_load_dword v3, off, s[0:3], s33 offset:316 ; 4-byte Folded Reload
	s_waitcnt vmcnt(0) lgkmcnt(0)
	flat_store_dwordx2 v[2:3], v[0:1] offset:16
.LBB4_2251:
	s_or_b64 exec, exec, s[4:5]
	s_waitcnt vmcnt(0)
	v_cmp_ne_u32_e32 vcc, 64, v19
	s_and_b64 exec, exec, vcc
	s_cbranch_execz .LBB4_2269
; %bb.2252:
	v_cmp_ne_u32_sdwa s[4:5], v19, v20 src0_sel:DWORD src1_sel:WORD_0
	s_and_saveexec_b64 s[8:9], s[4:5]
	s_xor_b64 s[4:5], exec, s[8:9]
	s_cbranch_execz .LBB4_2267
; %bb.2253:
	v_and_b32_e32 v0, 63, v31
	v_cmp_eq_u32_e32 vcc, 0, v0
	s_and_saveexec_b64 s[10:11], vcc
	s_cbranch_execz .LBB4_2266
; %bb.2254:
	s_mov_b64 s[14:15], exec
	v_mbcnt_lo_u32_b32 v0, s14, 0
	v_mbcnt_hi_u32_b32 v0, s15, v0
	v_cmp_eq_u32_e32 vcc, 0, v0
	s_waitcnt lgkmcnt(0)
	buffer_wbinvl1_vol
	s_and_saveexec_b64 s[12:13], vcc
	s_cbranch_execz .LBB4_2256
; %bb.2255:
	s_bcnt1_i32_b64 s8, s[14:15]
	v_mov_b32_e32 v0, s8
	v_mov_b32_e32 v1, 0
	ds_add_u64 v0, v[0:1]
	s_trap 2
.LBB4_2256:
	s_or_b64 exec, exec, s[12:13]
	v_lshrrev_b32_e32 v0, 6, v19
	s_trap 2
	ds_read_b64 v[2:3], v0
	s_waitcnt lgkmcnt(0)
	v_add_co_u32_e32 v0, vcc, v48, v0
	v_addc_co_u32_e32 v1, vcc, 0, v49, vcc
	v_cmp_lt_u64_e32 vcc, v[2:3], v[0:1]
	s_and_saveexec_b64 s[12:13], vcc
	s_cbranch_execz .LBB4_2265
; %bb.2257:
	s_mov_b32 s8, 0
	s_mov_b64 s[14:15], 0
                                        ; implicit-def: $sgpr16_sgpr17
                                        ; implicit-def: $sgpr18_sgpr19
	s_branch .LBB4_2259
.LBB4_2258:                             ;   in Loop: Header=BB4_2259 Depth=1
	s_or_b64 exec, exec, s[22:23]
	s_and_b64 s[20:21], exec, s[24:25]
	s_or_b64 s[14:15], s[20:21], s[14:15]
	s_andn2_b64 s[16:17], s[16:17], exec
	s_and_b64 s[20:21], s[18:19], exec
	s_or_b64 s[16:17], s[16:17], s[20:21]
	s_andn2_b64 exec, exec, s[14:15]
	s_cbranch_execz .LBB4_2263
.LBB4_2259:                             ; =>This Inner Loop Header: Depth=1
	s_add_i32 s8, s8, 1
	s_cmpk_lg_i32 s8, 0x2710
	s_cselect_b64 s[20:21], -1, 0
	s_and_b64 vcc, exec, s[20:21]
	s_cbranch_vccz .LBB4_2261
; %bb.2260:                             ;   in Loop: Header=BB4_2259 Depth=1
	s_mov_b64 s[24:25], -1
	s_or_b64 s[18:19], s[18:19], exec
	s_and_saveexec_b64 s[22:23], s[20:21]
	s_cbranch_execz .LBB4_2258
	s_branch .LBB4_2262
.LBB4_2261:                             ;   in Loop: Header=BB4_2259 Depth=1
	s_trap 2
	ds_read_b64 v[2:3], v0
	s_andn2_b64 s[20:21], s[20:21], exec
	s_mov_b32 s8, 0
	s_waitcnt lgkmcnt(0)
	flat_load_dword v2, v[2:3] glc
	s_waitcnt vmcnt(0) lgkmcnt(0)
	buffer_wbinvl1_vol
	v_cmp_eq_u32_e32 vcc, 0, v2
	s_and_b64 s[22:23], vcc, exec
	s_or_b64 s[20:21], s[20:21], s[22:23]
	s_mov_b64 s[24:25], -1
	s_or_b64 s[18:19], s[18:19], exec
	s_and_saveexec_b64 s[22:23], s[20:21]
	s_cbranch_execz .LBB4_2258
.LBB4_2262:                             ;   in Loop: Header=BB4_2259 Depth=1
	s_sleep 1
	s_trap 2
	ds_read_b64 v[2:3], v0
	s_waitcnt lgkmcnt(0)
	s_andn2_b64 s[18:19], s[18:19], exec
	v_cmp_ge_u64_e32 vcc, v[2:3], v[0:1]
	s_orn2_b64 s[24:25], vcc, exec
	s_branch .LBB4_2258
.LBB4_2263:
	s_or_b64 exec, exec, s[14:15]
	s_and_saveexec_b64 s[8:9], s[16:17]
	s_xor_b64 s[8:9], exec, s[8:9]
	s_cbranch_execz .LBB4_2265
; %bb.2264:
	v_mov_b32_e32 v0, 1
	ds_write_b32 v0, v0
	s_trap 2
.LBB4_2265:
	s_or_b64 exec, exec, s[12:13]
	;;#ASMSTART
	s_wakeup
	;;#ASMEND
.LBB4_2266:
	s_or_b64 exec, exec, s[10:11]
.LBB4_2267:
	s_andn2_saveexec_b64 s[4:5], s[4:5]
	s_cbranch_execz .LBB4_2269
; %bb.2268:
	s_waitcnt lgkmcnt(0)
	buffer_wbinvl1_vol
	s_barrier
.LBB4_2269:
	s_or_b64 exec, exec, s[6:7]
.LBB4_2270:
	v_readlane_b32 s4, v62, 0
	v_readlane_b32 s5, v62, 1
	s_andn2_saveexec_b64 s[26:27], s[4:5]
	s_cbranch_execz .LBB4_2272
; %bb.2271:
	s_getpc_b64 s[4:5]
	s_add_u32 s4, s4, __PRETTY_FUNCTION__._ZN10PrimitivesI12hip_bfloat1610FuncMinMaxIS0_E12FanSymmetricILi1EELi0E11ProtoSimpleILi2ELi2ELi0ELi1ELi0ELi0EELi0ELb0ELi0ELi1ELi0EEC2EiiPKiS9_PKvPvmhhhP15ncclDevWorkCollP14ncclDevWorkP2pii@rel32@lo+4
	s_addc_u32 s5, s5, __PRETTY_FUNCTION__._ZN10PrimitivesI12hip_bfloat1610FuncMinMaxIS0_E12FanSymmetricILi1EELi0E11ProtoSimpleILi2ELi2ELi0ELi1ELi0ELi0EELi0ELb0ELi0ELi1ELi0EEC2EiiPKiS9_PKvPvmhhhP15ncclDevWorkCollP14ncclDevWorkP2pii@rel32@hi+12
	s_getpc_b64 s[6:7]
	s_add_u32 s6, s6, __assert_fail@rel32@lo+4
	s_addc_u32 s7, s7, __assert_fail@rel32@hi+12
	s_mov_b64 s[8:9], s[28:29]
	v_mov_b32_e32 v0, s4
	v_mov_b32_e32 v1, s5
	s_swappc_b64 s[30:31], s[6:7]
	; divergent unreachable
.LBB4_2272:
	s_or_b64 exec, exec, s[26:27]
	buffer_load_dword v61, off, s[0:3], s33 ; 4-byte Folded Reload
	buffer_load_dword v60, off, s[0:3], s33 offset:4 ; 4-byte Folded Reload
	buffer_load_dword v59, off, s[0:3], s33 offset:8 ; 4-byte Folded Reload
	;; [unrolled: 1-line block ×13, first 2 shown]
	v_readlane_b32 s30, v63, 32
	v_readlane_b32 s31, v63, 33
	v_readlane_b32 s97, v63, 31
	v_readlane_b32 s96, v63, 30
	v_readlane_b32 s87, v63, 29
	v_readlane_b32 s86, v63, 28
	v_readlane_b32 s85, v63, 27
	v_readlane_b32 s84, v63, 26
	v_readlane_b32 s83, v63, 25
	v_readlane_b32 s82, v63, 24
	v_readlane_b32 s81, v63, 23
	v_readlane_b32 s80, v63, 22
	v_readlane_b32 s71, v63, 21
	v_readlane_b32 s70, v63, 20
	v_readlane_b32 s69, v63, 19
	v_readlane_b32 s68, v63, 18
	v_readlane_b32 s67, v63, 17
	v_readlane_b32 s66, v63, 16
	v_readlane_b32 s65, v63, 15
	v_readlane_b32 s64, v63, 14
	v_readlane_b32 s55, v63, 13
	v_readlane_b32 s54, v63, 12
	v_readlane_b32 s53, v63, 11
	v_readlane_b32 s52, v63, 10
	v_readlane_b32 s51, v63, 9
	v_readlane_b32 s50, v63, 8
	v_readlane_b32 s49, v63, 7
	v_readlane_b32 s48, v63, 6
	v_readlane_b32 s39, v63, 5
	v_readlane_b32 s38, v63, 4
	v_readlane_b32 s37, v63, 3
	v_readlane_b32 s36, v63, 2
	v_readlane_b32 s35, v63, 1
	v_readlane_b32 s34, v63, 0
	s_mov_b32 s32, s33
	v_readlane_b32 s4, v63, 34
	s_or_saveexec_b64 s[6:7], -1
	buffer_load_dword v63, off, s[0:3], s33 offset:320 ; 4-byte Folded Reload
	buffer_load_dword v62, off, s[0:3], s33 offset:324 ; 4-byte Folded Reload
	s_mov_b64 exec, s[6:7]
	s_mov_b32 s33, s4
	s_waitcnt vmcnt(0) lgkmcnt(0)
	s_setpc_b64 s[30:31]
.Lfunc_end4:
	.size	_ZN12_GLOBAL__N_17runRingI12hip_bfloat1610FuncMinMaxIS1_E11ProtoSimpleILi2ELi2ELi0ELi1ELi0ELi0EELi0ELi0ELi1ELi1EEEviiP15ncclDevWorkColl, .Lfunc_end4-_ZN12_GLOBAL__N_17runRingI12hip_bfloat1610FuncMinMaxIS1_E11ProtoSimpleILi2ELi2ELi0ELi1ELi0ELi0EELi0ELi0ELi1ELi1EEEviiP15ncclDevWorkColl
                                        ; -- End function
	.set .L_ZN12_GLOBAL__N_17runRingI12hip_bfloat1610FuncMinMaxIS1_E11ProtoSimpleILi2ELi2ELi0ELi1ELi0ELi0EELi0ELi0ELi1ELi1EEEviiP15ncclDevWorkColl.num_vgpr, max(64, .L__assert_fail.num_vgpr)
	.set .L_ZN12_GLOBAL__N_17runRingI12hip_bfloat1610FuncMinMaxIS1_E11ProtoSimpleILi2ELi2ELi0ELi1ELi0ELi0EELi0ELi0ELi1ELi1EEEviiP15ncclDevWorkColl.num_agpr, max(0, .L__assert_fail.num_agpr)
	.set .L_ZN12_GLOBAL__N_17runRingI12hip_bfloat1610FuncMinMaxIS1_E11ProtoSimpleILi2ELi2ELi0ELi1ELi0ELi0EELi0ELi0ELi1ELi1EEEviiP15ncclDevWorkColl.numbered_sgpr, max(98, .L__assert_fail.numbered_sgpr)
	.set .L_ZN12_GLOBAL__N_17runRingI12hip_bfloat1610FuncMinMaxIS1_E11ProtoSimpleILi2ELi2ELi0ELi1ELi0ELi0EELi0ELi0ELi1ELi1EEEviiP15ncclDevWorkColl.num_named_barrier, max(0, .L__assert_fail.num_named_barrier)
	.set .L_ZN12_GLOBAL__N_17runRingI12hip_bfloat1610FuncMinMaxIS1_E11ProtoSimpleILi2ELi2ELi0ELi1ELi0ELi0EELi0ELi0ELi1ELi1EEEviiP15ncclDevWorkColl.private_seg_size, 336+max(.L__assert_fail.private_seg_size)
	.set .L_ZN12_GLOBAL__N_17runRingI12hip_bfloat1610FuncMinMaxIS1_E11ProtoSimpleILi2ELi2ELi0ELi1ELi0ELi0EELi0ELi0ELi1ELi1EEEviiP15ncclDevWorkColl.uses_vcc, or(1, .L__assert_fail.uses_vcc)
	.set .L_ZN12_GLOBAL__N_17runRingI12hip_bfloat1610FuncMinMaxIS1_E11ProtoSimpleILi2ELi2ELi0ELi1ELi0ELi0EELi0ELi0ELi1ELi1EEEviiP15ncclDevWorkColl.uses_flat_scratch, or(0, .L__assert_fail.uses_flat_scratch)
	.set .L_ZN12_GLOBAL__N_17runRingI12hip_bfloat1610FuncMinMaxIS1_E11ProtoSimpleILi2ELi2ELi0ELi1ELi0ELi0EELi0ELi0ELi1ELi1EEEviiP15ncclDevWorkColl.has_dyn_sized_stack, or(0, .L__assert_fail.has_dyn_sized_stack)
	.set .L_ZN12_GLOBAL__N_17runRingI12hip_bfloat1610FuncMinMaxIS1_E11ProtoSimpleILi2ELi2ELi0ELi1ELi0ELi0EELi0ELi0ELi1ELi1EEEviiP15ncclDevWorkColl.has_recursion, or(1, .L__assert_fail.has_recursion)
	.set .L_ZN12_GLOBAL__N_17runRingI12hip_bfloat1610FuncMinMaxIS1_E11ProtoSimpleILi2ELi2ELi0ELi1ELi0ELi0EELi0ELi0ELi1ELi1EEEviiP15ncclDevWorkColl.has_indirect_call, or(0, .L__assert_fail.has_indirect_call)
	.section	.AMDGPU.csdata,"",@progbits
; Function info:
; codeLenInByte = 71960
; TotalNumSgprs: 102
; NumVgprs: 64
; ScratchSize: 400
; MemoryBound: 1
	.text
	.p2align	2                               ; -- Begin function _Z51ncclDevFunc_AllReduce_RING_SIMPLE_MinMax_bf16_0_1_1v
	.type	_Z51ncclDevFunc_AllReduce_RING_SIMPLE_MinMax_bf16_0_1_1v,@function
_Z51ncclDevFunc_AllReduce_RING_SIMPLE_MinMax_bf16_0_1_1v: ; @_Z51ncclDevFunc_AllReduce_RING_SIMPLE_MinMax_bf16_0_1_1v
; %bb.0:
	s_waitcnt vmcnt(0) expcnt(0) lgkmcnt(0)
	s_mov_b32 s4, s33
	s_mov_b32 s33, s32
	s_or_saveexec_b64 s[6:7], -1
	buffer_store_dword v43, off, s[0:3], s33 offset:20 ; 4-byte Folded Spill
	buffer_store_dword v44, off, s[0:3], s33 offset:24 ; 4-byte Folded Spill
	s_mov_b64 exec, s[6:7]
	v_writelane_b32 v44, s4, 38
	v_writelane_b32 v44, s100, 36
	;; [unrolled: 1-line block ×3, first 2 shown]
	s_addk_i32 s32, 0x800
	buffer_store_dword v40, off, s[0:3], s33 offset:12 ; 4-byte Folded Spill
	buffer_store_dword v41, off, s[0:3], s33 offset:8 ; 4-byte Folded Spill
	;; [unrolled: 1-line block ×3, first 2 shown]
	buffer_store_dword v62, off, s[0:3], s33 ; 4-byte Folded Spill
	v_writelane_b32 v44, s34, 0
	v_writelane_b32 v44, s35, 1
	;; [unrolled: 1-line block ×36, first 2 shown]
	s_trap 2
	ds_read_b32 v0, v0
	v_mov_b32_e32 v40, v31
                                        ; implicit-def: $vgpr43 : SGPR spill to VGPR lane
	v_and_b32_e32 v41, 0x3ff, v40
	s_mov_b32 s99, s12
	v_writelane_b32 v43, s8, 0
	s_waitcnt lgkmcnt(0)
	v_cmp_lt_i32_e32 vcc, v41, v0
	v_writelane_b32 v43, s9, 1
	s_and_saveexec_b64 s[4:5], vcc
	s_cbranch_execz .LBB5_5
; %bb.1:
	v_readlane_b32 s8, v43, 0
	v_readlane_b32 s9, v43, 1
	s_load_dword s6, s[8:9], 0x0
	v_mov_b32_e32 v1, 0
	s_mov_b32 s10, 0
	v_mov_b32_e32 v4, v41
                                        ; implicit-def: $vgpr3
	s_waitcnt lgkmcnt(0)
	s_cmp_lt_u32 s99, s6
	s_cselect_b32 s6, 12, 18
	s_add_u32 s6, s8, s6
	s_addc_u32 s7, s9, 0
	global_load_ushort v1, v1, s[6:7]
	s_trap 2
	ds_read_b32 v2, v0
	s_mov_b64 s[6:7], 0
	s_waitcnt vmcnt(0) lgkmcnt(0)
	v_mul_lo_u32 v2, v2, v1
	s_branch .LBB5_3
.LBB5_2:                                ;   in Loop: Header=BB5_3 Depth=1
	s_or_b64 exec, exec, s[8:9]
	v_add_u32_e32 v4, v4, v1
	v_cmp_ge_i32_e32 vcc, v4, v0
	s_or_b64 s[6:7], vcc, s[6:7]
	v_add_u32_e32 v3, v3, v2
	s_andn2_b64 exec, exec, s[6:7]
	s_cbranch_execz .LBB5_5
.LBB5_3:                                ; =>This Inner Loop Header: Depth=1
	ds_read_b32 v5, v3
	s_waitcnt lgkmcnt(0)
	v_and_b32_e32 v5, 0x1000000, v5
	v_cmp_ne_u32_e32 vcc, 0, v5
	s_and_saveexec_b64 s[8:9], vcc
	s_cbranch_execz .LBB5_2
; %bb.4:                                ;   in Loop: Header=BB5_3 Depth=1
	ds_read_b64 v[5:6], v3 offset:104
	s_waitcnt lgkmcnt(0)
	flat_load_ushort v5, v[5:6]
	v_mov_b32_e32 v6, s10
	s_waitcnt vmcnt(0) lgkmcnt(0)
	v_and_b32_e32 v5, 0xffff, v5
	ds_write_b64 v3, v[5:6] offset:104
	s_branch .LBB5_2
.LBB5_5:
	s_or_b64 exec, exec, s[4:5]
	s_waitcnt vmcnt(0) lgkmcnt(0)
	s_barrier
	s_trap 2
	ds_read_b32 v0, v0
	s_waitcnt lgkmcnt(0)
	v_cmp_gt_i32_e32 vcc, 1, v0
	s_cbranch_vccnz .LBB5_13
; %bb.6:
	s_mov_b32 s98, 0
	v_mov_b32_e32 v42, 6
	s_branch .LBB5_8
.LBB5_7:                                ;   in Loop: Header=BB5_8 Depth=1
	s_or_b64 exec, exec, s[6:7]
	s_trap 2
	ds_read_b32 v0, v0
	s_add_i32 s98, s98, 1
	s_waitcnt lgkmcnt(0)
	v_cmp_lt_i32_e32 vcc, s98, v0
	s_cbranch_vccz .LBB5_13
.LBB5_8:                                ; =>This Inner Loop Header: Depth=1
	s_trap 2
	ds_read_b32 v0, v0
	s_cmp_eq_u32 s98, 0
	s_cbranch_scc1 .LBB5_11
; %bb.9:                                ;   in Loop: Header=BB5_8 Depth=1
	s_trap 2
	s_waitcnt lgkmcnt(0)
	ds_read_b32 v1, v0
	s_waitcnt lgkmcnt(0)
	v_xor_b32_e32 v1, v1, v0
	v_and_b32_e32 v1, 0xff0000, v1
	v_cmp_eq_u32_e32 vcc, 0, v1
	s_cbranch_vccnz .LBB5_11
; %bb.10:                               ;   in Loop: Header=BB5_8 Depth=1
	s_barrier
	ds_read_b32 v0, v0
.LBB5_11:                               ;   in Loop: Header=BB5_8 Depth=1
	s_waitcnt lgkmcnt(0)
	v_lshlrev_b32_sdwa v1, v42, v0 dst_sel:DWORD dst_unused:UNUSED_PAD src0_sel:DWORD src1_sel:BYTE_2
	v_cmp_lt_u32_e32 vcc, v41, v1
	s_and_saveexec_b64 s[6:7], vcc
	s_cbranch_execz .LBB5_7
; %bb.12:                               ;   in Loop: Header=BB5_8 Depth=1
	v_writelane_b32 v43, s6, 2
	s_mov_b64 s[4:5], src_shared_base
	v_writelane_b32 v43, s7, 3
	s_or_saveexec_b64 s[100:101], -1
	buffer_store_dword v43, off, s[0:3], s33 offset:16 ; 4-byte Folded Spill
	s_mov_b64 exec, s[100:101]
	v_readlane_b32 s8, v43, 0
	s_getpc_b64 s[6:7]
	s_add_u32 s6, s6, _ZN12_GLOBAL__N_17runRingI12hip_bfloat1610FuncMinMaxIS1_E11ProtoSimpleILi2ELi2ELi0ELi1ELi0ELi0EELi0ELi0ELi1ELi1EEEviiP15ncclDevWorkColl@rel32@lo+4
	s_addc_u32 s7, s7, _ZN12_GLOBAL__N_17runRingI12hip_bfloat1610FuncMinMaxIS1_E11ProtoSimpleILi2ELi2ELi0ELi1ELi0ELi0EELi0ELi0ELi1ELi1EEEviiP15ncclDevWorkColl@rel32@hi+12
	v_readlane_b32 s9, v43, 1
	s_mov_b32 s12, s99
	v_mov_b32_e32 v31, v40
	v_mov_b32_e32 v0, v41
	;; [unrolled: 1-line block ×3, first 2 shown]
	s_swappc_b64 s[30:31], s[6:7]
	s_or_saveexec_b64 s[100:101], -1
	buffer_load_dword v43, off, s[0:3], s33 offset:16 ; 4-byte Folded Reload
	s_mov_b64 exec, s[100:101]
	s_waitcnt vmcnt(0)
	v_readlane_b32 s6, v43, 2
	v_readlane_b32 s7, v43, 3
	s_branch .LBB5_7
.LBB5_13:
	buffer_load_dword v62, off, s[0:3], s33 ; 4-byte Folded Reload
	buffer_load_dword v42, off, s[0:3], s33 offset:4 ; 4-byte Folded Reload
	buffer_load_dword v41, off, s[0:3], s33 offset:8 ; 4-byte Folded Reload
	;; [unrolled: 1-line block ×3, first 2 shown]
	v_readlane_b32 s30, v44, 34
	v_readlane_b32 s31, v44, 35
	;; [unrolled: 1-line block ×36, first 2 shown]
	s_mov_b32 s32, s33
	v_readlane_b32 s4, v44, 38
	v_readlane_b32 s100, v44, 36
	;; [unrolled: 1-line block ×3, first 2 shown]
	s_or_saveexec_b64 s[6:7], -1
	buffer_load_dword v43, off, s[0:3], s33 offset:20 ; 4-byte Folded Reload
	buffer_load_dword v44, off, s[0:3], s33 offset:24 ; 4-byte Folded Reload
	s_mov_b64 exec, s[6:7]
	s_mov_b32 s33, s4
	s_waitcnt vmcnt(0)
	s_setpc_b64 s[30:31]
.Lfunc_end5:
	.size	_Z51ncclDevFunc_AllReduce_RING_SIMPLE_MinMax_bf16_0_1_1v, .Lfunc_end5-_Z51ncclDevFunc_AllReduce_RING_SIMPLE_MinMax_bf16_0_1_1v
                                        ; -- End function
	.set .L_Z51ncclDevFunc_AllReduce_RING_SIMPLE_MinMax_bf16_0_1_1v.num_vgpr, max(63, .L_ZN12_GLOBAL__N_17runRingI12hip_bfloat1610FuncMinMaxIS1_E11ProtoSimpleILi2ELi2ELi0ELi1ELi0ELi0EELi0ELi0ELi1ELi1EEEviiP15ncclDevWorkColl.num_vgpr)
	.set .L_Z51ncclDevFunc_AllReduce_RING_SIMPLE_MinMax_bf16_0_1_1v.num_agpr, max(0, .L_ZN12_GLOBAL__N_17runRingI12hip_bfloat1610FuncMinMaxIS1_E11ProtoSimpleILi2ELi2ELi0ELi1ELi0ELi0EELi0ELi0ELi1ELi1EEEviiP15ncclDevWorkColl.num_agpr)
	.set .L_Z51ncclDevFunc_AllReduce_RING_SIMPLE_MinMax_bf16_0_1_1v.numbered_sgpr, max(102, .L_ZN12_GLOBAL__N_17runRingI12hip_bfloat1610FuncMinMaxIS1_E11ProtoSimpleILi2ELi2ELi0ELi1ELi0ELi0EELi0ELi0ELi1ELi1EEEviiP15ncclDevWorkColl.numbered_sgpr)
	.set .L_Z51ncclDevFunc_AllReduce_RING_SIMPLE_MinMax_bf16_0_1_1v.num_named_barrier, max(0, .L_ZN12_GLOBAL__N_17runRingI12hip_bfloat1610FuncMinMaxIS1_E11ProtoSimpleILi2ELi2ELi0ELi1ELi0ELi0EELi0ELi0ELi1ELi1EEEviiP15ncclDevWorkColl.num_named_barrier)
	.set .L_Z51ncclDevFunc_AllReduce_RING_SIMPLE_MinMax_bf16_0_1_1v.private_seg_size, 32+max(.L_ZN12_GLOBAL__N_17runRingI12hip_bfloat1610FuncMinMaxIS1_E11ProtoSimpleILi2ELi2ELi0ELi1ELi0ELi0EELi0ELi0ELi1ELi1EEEviiP15ncclDevWorkColl.private_seg_size)
	.set .L_Z51ncclDevFunc_AllReduce_RING_SIMPLE_MinMax_bf16_0_1_1v.uses_vcc, or(1, .L_ZN12_GLOBAL__N_17runRingI12hip_bfloat1610FuncMinMaxIS1_E11ProtoSimpleILi2ELi2ELi0ELi1ELi0ELi0EELi0ELi0ELi1ELi1EEEviiP15ncclDevWorkColl.uses_vcc)
	.set .L_Z51ncclDevFunc_AllReduce_RING_SIMPLE_MinMax_bf16_0_1_1v.uses_flat_scratch, or(0, .L_ZN12_GLOBAL__N_17runRingI12hip_bfloat1610FuncMinMaxIS1_E11ProtoSimpleILi2ELi2ELi0ELi1ELi0ELi0EELi0ELi0ELi1ELi1EEEviiP15ncclDevWorkColl.uses_flat_scratch)
	.set .L_Z51ncclDevFunc_AllReduce_RING_SIMPLE_MinMax_bf16_0_1_1v.has_dyn_sized_stack, or(0, .L_ZN12_GLOBAL__N_17runRingI12hip_bfloat1610FuncMinMaxIS1_E11ProtoSimpleILi2ELi2ELi0ELi1ELi0ELi0EELi0ELi0ELi1ELi1EEEviiP15ncclDevWorkColl.has_dyn_sized_stack)
	.set .L_Z51ncclDevFunc_AllReduce_RING_SIMPLE_MinMax_bf16_0_1_1v.has_recursion, or(1, .L_ZN12_GLOBAL__N_17runRingI12hip_bfloat1610FuncMinMaxIS1_E11ProtoSimpleILi2ELi2ELi0ELi1ELi0ELi0EELi0ELi0ELi1ELi1EEEviiP15ncclDevWorkColl.has_recursion)
	.set .L_Z51ncclDevFunc_AllReduce_RING_SIMPLE_MinMax_bf16_0_1_1v.has_indirect_call, or(0, .L_ZN12_GLOBAL__N_17runRingI12hip_bfloat1610FuncMinMaxIS1_E11ProtoSimpleILi2ELi2ELi0ELi1ELi0ELi0EELi0ELi0ELi1ELi1EEEviiP15ncclDevWorkColl.has_indirect_call)
	.section	.AMDGPU.csdata,"",@progbits
; Function info:
; codeLenInByte = 1340
; TotalNumSgprs: 106
; NumVgprs: 64
; ScratchSize: 432
; MemoryBound: 0
	.text
	.p2align	2                               ; -- Begin function _ZN12_GLOBAL__N_17runRingI12hip_bfloat1610FuncMinMaxIS1_E11ProtoSimpleILi2ELi2ELi0ELi2ELi0ELi0EELi0ELi0ELi2ELi0EEEviiP15ncclDevWorkColl
	.type	_ZN12_GLOBAL__N_17runRingI12hip_bfloat1610FuncMinMaxIS1_E11ProtoSimpleILi2ELi2ELi0ELi2ELi0ELi0EELi0ELi0ELi2ELi0EEEviiP15ncclDevWorkColl,@function
_ZN12_GLOBAL__N_17runRingI12hip_bfloat1610FuncMinMaxIS1_E11ProtoSimpleILi2ELi2ELi0ELi2ELi0ELi0EELi0ELi0ELi2ELi0EEEviiP15ncclDevWorkColl: ; @_ZN12_GLOBAL__N_17runRingI12hip_bfloat1610FuncMinMaxIS1_E11ProtoSimpleILi2ELi2ELi0ELi2ELi0ELi0EELi0ELi0ELi2ELi0EEEviiP15ncclDevWorkColl
; %bb.0:
	s_waitcnt vmcnt(0) expcnt(0) lgkmcnt(0)
	s_mov_b32 s4, s33
	s_mov_b32 s33, s32
	s_or_saveexec_b64 s[6:7], -1
	buffer_store_dword v63, off, s[0:3], s33 offset:232 ; 4-byte Folded Spill
	s_mov_b64 exec, s[6:7]
	v_writelane_b32 v63, s4, 31
	s_addk_i32 s32, 0x3c00
	buffer_store_dword v40, off, s[0:3], s33 offset:56 ; 4-byte Folded Spill
	buffer_store_dword v41, off, s[0:3], s33 offset:52 ; 4-byte Folded Spill
	;; [unrolled: 1-line block ×14, first 2 shown]
	buffer_store_dword v62, off, s[0:3], s33 ; 4-byte Folded Spill
	v_writelane_b32 v63, s34, 0
	v_writelane_b32 v63, s35, 1
	;; [unrolled: 1-line block ×31, first 2 shown]
	v_mov_b32_e32 v18, v1
	s_trap 2
	flat_load_dword v1, v[2:3]
	ds_read_b32 v6, v0
	v_mov_b32_e32 v44, v0
                                        ; implicit-def: $vgpr7_vgpr8
                                        ; implicit-def: $vgpr4_vgpr5
                                        ; kill: killed $vgpr7_vgpr8
                                        ; implicit-def: $vgpr8_vgpr9
	s_waitcnt lgkmcnt(0)
	v_readfirstlane_b32 s54, v6
	s_waitcnt vmcnt(0)
	v_cmp_ne_u32_sdwa s[4:5], v6, v1 src0_sel:DWORD src1_sel:BYTE_0
	s_and_saveexec_b64 s[6:7], s[4:5]
	s_xor_b64 s[4:5], exec, s[6:7]
	s_cbranch_execz .LBB6_6
; %bb.1:
	v_not_b32_sdwa v0, v1 dst_sel:DWORD dst_unused:UNUSED_PAD src0_sel:BYTE_0
	v_cmp_ne_u32_sdwa s[6:7], v6, v1 src0_sel:DWORD src1_sel:BYTE_1
                                        ; implicit-def: $vgpr7_vgpr8
                                        ; implicit-def: $vgpr4_vgpr5
                                        ; kill: killed $vgpr7_vgpr8
                                        ; implicit-def: $vgpr8_vgpr9
	s_and_saveexec_b64 s[10:11], s[6:7]
	s_xor_b64 s[6:7], exec, s[10:11]
	s_cbranch_execz .LBB6_3
; %bb.2:
	flat_load_dwordx4 v[7:10], v[2:3] offset:72
	flat_load_dwordx2 v[4:5], v[2:3] offset:96
	v_add_u32_e32 v0, v6, v0
	v_ashrrev_i32_e32 v1, 31, v0
	s_waitcnt vmcnt(0) lgkmcnt(0)
	v_mul_lo_u32 v1, v9, v1
	v_mad_u64_u32 v[6:7], s[10:11], v9, v0, v[7:8]
	v_mul_lo_u32 v0, v10, v0
	v_mov_b32_e32 v8, v9
	v_lshrrev_b64 v[4:5], 13, v[4:5]
	v_mov_b32_e32 v9, v10
	v_add3_u32 v7, v0, v7, v1
	buffer_store_dword v6, off, s[0:3], s33 offset:188 ; 4-byte Folded Spill
	s_nop 0
	buffer_store_dword v7, off, s[0:3], s33 offset:192 ; 4-byte Folded Spill
                                        ; implicit-def: $vgpr1
                                        ; implicit-def: $vgpr0
.LBB6_3:
	s_andn2_saveexec_b64 s[6:7], s[6:7]
	s_cbranch_execz .LBB6_5
; %bb.4:
	flat_load_dwordx4 v[4:7], v[2:3] offset:72
	flat_load_dwordx4 v[8:11], v[2:3] offset:88
	v_add_u32_sdwa v0, v1, v0 dst_sel:DWORD dst_unused:UNUSED_PAD src0_sel:BYTE_1 src1_sel:DWORD
	v_ashrrev_i32_e32 v1, 31, v0
	s_waitcnt vmcnt(0) lgkmcnt(0)
	v_mul_lo_u32 v1, v6, v1
	v_mad_u64_u32 v[4:5], s[10:11], v6, v0, v[4:5]
	v_mul_lo_u32 v0, v7, v0
	v_add3_u32 v5, v0, v5, v1
	buffer_store_dword v4, off, s[0:3], s33 offset:188 ; 4-byte Folded Spill
	s_nop 0
	buffer_store_dword v5, off, s[0:3], s33 offset:192 ; 4-byte Folded Spill
	v_lshrrev_b32_e32 v4, 2, v11
.LBB6_5:
	s_or_b64 exec, exec, s[6:7]
.LBB6_6:
	s_andn2_saveexec_b64 s[4:5], s[4:5]
	s_cbranch_execz .LBB6_8
; %bb.7:
	flat_load_dwordx2 v[0:1], v[2:3] offset:96
	flat_load_dwordx2 v[8:9], v[2:3] offset:72
	s_waitcnt vmcnt(0) lgkmcnt(0)
	v_lshlrev_b64 v[4:5], 8, v[0:1]
	v_mov_b32_e32 v0, 0
	v_mov_b32_e32 v1, 0
	buffer_store_dword v0, off, s[0:3], s33 offset:188 ; 4-byte Folded Spill
	s_nop 0
	buffer_store_dword v1, off, s[0:3], s33 offset:192 ; 4-byte Folded Spill
.LBB6_8:
	s_or_b64 exec, exec, s[4:5]
	s_trap 2
	ds_read_b64 v[0:1], v0
	s_waitcnt lgkmcnt(0)
	v_cmp_ne_u32_e32 vcc, -1, v0
	v_cndmask_b32_e64 v0, 0, 1, vcc
	v_cmp_ne_u32_e32 vcc, -1, v1
	v_addc_co_u32_e64 v1, s[4:5], 0, v0, vcc
	v_lshlrev_b32_e32 v5, 1, v1
	v_cmp_le_u32_e64 s[4:5], v5, v18
	s_and_saveexec_b64 s[6:7], s[4:5]
	s_xor_b64 s[46:47], exec, s[6:7]
	s_cbranch_execz .LBB6_1636
; %bb.9:
	buffer_store_dword v8, off, s[0:3], s33 offset:172 ; 4-byte Folded Spill
	s_nop 0
	buffer_store_dword v9, off, s[0:3], s33 offset:176 ; 4-byte Folded Spill
	buffer_store_dword v10, off, s[0:3], s33 offset:180 ; 4-byte Folded Spill
	;; [unrolled: 1-line block ×3, first 2 shown]
	flat_load_dwordx4 v[10:13], v[2:3] offset:16
	s_nop 0
	flat_load_dwordx2 v[14:15], v[2:3] offset:104
	flat_load_ushort v7, v[2:3] offset:8
	flat_load_dword v6, v[2:3] offset:4
	s_trap 2
	s_load_dword s4, s[8:9], 0x0
	v_mov_b32_e32 v5, 0
	v_mov_b32_e32 v62, 4
	s_waitcnt lgkmcnt(0)
	s_cmp_lt_u32 s12, s4
	s_cselect_b32 s4, 12, 18
	s_add_u32 s4, s8, s4
	s_addc_u32 s5, s9, 0
	global_load_ushort v19, v5, s[4:5]
	ds_read_b32 v5, v0
	v_cmp_ge_u32_e64 s[4:5], v44, v0
	s_waitcnt lgkmcnt(0)
	v_readfirstlane_b32 s24, v5
	s_and_saveexec_b64 s[6:7], s[4:5]
	s_cbranch_execz .LBB6_19
; %bb.10:
	v_cmp_ge_u32_e64 s[4:5], v44, v1
                                        ; implicit-def: $vgpr62
	s_and_saveexec_b64 s[10:11], s[4:5]
	s_xor_b64 s[4:5], exec, s[10:11]
	s_cbranch_execz .LBB6_16
; %bb.11:
	v_cndmask_b32_e64 v5, 0, 1, vcc
	v_sub_u32_e32 v5, v18, v5
	v_cmp_ge_u32_e32 vcc, v44, v5
	s_and_saveexec_b64 s[10:11], vcc
	s_xor_b64 s[10:11], exec, s[10:11]
; %bb.12:
                                        ; implicit-def: $vgpr1
; %bb.13:
	s_or_saveexec_b64 s[10:11], s[10:11]
	v_mov_b32_e32 v62, 16
	s_xor_b64 exec, exec, s[10:11]
; %bb.14:
	v_sub_u32_e32 v1, v18, v1
	v_cmp_lt_i32_e32 vcc, v44, v1
	v_cndmask_b32_e64 v62, 32, 0, vcc
; %bb.15:
	s_or_b64 exec, exec, s[10:11]
.LBB6_16:
	s_andn2_saveexec_b64 s[4:5], s[4:5]
; %bb.17:
	v_mov_b32_e32 v62, 8
; %bb.18:
	s_or_b64 exec, exec, s[4:5]
.LBB6_19:
	s_or_b64 exec, exec, s[6:7]
	v_and_b32_e32 v1, 36, v62
	v_cmp_ne_u32_e32 vcc, 0, v1
	v_mov_b32_e32 v16, -1
	s_and_saveexec_b64 s[4:5], vcc
	s_cbranch_execz .LBB6_21
; %bb.20:
	s_trap 2
	ds_read_b32 v16, v0
.LBB6_21:
	s_or_b64 exec, exec, s[4:5]
	v_and_b32_e32 v1, 24, v62
	v_cmp_ne_u32_e64 s[4:5], 0, v1
	s_and_saveexec_b64 s[6:7], s[4:5]
	s_cbranch_execz .LBB6_23
; %bb.22:
	s_trap 2
	s_waitcnt lgkmcnt(0)
	ds_read_b32 v16, v0
.LBB6_23:
	s_or_b64 exec, exec, s[6:7]
	s_waitcnt vmcnt(0)
	v_lshrrev_b64 v[5:6], 31, v[6:7]
	v_mov_b32_e32 v6, 0
	v_mov_b32_e32 v7, 0
	;; [unrolled: 1-line block ×3, first 2 shown]
	buffer_store_dword v6, off, s[0:3], s33 offset:60 ; 4-byte Folded Spill
	s_nop 0
	buffer_store_dword v7, off, s[0:3], s33 offset:64 ; 4-byte Folded Spill
	buffer_store_dword v8, off, s[0:3], s33 offset:68 ; 4-byte Folded Spill
	;; [unrolled: 1-line block ×3, first 2 shown]
	v_mov_b32_e32 v21, 0
	v_and_b32_e32 v1, 3, v5
                                        ; implicit-def: $vgpr5_vgpr6
                                        ; kill: killed $vgpr5_vgpr6
                                        ; implicit-def: $vgpr50
                                        ; implicit-def: $vgpr40_vgpr41
                                        ; implicit-def: $vgpr5_vgpr6
                                        ; implicit-def: $vgpr38_vgpr39
                                        ; implicit-def: $vgpr32_vgpr33
	s_and_saveexec_b64 s[4:5], vcc
	s_cbranch_execz .LBB6_33
; %bb.24:
	s_trap 2
	ds_read_b64 v[5:6], v0
	s_waitcnt lgkmcnt(1)
	v_ashrrev_i32_e32 v17, 31, v16
	v_lshlrev_b64 v[7:8], 3, v[16:17]
	s_movk_i32 s6, 0xa8
	s_waitcnt lgkmcnt(0)
	v_add_co_u32_e32 v5, vcc, v5, v7
	v_addc_co_u32_e32 v6, vcc, v6, v8, vcc
	flat_load_dwordx2 v[5:6], v[5:6]
	v_and_b32_e32 v7, 0xffff, v1
	s_waitcnt vmcnt(0) lgkmcnt(0)
	v_mad_u64_u32 v[8:9], s[6:7], v7, s6, v[5:6]
	flat_load_dword v5, v[8:9] offset:640
	s_waitcnt vmcnt(0) lgkmcnt(0)
	v_cmp_eq_u32_e32 vcc, 1, v5
                                        ; implicit-def: $vgpr5_vgpr6
                                        ; kill: killed $vgpr5_vgpr6
	s_and_saveexec_b64 s[6:7], vcc
	s_cbranch_execz .LBB6_26
; %bb.25:
	flat_load_dwordx2 v[20:21], v[8:9] offset:648
	v_or_b32_e32 v62, 0x2000, v62
	s_waitcnt vmcnt(0) lgkmcnt(0)
	flat_load_dwordx2 v[5:6], v[20:21]
	s_trap 2
	s_waitcnt vmcnt(0) lgkmcnt(0)
	ds_write_b64 v0, v[5:6]
	flat_load_dwordx2 v[5:6], v[20:21] offset:8
	s_waitcnt vmcnt(0) lgkmcnt(0)
	ds_write_b64 v0, v[5:6]
	buffer_store_dword v20, off, s[0:3], s33 offset:224 ; 4-byte Folded Spill
	s_nop 0
	buffer_store_dword v21, off, s[0:3], s33 offset:228 ; 4-byte Folded Spill
	flat_load_dwordx2 v[5:6], v[20:21] offset:16
	s_waitcnt vmcnt(0) lgkmcnt(0)
	ds_write_b64 v0, v[5:6]
.LBB6_26:
	s_or_b64 exec, exec, s[6:7]
	flat_load_dwordx2 v[5:6], v[8:9] offset:608
	v_and_b32_e32 v7, 32, v62
                                        ; implicit-def: $vgpr32_vgpr33
	s_waitcnt vmcnt(0) lgkmcnt(0)
	v_add_co_u32_e32 v5, vcc, 3, v5
	v_addc_co_u32_e32 v41, vcc, 0, v6, vcc
	v_and_b32_e32 v40, -4, v5
	v_cmp_ne_u32_e32 vcc, 0, v7
	s_and_saveexec_b64 s[6:7], vcc
	s_cbranch_execz .LBB6_28
; %bb.27:
	flat_load_dwordx2 v[32:33], v[8:9] offset:560
	s_waitcnt vmcnt(0) lgkmcnt(0)
	flat_store_dwordx2 v[32:33], v[40:41]
.LBB6_28:
	s_or_b64 exec, exec, s[6:7]
	v_add_co_u32_e32 v20, vcc, 0x1f8, v8
	v_mov_b32_e32 v6, 0
	v_addc_co_u32_e32 v21, vcc, 0, v9, vcc
	v_and_b32_e32 v5, 4, v62
	v_mov_b32_e32 v7, 0
	buffer_store_dword v6, off, s[0:3], s33 offset:60 ; 4-byte Folded Spill
	s_nop 0
	buffer_store_dword v7, off, s[0:3], s33 offset:64 ; 4-byte Folded Spill
	buffer_store_dword v8, off, s[0:3], s33 offset:68 ; 4-byte Folded Spill
	;; [unrolled: 1-line block ×3, first 2 shown]
	v_cmp_ne_u32_e32 vcc, 0, v5
                                        ; implicit-def: $vgpr50
                                        ; implicit-def: $vgpr5_vgpr6
                                        ; implicit-def: $vgpr38_vgpr39
	s_and_saveexec_b64 s[6:7], vcc
	s_cbranch_execz .LBB6_32
; %bb.29:
	v_and_b32_e32 v5, 0x800, v62
	v_cmp_eq_u32_e32 vcc, 0, v5
	s_and_saveexec_b64 s[10:11], vcc
	s_cbranch_execz .LBB6_31
; %bb.30:
	s_trap 2
	ds_write_b64 v0, v[20:21]
.LBB6_31:
	s_or_b64 exec, exec, s[10:11]
	flat_load_dwordx2 v[32:33], v[8:9] offset:552
	s_waitcnt vmcnt(0) lgkmcnt(0)
	flat_load_dwordx2 v[38:39], v[32:33] glc
	flat_load_dword v7, v[8:9] offset:576
	flat_load_dwordx2 v[24:25], v[8:9] offset:600
	flat_load_dwordx2 v[5:6], v[8:9] offset:520
	v_or_b32_e32 v8, 0x100, v62
	s_waitcnt vmcnt(0) lgkmcnt(0)
	v_ashrrev_i32_e32 v50, 1, v7
	v_mov_b32_e32 v22, v24
	v_mov_b32_e32 v23, v25
	buffer_store_dword v22, off, s[0:3], s33 offset:60 ; 4-byte Folded Spill
	s_nop 0
	buffer_store_dword v23, off, s[0:3], s33 offset:64 ; 4-byte Folded Spill
	buffer_store_dword v24, off, s[0:3], s33 offset:68 ; 4-byte Folded Spill
	;; [unrolled: 1-line block ×3, first 2 shown]
	v_cmp_eq_u64_e32 vcc, 0, v[24:25]
	v_cndmask_b32_e32 v62, v8, v62, vcc
.LBB6_32:
	s_or_b64 exec, exec, s[6:7]
.LBB6_33:
	s_or_b64 exec, exec, s[4:5]
	v_and_b32_e32 v7, 24, v62
	v_cmp_ne_u32_e32 vcc, 0, v7
                                        ; implicit-def: $vgpr36_vgpr37
	s_and_saveexec_b64 s[4:5], vcc
	s_cbranch_execz .LBB6_41
; %bb.34:
	s_trap 2
	ds_read_b64 v[7:8], v0
	s_waitcnt lgkmcnt(0)
	v_ashrrev_i32_e32 v17, 31, v16
	v_lshlrev_b64 v[16:17], 3, v[16:17]
	v_and_b32_e32 v1, 0xffff, v1
	s_movk_i32 s6, 0xa8
	v_add_co_u32_e32 v7, vcc, v7, v16
	v_addc_co_u32_e32 v8, vcc, v8, v17, vcc
	flat_load_dwordx2 v[7:8], v[7:8]
                                        ; implicit-def: $vgpr36_vgpr37
	s_waitcnt vmcnt(0) lgkmcnt(0)
	v_mad_u64_u32 v[20:21], s[6:7], v1, s6, v[7:8]
	v_or_b32_e32 v1, 0x100, v62
	flat_load_dwordx4 v[22:25], v[20:21] offset:96
	s_waitcnt vmcnt(0) lgkmcnt(0)
	buffer_store_dword v22, off, s[0:3], s33 offset:60 ; 4-byte Folded Spill
	s_nop 0
	buffer_store_dword v23, off, s[0:3], s33 offset:64 ; 4-byte Folded Spill
	buffer_store_dword v24, off, s[0:3], s33 offset:68 ; 4-byte Folded Spill
	;; [unrolled: 1-line block ×3, first 2 shown]
	v_cmp_eq_u64_e32 vcc, 0, v[22:23]
	v_cndmask_b32_e32 v62, v1, v62, vcc
	v_and_b32_e32 v1, 16, v62
	v_cmp_ne_u32_e32 vcc, 0, v1
	s_and_saveexec_b64 s[6:7], vcc
	s_cbranch_execz .LBB6_36
; %bb.35:
	flat_load_dwordx2 v[32:33], v[20:21] offset:48
	flat_load_dwordx2 v[36:37], v[20:21] offset:120
	;; [unrolled: 1-line block ×3, first 2 shown]
.LBB6_36:
	s_or_b64 exec, exec, s[6:7]
	buffer_load_dword v22, off, s[0:3], s33 offset:60 ; 4-byte Folded Reload
	buffer_load_dword v23, off, s[0:3], s33 offset:64 ; 4-byte Folded Reload
	;; [unrolled: 1-line block ×4, first 2 shown]
	s_waitcnt vmcnt(0)
	v_add_co_u32_e32 v1, vcc, 3, v24
	v_addc_co_u32_e32 v41, vcc, 0, v25, vcc
	v_and_b32_e32 v40, -4, v1
	v_and_b32_e32 v1, 8, v62
	v_cmp_ne_u32_e32 vcc, 0, v1
	s_and_saveexec_b64 s[6:7], vcc
	s_cbranch_execz .LBB6_40
; %bb.37:
	v_and_b32_e32 v1, 0x800, v62
	v_cmp_eq_u32_e32 vcc, 0, v1
	s_and_saveexec_b64 s[10:11], vcc
	s_cbranch_execz .LBB6_39
; %bb.38:
	s_trap 2
	ds_write_b64 v0, v[20:21]
.LBB6_39:
	s_or_b64 exec, exec, s[10:11]
	s_waitcnt lgkmcnt(0)
	flat_load_dwordx2 v[32:33], v[20:21] offset:56
	s_waitcnt vmcnt(0) lgkmcnt(0)
	flat_load_dwordx2 v[38:39], v[32:33] glc
	flat_load_dword v1, v[20:21] offset:72
	flat_load_dwordx2 v[5:6], v[20:21] offset:16
	s_waitcnt vmcnt(0) lgkmcnt(0)
	v_ashrrev_i32_e32 v50, 1, v1
.LBB6_40:
	s_or_b64 exec, exec, s[6:7]
.LBB6_41:
	s_or_b64 exec, exec, s[4:5]
	v_cmp_eq_u32_e64 s[4:5], 0, v44
	s_and_saveexec_b64 s[6:7], s[4:5]
	s_cbranch_execz .LBB6_43
; %bb.42:
	flat_load_dwordx2 v[7:8], v[2:3] offset:32
	v_mov_b32_e32 v9, v10
	v_mov_b32_e32 v10, v11
	ds_write2_b64 v0, v[12:13], v[9:10] offset1:1
	s_trap 2
	s_waitcnt vmcnt(0) lgkmcnt(0)
	ds_write_b64 v0, v[7:8]
	ds_write_b64 v0, v[14:15]
.LBB6_43:
	s_or_b64 exec, exec, s[6:7]
	buffer_load_dword v7, off, s[0:3], s33 offset:172 ; 4-byte Folded Reload
	buffer_load_dword v8, off, s[0:3], s33 offset:176 ; 4-byte Folded Reload
	buffer_load_dword v9, off, s[0:3], s33 offset:180 ; 4-byte Folded Reload
	buffer_load_dword v10, off, s[0:3], s33 offset:184 ; 4-byte Folded Reload
	v_mov_b32_e32 v48, 0
	v_mov_b32_e32 v49, 0
	s_waitcnt vmcnt(0)
	v_cmp_lt_i64_e32 vcc, 0, v[7:8]
	s_and_saveexec_b64 s[56:57], vcc
	s_cbranch_execz .LBB6_1602
; %bb.44:
	buffer_store_dword v20, off, s[0:3], s33 offset:216 ; 4-byte Folded Spill
	s_nop 0
	buffer_store_dword v21, off, s[0:3], s33 offset:220 ; 4-byte Folded Spill
	flat_load_dword v3, v[2:3] offset:4
	v_mov_b32_e32 v2, 0
	v_and_b32_e32 v9, 0x1fffff00, v4
	v_mov_b32_e32 v10, v2
	buffer_store_dword v31, off, s[0:3], s33 offset:208 ; 4-byte Folded Spill
	s_trap 2
	buffer_store_dword v19, off, s[0:3], s33 offset:212 ; 4-byte Folded Spill
	buffer_store_dword v18, off, s[0:3], s33 offset:204 ; 4-byte Folded Spill
	;; [unrolled: 1-line block ×3, first 2 shown]
	s_nop 0
	buffer_store_dword v10, off, s[0:3], s33 offset:132 ; 4-byte Folded Spill
	v_cmp_ge_u32_e32 vcc, v44, v18
	v_and_b32_e32 v4, 63, v31
	v_cmp_eq_u32_e64 s[6:7], 64, v18
	v_cmp_ne_u32_e64 s[10:11], 64, v18
	v_cmp_ne_u32_sdwa s[60:61], v18, v19 src0_sel:DWORD src1_sel:WORD_0
	v_lshrrev_b32_e32 v51, 6, v18
	v_and_b32_e32 v56, 63, v44
	v_lshlrev_b32_e32 v1, 1, v18
	v_lshrrev_b32_e32 v8, 6, v44
	s_ashr_i32 s18, s24, 31
	v_cmp_lt_u32_e64 s[20:21], v56, v0
	v_lshlrev_b32_e32 v43, 10, v51
	v_cmp_le_u32_e64 s[22:23], v56, v0
	s_movk_i32 s25, 0x400
	s_lshr_b32 s27, s18, 29
	v_and_b32_e32 v42, 0x7f80, v1
	s_add_i32 s27, s24, s27
	s_movk_i32 s26, 0x80
	buffer_store_dword v8, off, s[0:3], s33 offset:108 ; 4-byte Folded Spill
	s_ashr_i32 s55, s54, 31
	s_ashr_i32 s28, s27, 4
	s_add_u32 s69, s54, -1
	s_addc_u32 s70, s55, -1
	s_add_i32 s71, s54, s54
	s_waitcnt lgkmcnt(0)
	v_cmp_eq_u64_e64 s[12:13], 0, v[36:37]
	v_cmp_ne_u64_e64 s[14:15], 0, v[36:37]
	v_mov_b32_e32 v16, 0
	v_mov_b32_e32 v48, 0
	s_mov_b32 s59, 0
	v_ashrrev_i32_e32 v45, 31, v50
	s_mov_b64 s[62:63], 0
	s_movk_i32 s64, 0xff80
	v_mov_b32_e32 v60, 1
	s_movk_i32 s65, 0x108
	s_mov_b32 s66, 0x7f800000
	s_movk_i32 s67, 0x7fff
	s_mov_b32 s68, 0xffff0000
	v_mov_b32_e32 v61, 0xc8
	v_mov_b32_e32 v17, 0
	v_cmp_eq_u32_e64 s[18:19], 0, v56
	v_lshlrev_b32_e32 v7, 12, v51
	v_lshlrev_b32_e32 v59, 11, v51
	v_mov_b32_e32 v49, 0
	v_mad_i64_i32 v[18:19], s[16:17], v9, s54, 0
	v_cmp_eq_u32_e64 s[16:17], 0, v4
	v_lshlrev_b32_e32 v4, 4, v56
	v_lshl_or_b32 v0, v8, 11, v4
	buffer_store_dword v0, off, s[0:3], s33 offset:136 ; 4-byte Folded Spill
	v_add_u32_e32 v0, 0xfffffc00, v43
	v_lshl_or_b32 v1, v8, 12, v4
	v_ashrrev_i32_e32 v4, 31, v0
	v_add_co_u32_e64 v0, s[24:25], s25, v0
	v_add_u32_e32 v9, 0xffffff80, v42
	buffer_store_dword v0, off, s[0:3], s33 offset:92 ; 4-byte Folded Spill
	buffer_store_dword v4, off, s[0:3], s33 offset:88 ; 4-byte Folded Spill
	v_addc_co_u32_e64 v0, s[24:25], 0, v4, s[24:25]
	v_ashrrev_i32_e32 v8, 31, v9
	buffer_store_dword v0, off, s[0:3], s33 offset:96 ; 4-byte Folded Spill
	v_add_co_u32_e64 v0, s[24:25], s26, v9
	buffer_store_dword v0, off, s[0:3], s33 offset:80 ; 4-byte Folded Spill
	buffer_store_dword v8, off, s[0:3], s33 offset:76 ; 4-byte Folded Spill
	v_addc_co_u32_e64 v0, s[24:25], 0, v8, s[24:25]
	buffer_store_dword v0, off, s[0:3], s33 offset:84 ; 4-byte Folded Spill
	buffer_store_dword v44, off, s[0:3], s33 offset:152 ; 4-byte Folded Spill
	buffer_load_dword v8, off, s[0:3], s33 offset:172 ; 4-byte Folded Reload
	buffer_load_dword v9, off, s[0:3], s33 offset:176 ; 4-byte Folded Reload
	;; [unrolled: 1-line block ×4, first 2 shown]
	s_not_b32 s24, s54
	s_cmp_gt_i32 s54, 0
	s_cselect_b32 s24, s24, -1
	s_ashr_i32 s25, s27, 31
	s_add_i32 s80, s24, s71
	s_lshr_b32 s24, s25, 28
	s_add_i32 s28, s28, s24
	s_ashr_i32 s81, s80, 31
	s_ashr_i32 s82, s28, 4
	s_waitcnt vmcnt(0)
	v_and_b32_e32 v0, 1, v3
	s_cmp_gt_i32 s54, 2
	v_cmp_eq_u32_e64 s[24:25], 1, v0
	s_cselect_b64 s[72:73], -1, 0
	s_add_i32 s26, s54, 1
	s_xor_b64 s[74:75], s[24:25], -1
	s_cmp_ge_i32 s26, s54
	s_cselect_b32 s27, s54, 0
	s_sub_i32 s84, s26, s27
	s_add_i32 s83, s54, -2
	s_xor_b64 s[76:77], vcc, -1
	s_ashr_i32 s78, s55, 31
	s_ashr_i32 s85, s84, 31
	buffer_store_dword v36, off, s[0:3], s33 offset:112 ; 4-byte Folded Spill
	s_nop 0
	buffer_store_dword v37, off, s[0:3], s33 offset:116 ; 4-byte Folded Spill
	buffer_store_dword v56, off, s[0:3], s33 offset:140 ; 4-byte Folded Spill
	;; [unrolled: 1-line block ×3, first 2 shown]
	s_nop 0
	buffer_store_dword v19, off, s[0:3], s33 offset:200 ; 4-byte Folded Spill
	v_mov_b32_e32 v3, v8
	v_mov_b32_e32 v4, v9
	s_branch .LBB6_47
.LBB6_45:                               ;   in Loop: Header=BB6_47 Depth=1
	s_or_b64 exec, exec, s[40:41]
.LBB6_46:                               ;   in Loop: Header=BB6_47 Depth=1
	s_or_b64 exec, exec, s[28:29]
	buffer_load_dword v16, off, s[0:3], s33 offset:164 ; 4-byte Folded Reload
	buffer_load_dword v17, off, s[0:3], s33 offset:168 ; 4-byte Folded Reload
	;; [unrolled: 1-line block ×8, first 2 shown]
	s_waitcnt vmcnt(0)
	v_mov_b32_e32 v3, v8
	v_add_co_u32_e32 v16, vcc, v16, v18
	v_addc_co_u32_e32 v17, vcc, v17, v19, vcc
	v_mov_b32_e32 v4, v9
	v_cmp_ge_i64_e32 vcc, v[16:17], v[3:4]
	s_or_b64 s[62:63], vcc, s[62:63]
	s_andn2_b64 exec, exec, s[62:63]
	s_cbranch_execz .LBB6_1601
.LBB6_47:                               ; =>This Loop Header: Depth=1
                                        ;     Child Loop BB6_57 Depth 2
                                        ;       Child Loop BB6_65 Depth 3
                                        ;       Child Loop BB6_89 Depth 3
	;; [unrolled: 1-line block ×9, first 2 shown]
                                        ;     Child Loop BB6_197 Depth 2
                                        ;       Child Loop BB6_203 Depth 3
                                        ;       Child Loop BB6_227 Depth 3
	;; [unrolled: 1-line block ×3, first 2 shown]
                                        ;     Child Loop BB6_269 Depth 2
                                        ;       Child Loop BB6_272 Depth 3
                                        ;         Child Loop BB6_280 Depth 4
                                        ;         Child Loop BB6_308 Depth 4
	;; [unrolled: 1-line block ×9, first 2 shown]
                                        ;       Child Loop BB6_548 Depth 3
                                        ;         Child Loop BB6_554 Depth 4
                                        ;         Child Loop BB6_582 Depth 4
	;; [unrolled: 1-line block ×3, first 2 shown]
                                        ;     Child Loop BB6_623 Depth 2
                                        ;       Child Loop BB6_631 Depth 3
                                        ;       Child Loop BB6_659 Depth 3
	;; [unrolled: 1-line block ×9, first 2 shown]
                                        ;         Child Loop BB6_809 Depth 4
                                        ;       Child Loop BB6_817 Depth 3
                                        ;       Child Loop BB6_853 Depth 3
                                        ;         Child Loop BB6_858 Depth 4
                                        ;       Child Loop BB6_1026 Depth 3
                                        ;       Child Loop BB6_1045 Depth 3
                                        ;     Child Loop BB6_1064 Depth 2
                                        ;       Child Loop BB6_1070 Depth 3
                                        ;       Child Loop BB6_1098 Depth 3
	;; [unrolled: 1-line block ×3, first 2 shown]
                                        ;     Child Loop BB6_1139 Depth 2
                                        ;       Child Loop BB6_1142 Depth 3
                                        ;         Child Loop BB6_1150 Depth 4
                                        ;         Child Loop BB6_1178 Depth 4
	;; [unrolled: 1-line block ×9, first 2 shown]
                                        ;           Child Loop BB6_1232 Depth 5
                                        ;         Child Loop BB6_1239 Depth 4
                                        ;         Child Loop BB6_1244 Depth 4
                                        ;           Child Loop BB6_1245 Depth 5
                                        ;         Child Loop BB6_1281 Depth 4
                                        ;         Child Loop BB6_1300 Depth 4
                                        ;       Child Loop BB6_1318 Depth 3
                                        ;         Child Loop BB6_1324 Depth 4
                                        ;         Child Loop BB6_1352 Depth 4
	;; [unrolled: 1-line block ×3, first 2 shown]
                                        ;     Child Loop BB6_1397 Depth 2
                                        ;       Child Loop BB6_1405 Depth 3
                                        ;       Child Loop BB6_1429 Depth 3
	;; [unrolled: 1-line block ×9, first 2 shown]
                                        ;     Child Loop BB6_1535 Depth 2
                                        ;       Child Loop BB6_1541 Depth 3
                                        ;       Child Loop BB6_1565 Depth 3
	;; [unrolled: 1-line block ×3, first 2 shown]
	v_sub_co_u32_e32 v3, vcc, v3, v16
	v_subb_co_u32_e32 v4, vcc, v4, v17, vcc
	buffer_store_dword v3, off, s[0:3], s33 offset:120 ; 4-byte Folded Spill
	s_nop 0
	buffer_store_dword v4, off, s[0:3], s33 offset:124 ; 4-byte Folded Spill
	v_cmp_lt_i64_e32 vcc, v[3:4], v[18:19]
	s_and_saveexec_b64 s[28:29], vcc
	s_cbranch_execz .LBB6_53
; %bb.48:                               ;   in Loop: Header=BB6_47 Depth=1
	buffer_load_dword v3, off, s[0:3], s33 offset:120 ; 4-byte Folded Reload
	buffer_load_dword v4, off, s[0:3], s33 offset:124 ; 4-byte Folded Reload
	v_mov_b32_e32 v0, s70
	s_waitcnt vmcnt(0)
	v_add_co_u32_e32 v8, vcc, s69, v3
	s_waitcnt vmcnt(0)
	v_addc_co_u32_e32 v9, vcc, v0, v4, vcc
	v_or_b32_e32 v3, s55, v9
	v_cmp_ne_u64_e32 vcc, 0, v[2:3]
                                        ; implicit-def: $vgpr3_vgpr4
	s_and_saveexec_b64 s[26:27], vcc
	s_xor_b64 s[40:41], exec, s[26:27]
	s_cbranch_execz .LBB6_50
; %bb.49:                               ;   in Loop: Header=BB6_47 Depth=1
	s_add_u32 s26, s54, s78
	s_mov_b32 s79, s78
	s_addc_u32 s27, s55, s78
	s_xor_b64 s[42:43], s[26:27], s[78:79]
	v_cvt_f32_u32_e32 v0, s42
	v_cvt_f32_u32_e32 v3, s43
	s_sub_u32 s44, 0, s42
	s_subb_u32 s45, 0, s43
	v_mac_f32_e32 v0, 0x4f800000, v3
	v_rcp_f32_e32 v0, v0
	v_mul_f32_e32 v0, 0x5f7ffffc, v0
	v_mul_f32_e32 v3, 0x2f800000, v0
	v_trunc_f32_e32 v3, v3
	v_mac_f32_e32 v0, 0xcf800000, v3
	v_cvt_u32_f32_e32 v3, v3
	v_cvt_u32_f32_e32 v0, v0
	v_readfirstlane_b32 s58, v3
	v_readfirstlane_b32 s26, v0
	s_mul_i32 s27, s44, s58
	s_mul_hi_u32 s88, s44, s26
	s_mul_i32 s79, s45, s26
	s_add_i32 s27, s88, s27
	s_add_i32 s27, s27, s79
	s_mul_i32 s89, s44, s26
	s_mul_i32 s88, s26, s27
	s_mul_hi_u32 s90, s26, s89
	s_mul_hi_u32 s79, s26, s27
	s_add_u32 s88, s90, s88
	s_addc_u32 s79, 0, s79
	s_mul_hi_u32 s91, s58, s89
	s_mul_i32 s89, s58, s89
	s_add_u32 s88, s88, s89
	s_mul_hi_u32 s90, s58, s27
	s_addc_u32 s79, s79, s91
	s_addc_u32 s88, s90, 0
	s_mul_i32 s27, s58, s27
	s_add_u32 s27, s79, s27
	s_addc_u32 s79, 0, s88
	s_add_u32 s88, s26, s27
	s_cselect_b64 s[26:27], -1, 0
	s_cmp_lg_u64 s[26:27], 0
	s_addc_u32 s58, s58, s79
	s_mul_i32 s26, s44, s58
	s_mul_hi_u32 s27, s44, s88
	s_add_i32 s26, s27, s26
	s_mul_i32 s45, s45, s88
	s_add_i32 s26, s26, s45
	s_mul_i32 s44, s44, s88
	s_mul_hi_u32 s45, s58, s44
	s_mul_i32 s79, s58, s44
	s_mul_i32 s90, s88, s26
	s_mul_hi_u32 s44, s88, s44
	s_mul_hi_u32 s89, s88, s26
	s_add_u32 s44, s44, s90
	s_addc_u32 s89, 0, s89
	s_add_u32 s44, s44, s79
	s_mul_hi_u32 s27, s58, s26
	s_addc_u32 s44, s89, s45
	s_addc_u32 s27, s27, 0
	s_mul_i32 s26, s58, s26
	s_add_u32 s26, s44, s26
	s_addc_u32 s44, 0, s27
	s_add_u32 s45, s88, s26
	s_cselect_b64 s[26:27], -1, 0
	v_ashrrev_i32_e32 v0, 31, v9
	s_cmp_lg_u64 s[26:27], 0
	v_add_co_u32_e32 v3, vcc, v8, v0
	s_addc_u32 s44, s58, s44
	v_xor_b32_e32 v10, v3, v0
	v_addc_co_u32_e32 v8, vcc, v9, v0, vcc
	v_mad_u64_u32 v[3:4], s[26:27], v10, s44, 0
	v_mul_hi_u32 v9, v10, s45
	v_xor_b32_e32 v11, v8, v0
	v_xor_b32_e32 v0, s78, v0
	v_add_co_u32_e32 v12, vcc, v9, v3
	v_addc_co_u32_e32 v13, vcc, 0, v4, vcc
	v_mad_u64_u32 v[3:4], s[26:27], v11, s45, 0
	v_mad_u64_u32 v[8:9], s[26:27], v11, s44, 0
	v_add_co_u32_e32 v3, vcc, v12, v3
	v_addc_co_u32_e32 v3, vcc, v13, v4, vcc
	v_addc_co_u32_e32 v4, vcc, 0, v9, vcc
	v_add_co_u32_e32 v8, vcc, v3, v8
	v_addc_co_u32_e32 v9, vcc, 0, v4, vcc
	v_mul_lo_u32 v12, s43, v8
	v_mul_lo_u32 v13, s42, v9
	v_mad_u64_u32 v[3:4], s[26:27], s42, v8, 0
	v_add3_u32 v4, v4, v13, v12
	v_sub_u32_e32 v12, v11, v4
	v_mov_b32_e32 v13, s43
	v_sub_co_u32_e32 v3, vcc, v10, v3
	v_subb_co_u32_e64 v10, s[26:27], v12, v13, vcc
	v_subrev_co_u32_e64 v12, s[26:27], s42, v3
	v_subbrev_co_u32_e64 v10, s[26:27], 0, v10, s[26:27]
	v_cmp_le_u32_e64 s[26:27], s43, v10
	v_cndmask_b32_e64 v13, 0, -1, s[26:27]
	v_cmp_le_u32_e64 s[26:27], s42, v12
	v_cndmask_b32_e64 v12, 0, -1, s[26:27]
	v_cmp_eq_u32_e64 s[26:27], s43, v10
	v_cndmask_b32_e64 v10, v13, v12, s[26:27]
	v_add_co_u32_e64 v12, s[26:27], 2, v8
	v_subb_co_u32_e32 v4, vcc, v11, v4, vcc
	v_addc_co_u32_e64 v13, s[26:27], 0, v9, s[26:27]
	v_cmp_le_u32_e32 vcc, s43, v4
	v_add_co_u32_e64 v14, s[26:27], 1, v8
	v_cndmask_b32_e64 v11, 0, -1, vcc
	v_cmp_le_u32_e32 vcc, s42, v3
	v_addc_co_u32_e64 v15, s[26:27], 0, v9, s[26:27]
	v_cndmask_b32_e64 v3, 0, -1, vcc
	v_cmp_eq_u32_e32 vcc, s43, v4
	v_cmp_ne_u32_e64 s[26:27], 0, v10
	v_cndmask_b32_e32 v3, v11, v3, vcc
	v_cndmask_b32_e64 v10, v15, v13, s[26:27]
	v_cmp_ne_u32_e32 vcc, 0, v3
	v_cndmask_b32_e64 v4, v14, v12, s[26:27]
	v_cndmask_b32_e32 v3, v9, v10, vcc
	v_cndmask_b32_e32 v4, v8, v4, vcc
	v_xor_b32_e32 v8, v3, v0
	v_xor_b32_e32 v3, v4, v0
	v_sub_co_u32_e32 v3, vcc, v3, v0
	v_subb_co_u32_e32 v4, vcc, v8, v0, vcc
                                        ; implicit-def: $vgpr8
.LBB6_50:                               ;   in Loop: Header=BB6_47 Depth=1
	s_andn2_saveexec_b64 s[26:27], s[40:41]
	s_cbranch_execz .LBB6_52
; %bb.51:                               ;   in Loop: Header=BB6_47 Depth=1
	v_cvt_f32_u32_e32 v0, s54
	s_sub_i32 s40, 0, s54
	v_rcp_iflag_f32_e32 v0, v0
	v_mul_f32_e32 v0, 0x4f7ffffe, v0
	v_cvt_u32_f32_e32 v0, v0
	v_mul_lo_u32 v3, s40, v0
	v_mul_hi_u32 v3, v0, v3
	v_add_u32_e32 v0, v0, v3
	v_mul_hi_u32 v0, v8, v0
	v_mul_lo_u32 v3, v0, s54
	v_add_u32_e32 v4, 1, v0
	v_sub_u32_e32 v3, v8, v3
	v_subrev_u32_e32 v8, s54, v3
	v_cmp_le_u32_e32 vcc, s54, v3
	v_cndmask_b32_e32 v3, v3, v8, vcc
	v_cndmask_b32_e32 v0, v0, v4, vcc
	v_add_u32_e32 v4, 1, v0
	v_cmp_le_u32_e32 vcc, s54, v3
	v_cndmask_b32_e32 v3, v0, v4, vcc
	v_mov_b32_e32 v4, v2
.LBB6_52:                               ;   in Loop: Header=BB6_47 Depth=1
	s_or_b64 exec, exec, s[26:27]
	v_add_co_u32_e32 v0, vcc, 7, v3
	v_addc_co_u32_e32 v4, vcc, 0, v4, vcc
	v_and_b32_e32 v3, -8, v0
	buffer_store_dword v3, off, s[0:3], s33 offset:128 ; 4-byte Folded Spill
	s_nop 0
	buffer_store_dword v4, off, s[0:3], s33 offset:132 ; 4-byte Folded Spill
.LBB6_53:                               ;   in Loop: Header=BB6_47 Depth=1
	s_or_b64 exec, exec, s[28:29]
	buffer_load_dword v10, off, s[0:3], s33 offset:128 ; 4-byte Folded Reload
	buffer_load_dword v11, off, s[0:3], s33 offset:132 ; 4-byte Folded Reload
	s_waitcnt vmcnt(0)
	v_mul_lo_u32 v8, v10, s81
	s_waitcnt vmcnt(0)
	v_mul_lo_u32 v0, v11, s80
	v_mad_u64_u32 v[3:4], s[26:27], v10, s80, 0
	v_add3_u32 v4, v4, v8, v0
	buffer_load_dword v8, off, s[0:3], s33 offset:188 ; 4-byte Folded Reload
	buffer_load_dword v9, off, s[0:3], s33 offset:192 ; 4-byte Folded Reload
	s_waitcnt vmcnt(0)
	v_add_co_u32_e32 v8, vcc, v16, v8
	buffer_store_dword v16, off, s[0:3], s33 offset:164 ; 4-byte Folded Spill
	s_nop 0
	buffer_store_dword v17, off, s[0:3], s33 offset:168 ; 4-byte Folded Spill
	s_waitcnt vmcnt(2)
	v_addc_co_u32_e32 v9, vcc, v17, v9, vcc
	buffer_store_dword v8, off, s[0:3], s33 offset:100 ; 4-byte Folded Spill
	s_nop 0
	buffer_store_dword v9, off, s[0:3], s33 offset:104 ; 4-byte Folded Spill
	buffer_load_dword v8, off, s[0:3], s33 offset:120 ; 4-byte Folded Reload
	s_nop 0
	buffer_load_dword v9, off, s[0:3], s33 offset:124 ; 4-byte Folded Reload
	s_waitcnt vmcnt(0)
	v_sub_co_u32_e32 v8, vcc, v8, v3
	s_waitcnt vmcnt(0)
	v_subb_co_u32_e32 v9, vcc, v9, v4, vcc
	v_cmp_lt_i64_e32 vcc, v[10:11], v[8:9]
	v_mov_b32_e32 v9, 0
	v_cndmask_b32_e32 v0, v8, v10, vcc
	v_max_i32_e32 v20, 0, v0
	v_add_u32_e32 v8, 31, v20
	v_lshrrev_b32_e32 v8, 1, v8
	v_and_b32_e32 v8, 0x3ffffff0, v8
	v_cmp_lt_i32_e32 vcc, 0, v0
	v_max_i32_e32 v8, s82, v8
	s_and_b64 s[26:27], s[76:77], vcc
	v_mov_b32_e32 v10, 0
	s_and_saveexec_b64 s[28:29], s[26:27]
	s_cbranch_execz .LBB6_193
; %bb.54:                               ;   in Loop: Header=BB6_47 Depth=1
	v_lshlrev_b64 v[12:13], 1, v[3:4]
	s_mov_b32 s58, 1
	s_mov_b64 s[42:43], -1
	v_mov_b32_e32 v10, 0
	s_mov_b64 s[40:41], 0
	s_branch .LBB6_57
.LBB6_55:                               ;   in Loop: Header=BB6_57 Depth=2
	s_or_b64 exec, exec, s[44:45]
	v_add_co_u32_e32 v40, vcc, 2, v40
	v_addc_co_u32_e32 v41, vcc, 0, v41, vcc
	flat_store_dwordx2 v[32:33], v[40:41]
.LBB6_56:                               ;   in Loop: Header=BB6_57 Depth=2
	s_or_b64 exec, exec, s[26:27]
	v_add_u32_e32 v10, v8, v10
	v_cmp_ge_i32_e32 vcc, v10, v20
	s_xor_b64 s[26:27], s[42:43], -1
	s_or_b64 s[26:27], s[26:27], vcc
	s_and_b64 s[26:27], exec, s[26:27]
	s_or_b64 s[40:41], s[26:27], s[40:41]
	s_mov_b64 s[42:43], 0
	v_mov_b32_e32 v9, s58
	s_mov_b32 s58, 2
	s_andn2_b64 exec, exec, s[40:41]
	s_cbranch_execz .LBB6_192
.LBB6_57:                               ;   Parent Loop BB6_47 Depth=1
                                        ; =>  This Loop Header: Depth=2
                                        ;       Child Loop BB6_65 Depth 3
                                        ;       Child Loop BB6_89 Depth 3
	;; [unrolled: 1-line block ×9, first 2 shown]
	s_and_saveexec_b64 s[26:27], s[4:5]
	s_cbranch_execz .LBB6_59
; %bb.58:                               ;   in Loop: Header=BB6_57 Depth=2
	s_trap 2
	ds_read_b64 v[3:4], v0
	buffer_load_dword v14, off, s[0:3], s33 offset:100 ; 4-byte Folded Reload
	buffer_load_dword v15, off, s[0:3], s33 offset:104 ; 4-byte Folded Reload
	v_ashrrev_i32_e32 v11, 31, v10
	s_waitcnt vmcnt(0)
	v_lshlrev_b64 v[14:15], 1, v[14:15]
	s_waitcnt lgkmcnt(0)
	v_add_co_u32_e32 v0, vcc, v3, v14
	v_addc_co_u32_e32 v3, vcc, v4, v15, vcc
	v_add_co_u32_e32 v0, vcc, v0, v12
	v_addc_co_u32_e32 v9, vcc, v3, v13, vcc
	v_lshlrev_b64 v[3:4], 1, v[10:11]
	v_add_co_u32_e32 v3, vcc, v0, v3
	v_addc_co_u32_e32 v4, vcc, v9, v4, vcc
	ds_write_b64 v0, v[3:4]
	v_mov_b32_e32 v3, v2
	ds_write_b64 v0, v[2:3]
.LBB6_59:                               ;   in Loop: Header=BB6_57 Depth=2
	s_or_b64 exec, exec, s[26:27]
	v_sub_u32_e32 v0, v20, v10
	v_min_i32_e32 v8, v8, v0
	v_and_b32_e32 v0, 8, v62
	v_cmp_ne_u32_e32 vcc, 0, v0
	s_and_saveexec_b64 s[44:45], vcc
	s_cbranch_execz .LBB6_81
; %bb.60:                               ;   in Loop: Header=BB6_57 Depth=2
	s_waitcnt vmcnt(0) lgkmcnt(0)
	v_add_co_u32_e32 v14, vcc, 8, v38
	v_addc_co_u32_e32 v15, vcc, 0, v39, vcc
	v_add_co_u32_e32 v3, vcc, 2, v40
	v_addc_co_u32_e32 v4, vcc, 0, v41, vcc
	v_cmp_lt_u64_e32 vcc, v[14:15], v[3:4]
	s_and_saveexec_b64 s[88:89], vcc
	s_cbranch_execz .LBB6_72
; %bb.61:                               ;   in Loop: Header=BB6_57 Depth=2
	v_and_b32_e32 v0, 64, v62
	s_mov_b32 s79, 0
	v_cmp_eq_u32_e32 vcc, 0, v0
	s_mov_b64 s[90:91], 0
                                        ; implicit-def: $sgpr92_sgpr93
                                        ; implicit-def: $sgpr94_sgpr95
                                        ; implicit-def: $sgpr30_sgpr31
	s_branch .LBB6_65
.LBB6_62:                               ;   in Loop: Header=BB6_65 Depth=3
	s_waitcnt vmcnt(0) lgkmcnt(0)
	v_add_co_u32_e64 v14, s[26:27], 8, v38
	v_addc_co_u32_e64 v15, s[26:27], 0, v39, s[26:27]
	v_cmp_ge_u64_e64 s[26:27], v[14:15], v[3:4]
	s_or_b64 s[38:39], s[38:39], exec
	s_orn2_b64 s[36:37], s[26:27], exec
.LBB6_63:                               ;   in Loop: Header=BB6_65 Depth=3
	s_or_b64 exec, exec, s[50:51]
	s_andn2_b64 s[26:27], s[30:31], exec
	s_and_b64 s[30:31], s[38:39], exec
	s_or_b64 s[30:31], s[26:27], s[30:31]
	s_andn2_b64 s[26:27], s[94:95], exec
	s_and_b64 s[94:95], s[36:37], exec
	s_or_b64 s[94:95], s[26:27], s[94:95]
.LBB6_64:                               ;   in Loop: Header=BB6_65 Depth=3
	s_or_b64 exec, exec, s[34:35]
	s_and_b64 s[26:27], exec, s[94:95]
	s_or_b64 s[90:91], s[26:27], s[90:91]
	s_andn2_b64 s[26:27], s[92:93], exec
	s_and_b64 s[92:93], s[30:31], exec
	s_or_b64 s[92:93], s[26:27], s[92:93]
	s_andn2_b64 exec, exec, s[90:91]
	s_cbranch_execz .LBB6_69
.LBB6_65:                               ;   Parent Loop BB6_47 Depth=1
                                        ;     Parent Loop BB6_57 Depth=2
                                        ; =>    This Inner Loop Header: Depth=3
	s_sleep 1
	s_waitcnt vmcnt(0) lgkmcnt(0)
	flat_load_dwordx2 v[38:39], v[32:33] glc
	s_or_b64 s[30:31], s[30:31], exec
	s_or_b64 s[94:95], s[94:95], exec
                                        ; implicit-def: $vgpr9
	s_and_saveexec_b64 s[34:35], vcc
	s_cbranch_execz .LBB6_64
; %bb.66:                               ;   in Loop: Header=BB6_65 Depth=3
	s_cmpk_lt_i32 s79, 0x270f
	s_cselect_b64 s[48:49], -1, 0
	s_cmpk_gt_i32 s79, 0x270e
	s_mov_b64 s[36:37], -1
	s_cbranch_scc0 .LBB6_68
; %bb.67:                               ;   in Loop: Header=BB6_65 Depth=3
	s_trap 2
	ds_read_b64 v[14:15], v0
	s_andn2_b64 s[48:49], s[48:49], exec
	s_mov_b32 s79, 0
	s_mov_b64 s[38:39], 0
	s_waitcnt vmcnt(0) lgkmcnt(0)
	flat_load_dword v9, v[14:15] glc
	s_waitcnt vmcnt(0) lgkmcnt(0)
	buffer_wbinvl1_vol
	v_cmp_eq_u32_e64 s[26:27], 0, v9
	s_and_b64 s[26:27], s[26:27], exec
	s_or_b64 s[48:49], s[48:49], s[26:27]
	s_and_saveexec_b64 s[50:51], s[48:49]
	s_cbranch_execz .LBB6_63
	s_branch .LBB6_62
.LBB6_68:                               ;   in Loop: Header=BB6_65 Depth=3
	s_add_i32 s79, s79, 1
	s_mov_b64 s[38:39], -1
                                        ; implicit-def: $vgpr9
	s_and_saveexec_b64 s[50:51], s[48:49]
	s_cbranch_execz .LBB6_63
	s_branch .LBB6_62
.LBB6_69:                               ;   in Loop: Header=BB6_57 Depth=2
	s_or_b64 exec, exec, s[90:91]
	s_xor_b64 s[26:27], s[92:93], -1
	s_and_saveexec_b64 s[90:91], s[26:27]
	s_xor_b64 s[26:27], exec, s[90:91]
	s_cbranch_execz .LBB6_71
; %bb.70:                               ;   in Loop: Header=BB6_57 Depth=2
	v_or_b32_e32 v62, 64, v62
	s_waitcnt lgkmcnt(0)
	ds_write_b32 v0, v9
	s_trap 2
.LBB6_71:                               ;   in Loop: Header=BB6_57 Depth=2
	s_or_b64 exec, exec, s[26:27]
.LBB6_72:                               ;   in Loop: Header=BB6_57 Depth=2
	s_or_b64 exec, exec, s[88:89]
	v_and_b32_e32 v0, 0x100, v62
	v_cmp_ne_u32_e32 vcc, 0, v0
	v_and_b32_e32 v11, 7, v40
	s_mov_b64 s[26:27], -1
	;;#ASMSTART
	s_wakeup
	;;#ASMEND
                                        ; implicit-def: $vgpr14_vgpr15
	s_and_saveexec_b64 s[88:89], vcc
	s_cbranch_execz .LBB6_76
; %bb.73:                               ;   in Loop: Header=BB6_57 Depth=2
	buffer_load_dword v14, off, s[0:3], s33 offset:60 ; 4-byte Folded Reload
	buffer_load_dword v15, off, s[0:3], s33 offset:64 ; 4-byte Folded Reload
	;; [unrolled: 1-line block ×4, first 2 shown]
	v_ashrrev_i32_e32 v9, 31, v8
	s_waitcnt vmcnt(0)
	v_mad_u64_u32 v[16:17], s[26:27], v11, 24, v[14:15]
	v_lshlrev_b64 v[14:15], 1, v[8:9]
	flat_load_dword v0, v[16:17]
	s_nop 0
	flat_store_dwordx2 v[16:17], v[14:15] offset:8
                                        ; implicit-def: $vgpr14_vgpr15
	s_waitcnt vmcnt(0) lgkmcnt(0)
	v_cmp_ne_u32_e32 vcc, 1, v0
	v_cmp_eq_u32_e64 s[26:27], 1, v0
	s_and_saveexec_b64 s[90:91], s[26:27]
	s_cbranch_execz .LBB6_75
; %bb.74:                               ;   in Loop: Header=BB6_57 Depth=2
	flat_load_dword v14, v[16:17] offset:4 glc
	s_waitcnt vmcnt(0) lgkmcnt(0)
	v_ashrrev_i32_e32 v15, 31, v14
	v_lshrrev_b64 v[14:15], 1, v[14:15]
.LBB6_75:                               ;   in Loop: Header=BB6_57 Depth=2
	s_or_b64 exec, exec, s[90:91]
	s_orn2_b64 s[26:27], vcc, exec
.LBB6_76:                               ;   in Loop: Header=BB6_57 Depth=2
	s_or_b64 exec, exec, s[88:89]
	s_and_saveexec_b64 s[88:89], s[26:27]
; %bb.77:                               ;   in Loop: Header=BB6_57 Depth=2
	v_mad_i64_i32 v[14:15], s[26:27], v11, v50, 0
; %bb.78:                               ;   in Loop: Header=BB6_57 Depth=2
	s_or_b64 exec, exec, s[88:89]
	v_lshlrev_b64 v[14:15], 1, v[14:15]
	v_add_co_u32_e32 v14, vcc, v5, v14
	v_addc_co_u32_e32 v15, vcc, v6, v15, vcc
	ds_write_b64 v0, v[14:15] offset:784
	v_and_b32_e32 v0, 0x2000, v62
	v_cmp_ne_u32_e32 vcc, 0, v0
	s_and_saveexec_b64 s[26:27], vcc
	s_cbranch_execz .LBB6_80
; %bb.79:                               ;   in Loop: Header=BB6_57 Depth=2
	ds_read_b64 v[14:15], v0 offset:872
	s_waitcnt lgkmcnt(0)
	v_add_co_u32_e32 v14, vcc, 1, v14
	v_addc_co_u32_e32 v15, vcc, 0, v15, vcc
	ds_write_b64 v0, v[14:15] offset:872
.LBB6_80:                               ;   in Loop: Header=BB6_57 Depth=2
	s_or_b64 exec, exec, s[26:27]
	v_mov_b32_e32 v41, v4
	v_mov_b32_e32 v40, v3
.LBB6_81:                               ;   in Loop: Header=BB6_57 Depth=2
	s_or_b64 exec, exec, s[44:45]
	s_and_saveexec_b64 s[26:27], s[10:11]
	s_cbranch_execz .LBB6_100
; %bb.82:                               ;   in Loop: Header=BB6_57 Depth=2
	s_and_saveexec_b64 s[44:45], s[60:61]
	s_xor_b64 s[44:45], exec, s[44:45]
	s_cbranch_execz .LBB6_97
; %bb.83:                               ;   in Loop: Header=BB6_57 Depth=2
	s_and_saveexec_b64 s[88:89], s[16:17]
	s_cbranch_execz .LBB6_96
; %bb.84:                               ;   in Loop: Header=BB6_57 Depth=2
	s_mov_b64 s[92:93], exec
	v_mbcnt_lo_u32_b32 v0, s92, 0
	v_mbcnt_hi_u32_b32 v0, s93, v0
	v_cmp_eq_u32_e32 vcc, 0, v0
	s_waitcnt vmcnt(0) lgkmcnt(0)
	buffer_wbinvl1_vol
	s_and_saveexec_b64 s[90:91], vcc
	s_cbranch_execz .LBB6_86
; %bb.85:                               ;   in Loop: Header=BB6_57 Depth=2
	s_bcnt1_i32_b64 s79, s[92:93]
	v_mov_b32_e32 v3, s79
	v_mov_b32_e32 v4, v2
	ds_add_u64 v0, v[3:4]
	s_trap 2
.LBB6_86:                               ;   in Loop: Header=BB6_57 Depth=2
	s_or_b64 exec, exec, s[90:91]
	s_trap 2
	ds_read_b64 v[3:4], v0
	s_waitcnt lgkmcnt(0)
	v_add_co_u32_e32 v48, vcc, v48, v51
	v_addc_co_u32_e32 v49, vcc, 0, v49, vcc
	v_cmp_lt_u64_e32 vcc, v[3:4], v[48:49]
	s_and_saveexec_b64 s[90:91], vcc
	s_cbranch_execz .LBB6_95
; %bb.87:                               ;   in Loop: Header=BB6_57 Depth=2
	s_mov_b32 s79, 0
	s_mov_b64 s[92:93], 0
                                        ; implicit-def: $sgpr94_sgpr95
                                        ; implicit-def: $sgpr30_sgpr31
	s_branch .LBB6_89
.LBB6_88:                               ;   in Loop: Header=BB6_89 Depth=3
	s_or_b64 exec, exec, s[36:37]
	s_and_b64 vcc, exec, vcc
	s_or_b64 s[92:93], vcc, s[92:93]
	s_andn2_b64 s[94:95], s[94:95], exec
	s_and_b64 vcc, s[30:31], exec
	s_or_b64 s[94:95], s[94:95], vcc
	s_andn2_b64 exec, exec, s[92:93]
	s_cbranch_execz .LBB6_93
.LBB6_89:                               ;   Parent Loop BB6_47 Depth=1
                                        ;     Parent Loop BB6_57 Depth=2
                                        ; =>    This Inner Loop Header: Depth=3
	s_add_i32 s79, s79, 1
	s_cmpk_lg_i32 s79, 0x2710
	s_cselect_b64 s[34:35], -1, 0
	s_and_b64 vcc, exec, s[34:35]
	s_cbranch_vccz .LBB6_91
; %bb.90:                               ;   in Loop: Header=BB6_89 Depth=3
	s_mov_b64 vcc, -1
	s_or_b64 s[30:31], s[30:31], exec
	s_and_saveexec_b64 s[36:37], s[34:35]
	s_cbranch_execz .LBB6_88
	s_branch .LBB6_92
.LBB6_91:                               ;   in Loop: Header=BB6_89 Depth=3
	s_trap 2
	ds_read_b64 v[3:4], v0
	s_andn2_b64 s[34:35], s[34:35], exec
	s_mov_b32 s79, 0
	s_waitcnt lgkmcnt(0)
	flat_load_dword v0, v[3:4] glc
	s_waitcnt vmcnt(0) lgkmcnt(0)
	buffer_wbinvl1_vol
	v_cmp_eq_u32_e32 vcc, 0, v0
	s_and_b64 vcc, vcc, exec
	s_or_b64 s[34:35], s[34:35], vcc
	s_mov_b64 vcc, -1
	s_or_b64 s[30:31], s[30:31], exec
	s_and_saveexec_b64 s[36:37], s[34:35]
	s_cbranch_execz .LBB6_88
.LBB6_92:                               ;   in Loop: Header=BB6_89 Depth=3
	s_sleep 1
	s_trap 2
	ds_read_b64 v[3:4], v0
	s_waitcnt lgkmcnt(0)
	s_andn2_b64 s[30:31], s[30:31], exec
	v_cmp_ge_u64_e32 vcc, v[3:4], v[48:49]
	s_orn2_b64 vcc, vcc, exec
	s_branch .LBB6_88
.LBB6_93:                               ;   in Loop: Header=BB6_57 Depth=2
	s_or_b64 exec, exec, s[92:93]
	s_and_saveexec_b64 s[92:93], s[94:95]
	s_xor_b64 s[92:93], exec, s[92:93]
	s_cbranch_execz .LBB6_95
; %bb.94:                               ;   in Loop: Header=BB6_57 Depth=2
	ds_write_b32 v0, v60
	s_trap 2
.LBB6_95:                               ;   in Loop: Header=BB6_57 Depth=2
	s_or_b64 exec, exec, s[90:91]
	;;#ASMSTART
	s_wakeup
	;;#ASMEND
.LBB6_96:                               ;   in Loop: Header=BB6_57 Depth=2
	s_or_b64 exec, exec, s[88:89]
.LBB6_97:                               ;   in Loop: Header=BB6_57 Depth=2
	s_andn2_saveexec_b64 s[44:45], s[44:45]
	s_cbranch_execz .LBB6_99
; %bb.98:                               ;   in Loop: Header=BB6_57 Depth=2
	s_waitcnt vmcnt(0) lgkmcnt(0)
	buffer_wbinvl1_vol
	s_barrier
.LBB6_99:                               ;   in Loop: Header=BB6_57 Depth=2
	s_or_b64 exec, exec, s[44:45]
.LBB6_100:                              ;   in Loop: Header=BB6_57 Depth=2
	s_or_b64 exec, exec, s[26:27]
	s_trap 2
	ds_read_b32 v9, v0
	v_and_b32_e32 v0, 0x4000, v62
	v_cmp_ne_u32_e32 vcc, 0, v0
	s_xor_b64 s[26:27], s[6:7], -1
	s_and_b64 s[44:45], s[26:27], vcc
	s_and_saveexec_b64 s[26:27], s[44:45]
	s_cbranch_execz .LBB6_119
; %bb.101:                              ;   in Loop: Header=BB6_57 Depth=2
	s_and_saveexec_b64 s[44:45], s[60:61]
	s_xor_b64 s[44:45], exec, s[44:45]
	s_cbranch_execz .LBB6_116
; %bb.102:                              ;   in Loop: Header=BB6_57 Depth=2
	s_and_saveexec_b64 s[88:89], s[16:17]
	s_cbranch_execz .LBB6_115
; %bb.103:                              ;   in Loop: Header=BB6_57 Depth=2
	s_mov_b64 s[92:93], exec
	v_mbcnt_lo_u32_b32 v0, s92, 0
	v_mbcnt_hi_u32_b32 v0, s93, v0
	v_cmp_eq_u32_e32 vcc, 0, v0
	s_waitcnt vmcnt(0) lgkmcnt(0)
	buffer_wbinvl1_vol
	s_and_saveexec_b64 s[90:91], vcc
	s_cbranch_execz .LBB6_105
; %bb.104:                              ;   in Loop: Header=BB6_57 Depth=2
	s_bcnt1_i32_b64 s79, s[92:93]
	v_mov_b32_e32 v3, s79
	v_mov_b32_e32 v4, v2
	ds_add_u64 v0, v[3:4]
	s_trap 2
.LBB6_105:                              ;   in Loop: Header=BB6_57 Depth=2
	s_or_b64 exec, exec, s[90:91]
	s_trap 2
	ds_read_b64 v[3:4], v0
	s_waitcnt lgkmcnt(0)
	v_add_co_u32_e32 v48, vcc, v48, v51
	v_addc_co_u32_e32 v49, vcc, 0, v49, vcc
	v_cmp_lt_u64_e32 vcc, v[3:4], v[48:49]
	s_and_saveexec_b64 s[90:91], vcc
	s_cbranch_execz .LBB6_114
; %bb.106:                              ;   in Loop: Header=BB6_57 Depth=2
	s_mov_b32 s79, 0
	s_mov_b64 s[92:93], 0
                                        ; implicit-def: $sgpr94_sgpr95
                                        ; implicit-def: $sgpr30_sgpr31
	s_branch .LBB6_108
.LBB6_107:                              ;   in Loop: Header=BB6_108 Depth=3
	s_or_b64 exec, exec, s[36:37]
	s_and_b64 vcc, exec, vcc
	s_or_b64 s[92:93], vcc, s[92:93]
	s_andn2_b64 s[94:95], s[94:95], exec
	s_and_b64 vcc, s[30:31], exec
	s_or_b64 s[94:95], s[94:95], vcc
	s_andn2_b64 exec, exec, s[92:93]
	s_cbranch_execz .LBB6_112
.LBB6_108:                              ;   Parent Loop BB6_47 Depth=1
                                        ;     Parent Loop BB6_57 Depth=2
                                        ; =>    This Inner Loop Header: Depth=3
	s_add_i32 s79, s79, 1
	s_cmpk_lg_i32 s79, 0x2710
	s_cselect_b64 s[34:35], -1, 0
	s_and_b64 vcc, exec, s[34:35]
	s_cbranch_vccz .LBB6_110
; %bb.109:                              ;   in Loop: Header=BB6_108 Depth=3
	s_mov_b64 vcc, -1
	s_or_b64 s[30:31], s[30:31], exec
	s_and_saveexec_b64 s[36:37], s[34:35]
	s_cbranch_execz .LBB6_107
	s_branch .LBB6_111
.LBB6_110:                              ;   in Loop: Header=BB6_108 Depth=3
	s_trap 2
	ds_read_b64 v[3:4], v0
	s_andn2_b64 s[34:35], s[34:35], exec
	s_mov_b32 s79, 0
	s_waitcnt lgkmcnt(0)
	flat_load_dword v0, v[3:4] glc
	s_waitcnt vmcnt(0) lgkmcnt(0)
	buffer_wbinvl1_vol
	v_cmp_eq_u32_e32 vcc, 0, v0
	s_and_b64 vcc, vcc, exec
	s_or_b64 s[34:35], s[34:35], vcc
	s_mov_b64 vcc, -1
	s_or_b64 s[30:31], s[30:31], exec
	s_and_saveexec_b64 s[36:37], s[34:35]
	s_cbranch_execz .LBB6_107
.LBB6_111:                              ;   in Loop: Header=BB6_108 Depth=3
	s_sleep 1
	s_trap 2
	ds_read_b64 v[3:4], v0
	s_waitcnt lgkmcnt(0)
	s_andn2_b64 s[30:31], s[30:31], exec
	v_cmp_ge_u64_e32 vcc, v[3:4], v[48:49]
	s_orn2_b64 vcc, vcc, exec
	s_branch .LBB6_107
.LBB6_112:                              ;   in Loop: Header=BB6_57 Depth=2
	s_or_b64 exec, exec, s[92:93]
	s_and_saveexec_b64 s[92:93], s[94:95]
	s_xor_b64 s[92:93], exec, s[92:93]
	s_cbranch_execz .LBB6_114
; %bb.113:                              ;   in Loop: Header=BB6_57 Depth=2
	ds_write_b32 v0, v60
	s_trap 2
.LBB6_114:                              ;   in Loop: Header=BB6_57 Depth=2
	s_or_b64 exec, exec, s[90:91]
	;;#ASMSTART
	s_wakeup
	;;#ASMEND
.LBB6_115:                              ;   in Loop: Header=BB6_57 Depth=2
	s_or_b64 exec, exec, s[88:89]
.LBB6_116:                              ;   in Loop: Header=BB6_57 Depth=2
	s_andn2_saveexec_b64 s[44:45], s[44:45]
	s_cbranch_execz .LBB6_118
; %bb.117:                              ;   in Loop: Header=BB6_57 Depth=2
	s_waitcnt vmcnt(0) lgkmcnt(0)
	buffer_wbinvl1_vol
	s_barrier
.LBB6_118:                              ;   in Loop: Header=BB6_57 Depth=2
	s_or_b64 exec, exec, s[44:45]
.LBB6_119:                              ;   in Loop: Header=BB6_57 Depth=2
	s_or_b64 exec, exec, s[26:27]
	s_trap 2
	ds_read_b64 v[3:4], v0
	s_waitcnt lgkmcnt(0)
	v_cmp_eq_u64_e32 vcc, 0, v[3:4]
	s_cbranch_vccnz .LBB6_127
; %bb.120:                              ;   in Loop: Header=BB6_57 Depth=2
	s_trap 2
	ds_read_b64 v[14:15], v0
	s_waitcnt lgkmcnt(0)
	v_cmp_eq_u64_e32 vcc, 0, v[14:15]
	s_cbranch_vccnz .LBB6_127
; %bb.121:                              ;   in Loop: Header=BB6_57 Depth=2
	s_mov_b64 s[26:27], -1
	s_and_saveexec_b64 s[44:45], s[18:19]
	s_cbranch_execz .LBB6_123
; %bb.122:                              ;   in Loop: Header=BB6_57 Depth=2
	ds_read_b32 v0, v0 offset:720
	s_waitcnt lgkmcnt(0)
	v_and_b32_e32 v0, 15, v0
	v_cmp_eq_u32_e32 vcc, 0, v0
	s_orn2_b64 s[26:27], vcc, exec
.LBB6_123:                              ;   in Loop: Header=BB6_57 Depth=2
	s_or_b64 exec, exec, s[44:45]
	s_and_saveexec_b64 s[44:45], s[20:21]
	s_cbranch_execz .LBB6_125
; %bb.124:                              ;   in Loop: Header=BB6_57 Depth=2
	ds_read_b32 v0, v0 offset:784
	s_waitcnt lgkmcnt(0)
	v_and_b32_e32 v0, 15, v0
	v_cmp_eq_u32_e32 vcc, 0, v0
	s_and_b64 s[88:89], s[26:27], vcc
	s_andn2_b64 s[26:27], s[26:27], exec
	s_and_b64 s[88:89], s[88:89], exec
	s_or_b64 s[26:27], s[26:27], s[88:89]
.LBB6_125:                              ;   in Loop: Header=BB6_57 Depth=2
	s_or_b64 exec, exec, s[44:45]
	v_cmp_eq_u32_e32 vcc, 0, v9
	s_xor_b64 s[26:27], s[26:27], -1
	v_cndmask_b32_e32 v9, 0, v8, vcc
	v_cndmask_b32_e64 v0, 0, 1, s[26:27]
	v_lshlrev_b32_e32 v11, 1, v9
	s_mov_b64 s[88:89], -1
	v_cmp_ne_u32_e32 vcc, 0, v0
	v_mov_b32_e32 v21, 0
	s_cbranch_vccz .LBB6_133
; %bb.126:                              ;   in Loop: Header=BB6_57 Depth=2
	s_waitcnt vmcnt(0)
	v_mov_b32_e32 v22, v44
	s_and_saveexec_b64 s[26:27], s[88:89]
	s_cbranch_execnz .LBB6_144
	s_branch .LBB6_152
.LBB6_127:                              ;   in Loop: Header=BB6_57 Depth=2
	s_mov_b64 s[26:27], 0
	s_and_saveexec_b64 s[44:45], s[10:11]
	s_cbranch_execnz .LBB6_153
.LBB6_128:                              ;   in Loop: Header=BB6_57 Depth=2
	s_or_b64 exec, exec, s[44:45]
                                        ; implicit-def: $vgpr3
	s_and_saveexec_b64 s[44:45], s[24:25]
	s_xor_b64 s[44:45], exec, s[44:45]
	s_cbranch_execz .LBB6_171
.LBB6_129:                              ;   in Loop: Header=BB6_57 Depth=2
	v_and_b32_e32 v0, 16, v62
	v_cmp_ne_u32_e32 vcc, 0, v0
	v_and_b32_e32 v3, 16, v62
	s_and_b64 s[88:89], vcc, s[26:27]
	s_and_saveexec_b64 s[26:27], s[88:89]
	s_cbranch_execz .LBB6_131
; %bb.130:                              ;   in Loop: Header=BB6_57 Depth=2
	v_mov_b32_e32 v3, 1
	s_waitcnt vmcnt(0) lgkmcnt(0)
	buffer_wbinvl1_vol
.LBB6_131:                              ;   in Loop: Header=BB6_57 Depth=2
	s_or_b64 exec, exec, s[26:27]
	s_andn2_saveexec_b64 s[26:27], s[44:45]
	s_cbranch_execnz .LBB6_172
.LBB6_132:                              ;   in Loop: Header=BB6_57 Depth=2
	s_or_b64 exec, exec, s[26:27]
	v_cmp_ne_u32_e32 vcc, 0, v3
	s_and_saveexec_b64 s[26:27], vcc
	s_cbranch_execz .LBB6_56
	s_branch .LBB6_190
.LBB6_133:                              ;   in Loop: Header=BB6_57 Depth=2
	v_ashrrev_i32_e32 v0, 31, v11
	v_lshrrev_b32_e32 v0, 20, v0
	v_add_u32_e32 v0, v11, v0
	v_ashrrev_i32_e32 v21, 12, v0
	buffer_load_dword v0, off, s[0:3], s33 offset:108 ; 4-byte Folded Reload
	s_waitcnt vmcnt(0)
	v_sub_u32_e32 v23, v21, v0
	v_cmp_lt_i32_e32 vcc, 0, v23
	s_and_saveexec_b64 s[26:27], vcc
	s_cbranch_execz .LBB6_137
; %bb.134:                              ;   in Loop: Header=BB6_57 Depth=2
	v_mov_b32_e32 v17, v15
	v_mov_b32_e32 v19, v4
	s_mov_b64 s[44:45], 0
	v_mov_b32_e32 v16, v14
	v_mov_b32_e32 v18, v3
.LBB6_135:                              ;   Parent Loop BB6_47 Depth=1
                                        ;     Parent Loop BB6_57 Depth=2
                                        ; =>    This Inner Loop Header: Depth=3
	v_add_co_u32_e32 v34, vcc, v1, v18
	v_addc_co_u32_e32 v35, vcc, 0, v19, vcc
	global_load_dwordx4 v[24:27], v[34:35], off glc slc
	global_load_dwordx4 v[28:31], v[34:35], off offset:1024 glc slc
	global_load_dwordx4 v[52:55], v[34:35], off offset:2048 glc slc
	;; [unrolled: 1-line block ×3, first 2 shown]
	v_add_co_u32_e32 v34, vcc, v1, v16
	v_addc_co_u32_e32 v35, vcc, 0, v17, vcc
	v_add_co_u32_e32 v18, vcc, v18, v7
	v_addc_co_u32_e32 v19, vcc, 0, v19, vcc
	v_add_co_u32_e32 v16, vcc, v16, v7
	v_sub_u32_e32 v23, v23, v51
	v_addc_co_u32_e32 v17, vcc, 0, v17, vcc
	v_cmp_gt_i32_e32 vcc, 1, v23
	s_or_b64 s[44:45], vcc, s[44:45]
	s_waitcnt vmcnt(3)
	global_store_dwordx4 v[34:35], v[24:27], off glc slc
	s_waitcnt vmcnt(3)
	global_store_dwordx4 v[34:35], v[28:31], off offset:1024 glc slc
	s_waitcnt vmcnt(3)
	global_store_dwordx4 v[34:35], v[52:55], off offset:2048 glc slc
	;; [unrolled: 2-line block ×3, first 2 shown]
	s_andn2_b64 exec, exec, s[44:45]
	s_cbranch_execnz .LBB6_135
; %bb.136:                              ;   in Loop: Header=BB6_57 Depth=2
	s_or_b64 exec, exec, s[44:45]
	buffer_load_dword v44, off, s[0:3], s33 offset:152 ; 4-byte Folded Reload
	v_ashrrev_i32_e32 v45, 31, v50
.LBB6_137:                              ;   in Loop: Header=BB6_57 Depth=2
	s_or_b64 exec, exec, s[26:27]
	v_lshlrev_b32_e32 v16, 12, v21
	v_cmp_ne_u32_e32 vcc, v11, v16
	s_mov_b64 s[88:89], 0
	v_mov_b32_e32 v21, 0
                                        ; implicit-def: $vgpr22
	s_and_saveexec_b64 s[44:45], vcc
	s_cbranch_execz .LBB6_143
; %bb.138:                              ;   in Loop: Header=BB6_57 Depth=2
	v_lshlrev_b32_e32 v0, 6, v23
	v_sub_u32_e32 v0, v56, v0
	v_ashrrev_i32_e32 v17, 31, v0
	v_lshrrev_b32_e32 v17, 26, v17
	v_sub_u32_e32 v19, v11, v16
	v_add_u32_e32 v17, v0, v17
	v_ashrrev_i32_e32 v22, 6, v17
	v_and_b32_e32 v17, 0xffffffc0, v17
	v_ashrrev_i32_e32 v18, 31, v19
	v_sub_u32_e32 v17, v0, v17
	v_lshrrev_b32_e32 v18, 22, v18
	v_lshlrev_b32_e32 v0, 4, v17
	v_add_u32_e32 v18, v19, v18
	v_lshl_add_u32 v0, v22, 10, v0
	v_ashrrev_i32_e32 v23, 10, v18
	v_and_b32_e32 v18, 0xfffffc00, v18
	v_sub_u32_e32 v21, v19, v0
	v_sub_u32_e32 v19, v19, v18
	v_cmp_lt_i32_e32 vcc, 15, v19
	v_addc_co_u32_e64 v23, s[26:27], 0, v23, vcc
	v_sub_u32_e32 v22, v23, v22
	v_cmp_lt_i32_e64 s[26:27], 15, v21
	s_and_saveexec_b64 s[88:89], s[26:27]
	s_cbranch_execz .LBB6_142
; %bb.139:                              ;   in Loop: Header=BB6_57 Depth=2
	v_add_u32_e32 v23, v0, v16
	v_ashrrev_i32_e32 v24, 31, v23
	s_mov_b64 s[90:91], 0
.LBB6_140:                              ;   Parent Loop BB6_47 Depth=1
                                        ;     Parent Loop BB6_57 Depth=2
                                        ; =>    This Inner Loop Header: Depth=3
	v_add_co_u32_e64 v25, s[26:27], v3, v23
	v_addc_co_u32_e64 v26, s[26:27], v4, v24, s[26:27]
	global_load_dwordx4 v[25:28], v[25:26], off glc slc
	v_add_co_u32_e64 v29, s[26:27], v14, v23
	v_addc_co_u32_e64 v30, s[26:27], v15, v24, s[26:27]
	v_add_co_u32_e64 v23, s[26:27], v23, v43
	v_sub_u32_e32 v21, v21, v43
	v_addc_co_u32_e64 v24, s[26:27], 0, v24, s[26:27]
	v_cmp_gt_i32_e64 s[26:27], 16, v21
	v_sub_u32_e32 v22, v22, v51
	s_or_b64 s[90:91], s[26:27], s[90:91]
	s_waitcnt vmcnt(0)
	global_store_dwordx4 v[29:30], v[25:28], off glc slc
	s_andn2_b64 exec, exec, s[90:91]
	s_cbranch_execnz .LBB6_140
; %bb.141:                              ;   in Loop: Header=BB6_57 Depth=2
	s_or_b64 exec, exec, s[90:91]
.LBB6_142:                              ;   in Loop: Header=BB6_57 Depth=2
	s_or_b64 exec, exec, s[88:89]
	v_and_b32_e32 v0, 14, v11
	v_sub_u32_e32 v11, v19, v0
	v_cndmask_b32_e32 v11, 0, v11, vcc
	v_add3_u32 v21, v18, v16, v11
	v_cndmask_b32_e32 v11, v19, v0, vcc
	v_cmp_lt_i32_e32 vcc, 0, v22
	v_cndmask_b32_e32 v0, 0, v51, vcc
	v_sub_u32_e32 v0, v0, v22
	v_cmp_ne_u32_e32 vcc, 0, v11
	v_lshl_add_u32 v22, v0, 6, v17
	s_and_b64 s[88:89], vcc, exec
.LBB6_143:                              ;   in Loop: Header=BB6_57 Depth=2
	s_or_b64 exec, exec, s[44:45]
	s_and_saveexec_b64 s[26:27], s[88:89]
	s_cbranch_execz .LBB6_152
.LBB6_144:                              ;   in Loop: Header=BB6_57 Depth=2
	v_ashrrev_i32_e32 v0, 31, v22
	v_ashrrev_i32_e32 v16, 31, v11
	v_lshrrev_b32_e32 v0, 26, v0
	v_lshrrev_b32_e32 v16, 22, v16
	v_add_u32_e32 v0, v22, v0
	v_add_u32_e32 v16, v11, v16
	v_ashrrev_i32_e32 v23, 6, v0
	v_ashrrev_i32_e32 v25, 10, v16
	v_sub_u32_e32 v24, v25, v23
	v_cmp_lt_i32_e32 vcc, 0, v24
	s_and_saveexec_b64 s[44:45], vcc
	s_cbranch_execz .LBB6_148
; %bb.145:                              ;   in Loop: Header=BB6_57 Depth=2
	v_and_b32_e32 v0, 0x7fffffc0, v0
	v_sub_u32_e32 v0, v22, v0
	v_lshlrev_b32_e32 v0, 1, v0
	v_lshlrev_b32_e32 v16, 10, v23
	v_add3_u32 v26, v0, v21, v16
	v_mov_b32_e32 v17, v15
	v_mov_b32_e32 v19, v4
	v_ashrrev_i32_e32 v27, 31, v26
	s_mov_b64 s[88:89], 0
	v_mov_b32_e32 v16, v14
	v_mov_b32_e32 v18, v3
.LBB6_146:                              ;   Parent Loop BB6_47 Depth=1
                                        ;     Parent Loop BB6_57 Depth=2
                                        ; =>    This Inner Loop Header: Depth=3
	v_add_co_u32_e32 v28, vcc, v26, v18
	v_addc_co_u32_e32 v29, vcc, v27, v19, vcc
	flat_load_ushort v0, v[28:29] glc slc
	flat_load_ushort v30, v[28:29] offset:128 glc slc
	flat_load_ushort v31, v[28:29] offset:256 glc slc
	;; [unrolled: 1-line block ×7, first 2 shown]
	v_add_co_u32_e32 v28, vcc, v26, v16
	v_addc_co_u32_e32 v29, vcc, v27, v17, vcc
	v_add_co_u32_e32 v18, vcc, v18, v43
	v_addc_co_u32_e32 v19, vcc, 0, v19, vcc
	v_add_co_u32_e32 v16, vcc, v16, v43
	v_sub_u32_e32 v24, v24, v51
	v_addc_co_u32_e32 v17, vcc, 0, v17, vcc
	v_cmp_gt_i32_e32 vcc, 1, v24
	s_or_b64 s[88:89], vcc, s[88:89]
	s_waitcnt vmcnt(0) lgkmcnt(0)
	flat_store_short v[28:29], v0 glc slc
	flat_store_short v[28:29], v30 offset:128 glc slc
	flat_store_short v[28:29], v31 offset:256 glc slc
	;; [unrolled: 1-line block ×7, first 2 shown]
	s_andn2_b64 exec, exec, s[88:89]
	s_cbranch_execnz .LBB6_146
; %bb.147:                              ;   in Loop: Header=BB6_57 Depth=2
	s_or_b64 exec, exec, s[88:89]
	buffer_load_dword v36, off, s[0:3], s33 offset:112 ; 4-byte Folded Reload
	buffer_load_dword v37, off, s[0:3], s33 offset:116 ; 4-byte Folded Reload
.LBB6_148:                              ;   in Loop: Header=BB6_57 Depth=2
	s_or_b64 exec, exec, s[44:45]
	v_lshlrev_b32_e32 v0, 10, v25
	v_cmp_ne_u32_e32 vcc, v11, v0
	s_and_b64 exec, exec, vcc
	s_cbranch_execz .LBB6_152
; %bb.149:                              ;   in Loop: Header=BB6_57 Depth=2
	v_lshlrev_b32_e32 v16, 6, v23
	v_sub_u32_e32 v16, v22, v16
	v_lshlrev_b32_e32 v17, 6, v24
	v_sub_u32_e32 v16, v16, v17
	v_ashrrev_i32_e32 v17, 31, v16
	v_lshrrev_b32_e32 v17, 26, v17
	v_add_u32_e32 v17, v16, v17
	v_and_b32_e32 v18, 0x7fffffc0, v17
	v_sub_u32_e32 v16, v16, v18
	v_lshlrev_b32_e32 v17, 1, v17
	v_and_b32_e32 v17, 0xffffff80, v17
	v_lshlrev_b32_e32 v16, 1, v16
	v_add3_u32 v0, v17, v16, v0
	v_sub_u32_e32 v11, v11, v0
	v_cmp_lt_i32_e32 vcc, 1, v11
	s_and_b64 exec, exec, vcc
	s_cbranch_execz .LBB6_152
; %bb.150:                              ;   in Loop: Header=BB6_57 Depth=2
	v_add_u32_e32 v16, v0, v21
	v_ashrrev_i32_e32 v17, 31, v16
	s_mov_b64 s[44:45], 0
.LBB6_151:                              ;   Parent Loop BB6_47 Depth=1
                                        ;     Parent Loop BB6_57 Depth=2
                                        ; =>    This Inner Loop Header: Depth=3
	v_add_co_u32_e32 v18, vcc, v3, v16
	v_addc_co_u32_e32 v19, vcc, v4, v17, vcc
	flat_load_ushort v0, v[18:19] glc slc
	v_add_co_u32_e32 v18, vcc, v14, v16
	v_addc_co_u32_e32 v19, vcc, v15, v17, vcc
	v_add_co_u32_e32 v16, vcc, v16, v42
	v_sub_u32_e32 v11, v11, v42
	v_addc_co_u32_e32 v17, vcc, 0, v17, vcc
	v_cmp_gt_i32_e32 vcc, 2, v11
	s_or_b64 s[44:45], vcc, s[44:45]
	s_waitcnt vmcnt(0) lgkmcnt(0)
	flat_store_short v[18:19], v0 glc slc
	s_andn2_b64 exec, exec, s[44:45]
	s_cbranch_execnz .LBB6_151
.LBB6_152:                              ;   in Loop: Header=BB6_57 Depth=2
	s_or_b64 exec, exec, s[26:27]
	v_cmp_lt_i32_e64 s[26:27], 0, v9
	s_and_saveexec_b64 s[44:45], s[10:11]
	s_cbranch_execz .LBB6_128
.LBB6_153:                              ;   in Loop: Header=BB6_57 Depth=2
	s_and_saveexec_b64 s[88:89], s[60:61]
	s_xor_b64 s[88:89], exec, s[88:89]
	s_cbranch_execz .LBB6_168
; %bb.154:                              ;   in Loop: Header=BB6_57 Depth=2
	s_and_saveexec_b64 s[90:91], s[16:17]
	s_cbranch_execz .LBB6_167
; %bb.155:                              ;   in Loop: Header=BB6_57 Depth=2
	s_mov_b64 s[94:95], exec
	v_mbcnt_lo_u32_b32 v0, s94, 0
	v_mbcnt_hi_u32_b32 v0, s95, v0
	v_cmp_eq_u32_e32 vcc, 0, v0
	s_waitcnt vmcnt(0) lgkmcnt(0)
	buffer_wbinvl1_vol
	s_and_saveexec_b64 s[92:93], vcc
	s_cbranch_execz .LBB6_157
; %bb.156:                              ;   in Loop: Header=BB6_57 Depth=2
	s_bcnt1_i32_b64 s79, s[94:95]
	v_mov_b32_e32 v3, s79
	v_mov_b32_e32 v4, v2
	ds_add_u64 v0, v[3:4]
	s_trap 2
.LBB6_157:                              ;   in Loop: Header=BB6_57 Depth=2
	s_or_b64 exec, exec, s[92:93]
	s_trap 2
	ds_read_b64 v[3:4], v0
	s_waitcnt lgkmcnt(0)
	v_add_co_u32_e32 v48, vcc, v48, v51
	v_addc_co_u32_e32 v49, vcc, 0, v49, vcc
	v_cmp_lt_u64_e32 vcc, v[3:4], v[48:49]
	s_and_saveexec_b64 s[92:93], vcc
	s_cbranch_execz .LBB6_166
; %bb.158:                              ;   in Loop: Header=BB6_57 Depth=2
	s_mov_b32 s79, 0
	s_mov_b64 s[94:95], 0
                                        ; implicit-def: $sgpr30_sgpr31
                                        ; implicit-def: $sgpr34_sgpr35
	s_branch .LBB6_160
.LBB6_159:                              ;   in Loop: Header=BB6_160 Depth=3
	s_or_b64 exec, exec, s[38:39]
	s_and_b64 vcc, exec, vcc
	s_or_b64 s[94:95], vcc, s[94:95]
	s_andn2_b64 vcc, s[30:31], exec
	s_and_b64 s[30:31], s[34:35], exec
	s_or_b64 s[30:31], vcc, s[30:31]
	s_andn2_b64 exec, exec, s[94:95]
	s_cbranch_execz .LBB6_164
.LBB6_160:                              ;   Parent Loop BB6_47 Depth=1
                                        ;     Parent Loop BB6_57 Depth=2
                                        ; =>    This Inner Loop Header: Depth=3
	s_add_i32 s79, s79, 1
	s_cmpk_lg_i32 s79, 0x2710
	s_cselect_b64 s[36:37], -1, 0
	s_and_b64 vcc, exec, s[36:37]
	s_cbranch_vccz .LBB6_162
; %bb.161:                              ;   in Loop: Header=BB6_160 Depth=3
	s_mov_b64 vcc, -1
	s_or_b64 s[34:35], s[34:35], exec
	s_and_saveexec_b64 s[38:39], s[36:37]
	s_cbranch_execz .LBB6_159
	s_branch .LBB6_163
.LBB6_162:                              ;   in Loop: Header=BB6_160 Depth=3
	s_trap 2
	ds_read_b64 v[3:4], v0
	s_andn2_b64 s[36:37], s[36:37], exec
	s_mov_b32 s79, 0
	s_waitcnt lgkmcnt(0)
	flat_load_dword v0, v[3:4] glc
	s_waitcnt vmcnt(0) lgkmcnt(0)
	buffer_wbinvl1_vol
	v_cmp_eq_u32_e32 vcc, 0, v0
	s_and_b64 vcc, vcc, exec
	s_or_b64 s[36:37], s[36:37], vcc
	s_mov_b64 vcc, -1
	s_or_b64 s[34:35], s[34:35], exec
	s_and_saveexec_b64 s[38:39], s[36:37]
	s_cbranch_execz .LBB6_159
.LBB6_163:                              ;   in Loop: Header=BB6_160 Depth=3
	s_sleep 1
	s_trap 2
	ds_read_b64 v[3:4], v0
	s_waitcnt lgkmcnt(0)
	s_andn2_b64 s[34:35], s[34:35], exec
	v_cmp_ge_u64_e32 vcc, v[3:4], v[48:49]
	s_orn2_b64 vcc, vcc, exec
	s_branch .LBB6_159
.LBB6_164:                              ;   in Loop: Header=BB6_57 Depth=2
	s_or_b64 exec, exec, s[94:95]
	s_and_saveexec_b64 s[94:95], s[30:31]
	s_xor_b64 s[94:95], exec, s[94:95]
	s_cbranch_execz .LBB6_166
; %bb.165:                              ;   in Loop: Header=BB6_57 Depth=2
	ds_write_b32 v0, v60
	s_trap 2
.LBB6_166:                              ;   in Loop: Header=BB6_57 Depth=2
	s_or_b64 exec, exec, s[92:93]
	;;#ASMSTART
	s_wakeup
	;;#ASMEND
.LBB6_167:                              ;   in Loop: Header=BB6_57 Depth=2
	s_or_b64 exec, exec, s[90:91]
.LBB6_168:                              ;   in Loop: Header=BB6_57 Depth=2
	s_andn2_saveexec_b64 s[88:89], s[88:89]
	s_cbranch_execz .LBB6_170
; %bb.169:                              ;   in Loop: Header=BB6_57 Depth=2
	s_waitcnt vmcnt(0) lgkmcnt(0)
	buffer_wbinvl1_vol
	s_barrier
.LBB6_170:                              ;   in Loop: Header=BB6_57 Depth=2
	s_or_b64 exec, exec, s[88:89]
	s_or_b64 exec, exec, s[44:45]
                                        ; implicit-def: $vgpr3
	s_and_saveexec_b64 s[44:45], s[24:25]
	s_xor_b64 s[44:45], exec, s[44:45]
	s_cbranch_execnz .LBB6_129
.LBB6_171:                              ;   in Loop: Header=BB6_57 Depth=2
	s_andn2_saveexec_b64 s[26:27], s[44:45]
	s_cbranch_execz .LBB6_132
.LBB6_172:                              ;   in Loop: Header=BB6_57 Depth=2
	s_and_saveexec_b64 s[44:45], s[60:61]
	s_xor_b64 s[44:45], exec, s[44:45]
	s_cbranch_execz .LBB6_187
; %bb.173:                              ;   in Loop: Header=BB6_57 Depth=2
	s_and_saveexec_b64 s[88:89], s[16:17]
	s_cbranch_execz .LBB6_186
; %bb.174:                              ;   in Loop: Header=BB6_57 Depth=2
	s_mov_b64 s[92:93], exec
	v_mbcnt_lo_u32_b32 v0, s92, 0
	v_mbcnt_hi_u32_b32 v0, s93, v0
	v_cmp_eq_u32_e32 vcc, 0, v0
	;;#ASMSTART
	s_waitcnt lgkmcnt(0) vmcnt(0)
	;;#ASMEND
	s_and_saveexec_b64 s[90:91], vcc
	s_cbranch_execz .LBB6_176
; %bb.175:                              ;   in Loop: Header=BB6_57 Depth=2
	s_bcnt1_i32_b64 s79, s[92:93]
	v_mov_b32_e32 v3, s79
	v_mov_b32_e32 v4, v2
	s_waitcnt lgkmcnt(0)
	ds_add_u64 v0, v[3:4]
	s_trap 2
.LBB6_176:                              ;   in Loop: Header=BB6_57 Depth=2
	s_or_b64 exec, exec, s[90:91]
	s_trap 2
	ds_read_b64 v[3:4], v0
	s_waitcnt lgkmcnt(0)
	v_add_co_u32_e32 v48, vcc, v48, v51
	v_addc_co_u32_e32 v49, vcc, 0, v49, vcc
	v_cmp_lt_u64_e32 vcc, v[3:4], v[48:49]
	s_and_saveexec_b64 s[90:91], vcc
	s_cbranch_execz .LBB6_185
; %bb.177:                              ;   in Loop: Header=BB6_57 Depth=2
	s_mov_b32 s79, 0
	s_mov_b64 s[92:93], 0
                                        ; implicit-def: $sgpr94_sgpr95
                                        ; implicit-def: $sgpr30_sgpr31
	s_branch .LBB6_179
.LBB6_178:                              ;   in Loop: Header=BB6_179 Depth=3
	s_or_b64 exec, exec, s[36:37]
	s_and_b64 vcc, exec, vcc
	s_or_b64 s[92:93], vcc, s[92:93]
	s_andn2_b64 s[94:95], s[94:95], exec
	s_and_b64 vcc, s[30:31], exec
	s_or_b64 s[94:95], s[94:95], vcc
	s_andn2_b64 exec, exec, s[92:93]
	s_cbranch_execz .LBB6_183
.LBB6_179:                              ;   Parent Loop BB6_47 Depth=1
                                        ;     Parent Loop BB6_57 Depth=2
                                        ; =>    This Inner Loop Header: Depth=3
	s_add_i32 s79, s79, 1
	s_cmpk_lg_i32 s79, 0x2710
	s_cselect_b64 s[34:35], -1, 0
	s_and_b64 vcc, exec, s[34:35]
	s_cbranch_vccz .LBB6_181
; %bb.180:                              ;   in Loop: Header=BB6_179 Depth=3
	s_mov_b64 vcc, -1
	s_or_b64 s[30:31], s[30:31], exec
	s_and_saveexec_b64 s[36:37], s[34:35]
	s_cbranch_execz .LBB6_178
	s_branch .LBB6_182
.LBB6_181:                              ;   in Loop: Header=BB6_179 Depth=3
	s_trap 2
	ds_read_b64 v[3:4], v0
	s_andn2_b64 s[34:35], s[34:35], exec
	s_mov_b32 s79, 0
	s_waitcnt vmcnt(0) lgkmcnt(0)
	flat_load_dword v0, v[3:4] glc
	s_waitcnt vmcnt(0) lgkmcnt(0)
	buffer_wbinvl1_vol
	v_cmp_eq_u32_e32 vcc, 0, v0
	s_and_b64 vcc, vcc, exec
	s_or_b64 s[34:35], s[34:35], vcc
	s_mov_b64 vcc, -1
	s_or_b64 s[30:31], s[30:31], exec
	s_and_saveexec_b64 s[36:37], s[34:35]
	s_cbranch_execz .LBB6_178
.LBB6_182:                              ;   in Loop: Header=BB6_179 Depth=3
	s_sleep 1
	s_trap 2
	ds_read_b64 v[3:4], v0
	s_waitcnt lgkmcnt(0)
	s_andn2_b64 s[30:31], s[30:31], exec
	v_cmp_ge_u64_e32 vcc, v[3:4], v[48:49]
	s_orn2_b64 vcc, vcc, exec
	s_branch .LBB6_178
.LBB6_183:                              ;   in Loop: Header=BB6_57 Depth=2
	s_or_b64 exec, exec, s[92:93]
	s_and_saveexec_b64 s[92:93], s[94:95]
	s_xor_b64 s[92:93], exec, s[92:93]
	s_cbranch_execz .LBB6_185
; %bb.184:                              ;   in Loop: Header=BB6_57 Depth=2
	ds_write_b32 v0, v60
	s_trap 2
.LBB6_185:                              ;   in Loop: Header=BB6_57 Depth=2
	s_or_b64 exec, exec, s[90:91]
	;;#ASMSTART
	s_wakeup
	;;#ASMEND
.LBB6_186:                              ;   in Loop: Header=BB6_57 Depth=2
	s_or_b64 exec, exec, s[88:89]
.LBB6_187:                              ;   in Loop: Header=BB6_57 Depth=2
	s_andn2_saveexec_b64 s[44:45], s[44:45]
	s_cbranch_execz .LBB6_189
; %bb.188:                              ;   in Loop: Header=BB6_57 Depth=2
	;;#ASMSTART
	s_waitcnt lgkmcnt(0) vmcnt(0)
	;;#ASMEND
	s_waitcnt vmcnt(0) lgkmcnt(0)
	s_barrier
.LBB6_189:                              ;   in Loop: Header=BB6_57 Depth=2
	s_or_b64 exec, exec, s[44:45]
	v_and_b32_e32 v3, 16, v62
	s_or_b64 exec, exec, s[26:27]
	v_cmp_ne_u32_e32 vcc, 0, v3
	s_and_saveexec_b64 s[26:27], vcc
	s_cbranch_execz .LBB6_56
.LBB6_190:                              ;   in Loop: Header=BB6_57 Depth=2
	s_and_saveexec_b64 s[44:45], s[14:15]
	s_cbranch_execz .LBB6_55
; %bb.191:                              ;   in Loop: Header=BB6_57 Depth=2
	s_waitcnt vmcnt(0)
	flat_store_dword v[36:37], v60
	s_branch .LBB6_55
.LBB6_192:                              ;   in Loop: Header=BB6_47 Depth=1
	s_or_b64 exec, exec, s[40:41]
.LBB6_193:                              ;   in Loop: Header=BB6_47 Depth=1
	s_or_b64 exec, exec, s[28:29]
	v_cmp_gt_i32_e32 vcc, 2, v9
	s_and_saveexec_b64 s[28:29], vcc
	s_cbranch_execz .LBB6_265
; %bb.194:                              ;   in Loop: Header=BB6_47 Depth=1
	v_cmp_eq_u32_e64 s[42:43], 0, v9
	s_mov_b64 s[40:41], 0
	s_branch .LBB6_197
.LBB6_195:                              ;   in Loop: Header=BB6_197 Depth=2
	s_or_b64 exec, exec, s[42:43]
	v_add_co_u32_e32 v40, vcc, 2, v40
	v_addc_co_u32_e32 v41, vcc, 0, v41, vcc
	flat_store_dwordx2 v[32:33], v[40:41]
.LBB6_196:                              ;   in Loop: Header=BB6_197 Depth=2
	s_or_b64 exec, exec, s[26:27]
	v_add_u32_e32 v10, v8, v10
	s_mov_b64 s[42:43], 0
	s_andn2_b64 exec, exec, s[40:41]
	s_cbranch_execz .LBB6_264
.LBB6_197:                              ;   Parent Loop BB6_47 Depth=1
                                        ; =>  This Loop Header: Depth=2
                                        ;       Child Loop BB6_203 Depth 3
                                        ;       Child Loop BB6_227 Depth 3
	;; [unrolled: 1-line block ×3, first 2 shown]
	v_sub_u32_e32 v0, v20, v10
	v_min_i32_e32 v8, v8, v0
	v_and_b32_e32 v0, 8, v62
	v_cmp_ne_u32_e32 vcc, 0, v0
	s_and_saveexec_b64 s[44:45], vcc
	s_cbranch_execz .LBB6_219
; %bb.198:                              ;   in Loop: Header=BB6_197 Depth=2
	s_waitcnt vmcnt(0) lgkmcnt(0)
	v_add_co_u32_e32 v11, vcc, 8, v38
	v_addc_co_u32_e32 v12, vcc, 0, v39, vcc
	v_add_co_u32_e32 v3, vcc, 2, v40
	v_addc_co_u32_e32 v4, vcc, 0, v41, vcc
	v_cmp_lt_u64_e32 vcc, v[11:12], v[3:4]
	s_and_saveexec_b64 s[88:89], vcc
	s_cbranch_execz .LBB6_210
; %bb.199:                              ;   in Loop: Header=BB6_197 Depth=2
	v_and_b32_e32 v0, 64, v62
	s_mov_b32 s58, 0
	v_cmp_eq_u32_e32 vcc, 0, v0
	s_mov_b64 s[90:91], 0
                                        ; implicit-def: $sgpr92_sgpr93
                                        ; implicit-def: $sgpr94_sgpr95
                                        ; implicit-def: $sgpr30_sgpr31
	s_branch .LBB6_203
.LBB6_200:                              ;   in Loop: Header=BB6_203 Depth=3
	s_waitcnt vmcnt(0) lgkmcnt(0)
	v_add_co_u32_e64 v11, s[26:27], 8, v38
	v_addc_co_u32_e64 v12, s[26:27], 0, v39, s[26:27]
	v_cmp_ge_u64_e64 s[26:27], v[11:12], v[3:4]
	s_or_b64 s[38:39], s[38:39], exec
	s_orn2_b64 s[36:37], s[26:27], exec
.LBB6_201:                              ;   in Loop: Header=BB6_203 Depth=3
	s_or_b64 exec, exec, s[50:51]
	s_andn2_b64 s[26:27], s[30:31], exec
	s_and_b64 s[30:31], s[38:39], exec
	s_or_b64 s[30:31], s[26:27], s[30:31]
	s_andn2_b64 s[26:27], s[94:95], exec
	s_and_b64 s[94:95], s[36:37], exec
	s_or_b64 s[94:95], s[26:27], s[94:95]
.LBB6_202:                              ;   in Loop: Header=BB6_203 Depth=3
	s_or_b64 exec, exec, s[34:35]
	s_and_b64 s[26:27], exec, s[94:95]
	s_or_b64 s[90:91], s[26:27], s[90:91]
	s_andn2_b64 s[26:27], s[92:93], exec
	s_and_b64 s[92:93], s[30:31], exec
	s_or_b64 s[92:93], s[26:27], s[92:93]
	s_andn2_b64 exec, exec, s[90:91]
	s_cbranch_execz .LBB6_207
.LBB6_203:                              ;   Parent Loop BB6_47 Depth=1
                                        ;     Parent Loop BB6_197 Depth=2
                                        ; =>    This Inner Loop Header: Depth=3
	s_sleep 1
	s_waitcnt vmcnt(0) lgkmcnt(0)
	flat_load_dwordx2 v[38:39], v[32:33] glc
	s_or_b64 s[30:31], s[30:31], exec
	s_or_b64 s[94:95], s[94:95], exec
                                        ; implicit-def: $vgpr9
	s_and_saveexec_b64 s[34:35], vcc
	s_cbranch_execz .LBB6_202
; %bb.204:                              ;   in Loop: Header=BB6_203 Depth=3
	s_cmpk_lt_i32 s58, 0x270f
	s_cselect_b64 s[48:49], -1, 0
	s_cmpk_gt_i32 s58, 0x270e
	s_mov_b64 s[36:37], -1
	s_cbranch_scc0 .LBB6_206
; %bb.205:                              ;   in Loop: Header=BB6_203 Depth=3
	s_trap 2
	ds_read_b64 v[11:12], v0
	s_andn2_b64 s[48:49], s[48:49], exec
	s_mov_b32 s58, 0
	s_mov_b64 s[38:39], 0
	s_waitcnt vmcnt(0) lgkmcnt(0)
	flat_load_dword v9, v[11:12] glc
	s_waitcnt vmcnt(0) lgkmcnt(0)
	buffer_wbinvl1_vol
	v_cmp_eq_u32_e64 s[26:27], 0, v9
	s_and_b64 s[26:27], s[26:27], exec
	s_or_b64 s[48:49], s[48:49], s[26:27]
	s_and_saveexec_b64 s[50:51], s[48:49]
	s_cbranch_execz .LBB6_201
	s_branch .LBB6_200
.LBB6_206:                              ;   in Loop: Header=BB6_203 Depth=3
	s_add_i32 s58, s58, 1
	s_mov_b64 s[38:39], -1
                                        ; implicit-def: $vgpr9
	s_and_saveexec_b64 s[50:51], s[48:49]
	s_cbranch_execz .LBB6_201
	s_branch .LBB6_200
.LBB6_207:                              ;   in Loop: Header=BB6_197 Depth=2
	s_or_b64 exec, exec, s[90:91]
	s_xor_b64 s[26:27], s[92:93], -1
	s_and_saveexec_b64 s[90:91], s[26:27]
	s_xor_b64 s[26:27], exec, s[90:91]
	s_cbranch_execz .LBB6_209
; %bb.208:                              ;   in Loop: Header=BB6_197 Depth=2
	v_or_b32_e32 v62, 64, v62
	s_waitcnt lgkmcnt(0)
	ds_write_b32 v0, v9
	s_trap 2
.LBB6_209:                              ;   in Loop: Header=BB6_197 Depth=2
	s_or_b64 exec, exec, s[26:27]
.LBB6_210:                              ;   in Loop: Header=BB6_197 Depth=2
	s_or_b64 exec, exec, s[88:89]
	v_and_b32_e32 v0, 0x100, v62
	v_cmp_ne_u32_e32 vcc, 0, v0
	v_and_b32_e32 v15, 7, v40
	s_mov_b64 s[26:27], -1
	;;#ASMSTART
	s_wakeup
	;;#ASMEND
                                        ; implicit-def: $vgpr11_vgpr12
	s_and_saveexec_b64 s[88:89], vcc
	s_cbranch_execz .LBB6_214
; %bb.211:                              ;   in Loop: Header=BB6_197 Depth=2
	buffer_load_dword v11, off, s[0:3], s33 offset:60 ; 4-byte Folded Reload
	buffer_load_dword v12, off, s[0:3], s33 offset:64 ; 4-byte Folded Reload
	;; [unrolled: 1-line block ×4, first 2 shown]
	v_ashrrev_i32_e32 v9, 31, v8
	s_waitcnt vmcnt(0)
	v_mad_u64_u32 v[13:14], s[26:27], v15, 24, v[11:12]
	v_lshlrev_b64 v[11:12], 1, v[8:9]
	flat_load_dword v0, v[13:14]
	s_nop 0
	flat_store_dwordx2 v[13:14], v[11:12] offset:8
                                        ; implicit-def: $vgpr11_vgpr12
	s_waitcnt vmcnt(0) lgkmcnt(0)
	v_cmp_ne_u32_e32 vcc, 1, v0
	v_cmp_eq_u32_e64 s[26:27], 1, v0
	s_and_saveexec_b64 s[90:91], s[26:27]
	s_cbranch_execz .LBB6_213
; %bb.212:                              ;   in Loop: Header=BB6_197 Depth=2
	flat_load_dword v11, v[13:14] offset:4 glc
	s_waitcnt vmcnt(0) lgkmcnt(0)
	v_ashrrev_i32_e32 v12, 31, v11
	v_lshrrev_b64 v[11:12], 1, v[11:12]
.LBB6_213:                              ;   in Loop: Header=BB6_197 Depth=2
	s_or_b64 exec, exec, s[90:91]
	s_orn2_b64 s[26:27], vcc, exec
.LBB6_214:                              ;   in Loop: Header=BB6_197 Depth=2
	s_or_b64 exec, exec, s[88:89]
	s_and_saveexec_b64 s[88:89], s[26:27]
; %bb.215:                              ;   in Loop: Header=BB6_197 Depth=2
	v_mad_i64_i32 v[11:12], s[26:27], v15, v50, 0
; %bb.216:                              ;   in Loop: Header=BB6_197 Depth=2
	s_or_b64 exec, exec, s[88:89]
	v_lshlrev_b64 v[11:12], 1, v[11:12]
	v_add_co_u32_e32 v11, vcc, v5, v11
	v_addc_co_u32_e32 v12, vcc, v6, v12, vcc
	ds_write_b64 v0, v[11:12] offset:784
	v_and_b32_e32 v0, 0x2000, v62
	v_cmp_ne_u32_e32 vcc, 0, v0
	s_and_saveexec_b64 s[26:27], vcc
	s_cbranch_execz .LBB6_218
; %bb.217:                              ;   in Loop: Header=BB6_197 Depth=2
	ds_read_b64 v[11:12], v0 offset:872
	s_waitcnt lgkmcnt(0)
	v_add_co_u32_e32 v11, vcc, 1, v11
	v_addc_co_u32_e32 v12, vcc, 0, v12, vcc
	ds_write_b64 v0, v[11:12] offset:872
.LBB6_218:                              ;   in Loop: Header=BB6_197 Depth=2
	s_or_b64 exec, exec, s[26:27]
	v_mov_b32_e32 v41, v4
	v_mov_b32_e32 v40, v3
.LBB6_219:                              ;   in Loop: Header=BB6_197 Depth=2
	s_or_b64 exec, exec, s[44:45]
	s_xor_b64 s[26:27], s[42:43], -1
	s_and_b64 s[26:27], exec, s[26:27]
	s_or_b64 s[40:41], s[26:27], s[40:41]
	s_and_saveexec_b64 s[26:27], s[10:11]
	s_cbranch_execz .LBB6_238
; %bb.220:                              ;   in Loop: Header=BB6_197 Depth=2
	s_and_saveexec_b64 s[42:43], s[60:61]
	s_xor_b64 s[42:43], exec, s[42:43]
	s_cbranch_execz .LBB6_235
; %bb.221:                              ;   in Loop: Header=BB6_197 Depth=2
	s_and_saveexec_b64 s[44:45], s[16:17]
	s_cbranch_execz .LBB6_234
; %bb.222:                              ;   in Loop: Header=BB6_197 Depth=2
	s_mov_b64 s[90:91], exec
	v_mbcnt_lo_u32_b32 v0, s90, 0
	v_mbcnt_hi_u32_b32 v0, s91, v0
	v_cmp_eq_u32_e32 vcc, 0, v0
	s_waitcnt vmcnt(0) lgkmcnt(0)
	buffer_wbinvl1_vol
	s_and_saveexec_b64 s[88:89], vcc
	s_cbranch_execz .LBB6_224
; %bb.223:                              ;   in Loop: Header=BB6_197 Depth=2
	s_bcnt1_i32_b64 s58, s[90:91]
	v_mov_b32_e32 v3, s58
	v_mov_b32_e32 v4, v2
	ds_add_u64 v0, v[3:4]
	s_trap 2
.LBB6_224:                              ;   in Loop: Header=BB6_197 Depth=2
	s_or_b64 exec, exec, s[88:89]
	s_trap 2
	ds_read_b64 v[3:4], v0
	s_waitcnt lgkmcnt(0)
	v_add_co_u32_e32 v48, vcc, v48, v51
	v_addc_co_u32_e32 v49, vcc, 0, v49, vcc
	v_cmp_lt_u64_e32 vcc, v[3:4], v[48:49]
	s_and_saveexec_b64 s[88:89], vcc
	s_cbranch_execz .LBB6_233
; %bb.225:                              ;   in Loop: Header=BB6_197 Depth=2
	s_mov_b32 s58, 0
	s_mov_b64 s[90:91], 0
                                        ; implicit-def: $sgpr92_sgpr93
                                        ; implicit-def: $sgpr94_sgpr95
	s_branch .LBB6_227
.LBB6_226:                              ;   in Loop: Header=BB6_227 Depth=3
	s_or_b64 exec, exec, s[34:35]
	s_and_b64 vcc, exec, vcc
	s_or_b64 s[90:91], vcc, s[90:91]
	s_andn2_b64 s[92:93], s[92:93], exec
	s_and_b64 vcc, s[94:95], exec
	s_or_b64 s[92:93], s[92:93], vcc
	s_andn2_b64 exec, exec, s[90:91]
	s_cbranch_execz .LBB6_231
.LBB6_227:                              ;   Parent Loop BB6_47 Depth=1
                                        ;     Parent Loop BB6_197 Depth=2
                                        ; =>    This Inner Loop Header: Depth=3
	s_add_i32 s58, s58, 1
	s_cmpk_lg_i32 s58, 0x2710
	s_cselect_b64 s[30:31], -1, 0
	s_and_b64 vcc, exec, s[30:31]
	s_cbranch_vccz .LBB6_229
; %bb.228:                              ;   in Loop: Header=BB6_227 Depth=3
	s_mov_b64 vcc, -1
	s_or_b64 s[94:95], s[94:95], exec
	s_and_saveexec_b64 s[34:35], s[30:31]
	s_cbranch_execz .LBB6_226
	s_branch .LBB6_230
.LBB6_229:                              ;   in Loop: Header=BB6_227 Depth=3
	s_trap 2
	ds_read_b64 v[3:4], v0
	s_andn2_b64 s[30:31], s[30:31], exec
	s_mov_b32 s58, 0
	s_waitcnt lgkmcnt(0)
	flat_load_dword v0, v[3:4] glc
	s_waitcnt vmcnt(0) lgkmcnt(0)
	buffer_wbinvl1_vol
	v_cmp_eq_u32_e32 vcc, 0, v0
	s_and_b64 vcc, vcc, exec
	s_or_b64 s[30:31], s[30:31], vcc
	s_mov_b64 vcc, -1
	s_or_b64 s[94:95], s[94:95], exec
	s_and_saveexec_b64 s[34:35], s[30:31]
	s_cbranch_execz .LBB6_226
.LBB6_230:                              ;   in Loop: Header=BB6_227 Depth=3
	s_sleep 1
	s_trap 2
	ds_read_b64 v[3:4], v0
	s_waitcnt lgkmcnt(0)
	s_andn2_b64 s[94:95], s[94:95], exec
	v_cmp_ge_u64_e32 vcc, v[3:4], v[48:49]
	s_orn2_b64 vcc, vcc, exec
	s_branch .LBB6_226
.LBB6_231:                              ;   in Loop: Header=BB6_197 Depth=2
	s_or_b64 exec, exec, s[90:91]
	s_and_saveexec_b64 s[90:91], s[92:93]
	s_xor_b64 s[90:91], exec, s[90:91]
	s_cbranch_execz .LBB6_233
; %bb.232:                              ;   in Loop: Header=BB6_197 Depth=2
	ds_write_b32 v0, v60
	s_trap 2
.LBB6_233:                              ;   in Loop: Header=BB6_197 Depth=2
	s_or_b64 exec, exec, s[88:89]
	;;#ASMSTART
	s_wakeup
	;;#ASMEND
.LBB6_234:                              ;   in Loop: Header=BB6_197 Depth=2
	s_or_b64 exec, exec, s[44:45]
.LBB6_235:                              ;   in Loop: Header=BB6_197 Depth=2
	s_andn2_saveexec_b64 s[42:43], s[42:43]
	s_cbranch_execz .LBB6_237
; %bb.236:                              ;   in Loop: Header=BB6_197 Depth=2
	s_waitcnt vmcnt(0) lgkmcnt(0)
	buffer_wbinvl1_vol
	s_barrier
.LBB6_237:                              ;   in Loop: Header=BB6_197 Depth=2
	s_or_b64 exec, exec, s[42:43]
.LBB6_238:                              ;   in Loop: Header=BB6_197 Depth=2
	s_or_b64 exec, exec, s[26:27]
                                        ; implicit-def: $vgpr3
	s_and_saveexec_b64 s[26:27], s[24:25]
	s_xor_b64 s[26:27], exec, s[26:27]
	s_cbranch_execz .LBB6_243
; %bb.239:                              ;   in Loop: Header=BB6_197 Depth=2
	s_trap 2
	ds_read_b32 v0, v0
	v_cmp_lt_i32_e32 vcc, 0, v8
	v_and_b32_e32 v3, 16, v62
	s_waitcnt lgkmcnt(0)
	v_readfirstlane_b32 s42, v0
	s_cmp_eq_u32 s42, 0
	s_cselect_b64 s[42:43], -1, 0
	v_and_b32_e32 v0, 16, v62
	s_and_b64 s[42:43], vcc, s[42:43]
	v_cmp_ne_u32_e32 vcc, 0, v0
	s_and_b64 s[44:45], vcc, s[42:43]
	s_and_saveexec_b64 s[42:43], s[44:45]
	s_cbranch_execz .LBB6_241
; %bb.240:                              ;   in Loop: Header=BB6_197 Depth=2
	v_mov_b32_e32 v3, 1
	s_waitcnt vmcnt(0)
	buffer_wbinvl1_vol
.LBB6_241:                              ;   in Loop: Header=BB6_197 Depth=2
	s_or_b64 exec, exec, s[42:43]
	s_andn2_saveexec_b64 s[26:27], s[26:27]
	s_cbranch_execnz .LBB6_244
.LBB6_242:                              ;   in Loop: Header=BB6_197 Depth=2
	s_or_b64 exec, exec, s[26:27]
	v_cmp_ne_u32_e32 vcc, 0, v3
	s_and_saveexec_b64 s[26:27], vcc
	s_cbranch_execz .LBB6_196
	s_branch .LBB6_262
.LBB6_243:                              ;   in Loop: Header=BB6_197 Depth=2
	s_andn2_saveexec_b64 s[26:27], s[26:27]
	s_cbranch_execz .LBB6_242
.LBB6_244:                              ;   in Loop: Header=BB6_197 Depth=2
	s_and_saveexec_b64 s[42:43], s[60:61]
	s_xor_b64 s[42:43], exec, s[42:43]
	s_cbranch_execz .LBB6_259
; %bb.245:                              ;   in Loop: Header=BB6_197 Depth=2
	s_and_saveexec_b64 s[44:45], s[16:17]
	s_cbranch_execz .LBB6_258
; %bb.246:                              ;   in Loop: Header=BB6_197 Depth=2
	s_mov_b64 s[90:91], exec
	v_mbcnt_lo_u32_b32 v0, s90, 0
	v_mbcnt_hi_u32_b32 v0, s91, v0
	v_cmp_eq_u32_e32 vcc, 0, v0
	;;#ASMSTART
	s_waitcnt lgkmcnt(0) vmcnt(0)
	;;#ASMEND
	s_and_saveexec_b64 s[88:89], vcc
	s_cbranch_execz .LBB6_248
; %bb.247:                              ;   in Loop: Header=BB6_197 Depth=2
	s_bcnt1_i32_b64 s58, s[90:91]
	v_mov_b32_e32 v3, s58
	v_mov_b32_e32 v4, v2
	s_waitcnt lgkmcnt(0)
	ds_add_u64 v0, v[3:4]
	s_trap 2
.LBB6_248:                              ;   in Loop: Header=BB6_197 Depth=2
	s_or_b64 exec, exec, s[88:89]
	s_trap 2
	ds_read_b64 v[3:4], v0
	s_waitcnt lgkmcnt(0)
	v_add_co_u32_e32 v48, vcc, v48, v51
	v_addc_co_u32_e32 v49, vcc, 0, v49, vcc
	v_cmp_lt_u64_e32 vcc, v[3:4], v[48:49]
	s_and_saveexec_b64 s[88:89], vcc
	s_cbranch_execz .LBB6_257
; %bb.249:                              ;   in Loop: Header=BB6_197 Depth=2
	s_mov_b32 s58, 0
	s_mov_b64 s[90:91], 0
                                        ; implicit-def: $sgpr92_sgpr93
                                        ; implicit-def: $sgpr94_sgpr95
	s_branch .LBB6_251
.LBB6_250:                              ;   in Loop: Header=BB6_251 Depth=3
	s_or_b64 exec, exec, s[34:35]
	s_and_b64 vcc, exec, vcc
	s_or_b64 s[90:91], vcc, s[90:91]
	s_andn2_b64 s[92:93], s[92:93], exec
	s_and_b64 vcc, s[94:95], exec
	s_or_b64 s[92:93], s[92:93], vcc
	s_andn2_b64 exec, exec, s[90:91]
	s_cbranch_execz .LBB6_255
.LBB6_251:                              ;   Parent Loop BB6_47 Depth=1
                                        ;     Parent Loop BB6_197 Depth=2
                                        ; =>    This Inner Loop Header: Depth=3
	s_add_i32 s58, s58, 1
	s_cmpk_lg_i32 s58, 0x2710
	s_cselect_b64 s[30:31], -1, 0
	s_and_b64 vcc, exec, s[30:31]
	s_cbranch_vccz .LBB6_253
; %bb.252:                              ;   in Loop: Header=BB6_251 Depth=3
	s_mov_b64 vcc, -1
	s_or_b64 s[94:95], s[94:95], exec
	s_and_saveexec_b64 s[34:35], s[30:31]
	s_cbranch_execz .LBB6_250
	s_branch .LBB6_254
.LBB6_253:                              ;   in Loop: Header=BB6_251 Depth=3
	s_trap 2
	ds_read_b64 v[3:4], v0
	s_andn2_b64 s[30:31], s[30:31], exec
	s_mov_b32 s58, 0
	s_waitcnt vmcnt(0) lgkmcnt(0)
	flat_load_dword v0, v[3:4] glc
	s_waitcnt vmcnt(0) lgkmcnt(0)
	buffer_wbinvl1_vol
	v_cmp_eq_u32_e32 vcc, 0, v0
	s_and_b64 vcc, vcc, exec
	s_or_b64 s[30:31], s[30:31], vcc
	s_mov_b64 vcc, -1
	s_or_b64 s[94:95], s[94:95], exec
	s_and_saveexec_b64 s[34:35], s[30:31]
	s_cbranch_execz .LBB6_250
.LBB6_254:                              ;   in Loop: Header=BB6_251 Depth=3
	s_sleep 1
	s_trap 2
	ds_read_b64 v[3:4], v0
	s_waitcnt lgkmcnt(0)
	s_andn2_b64 s[94:95], s[94:95], exec
	v_cmp_ge_u64_e32 vcc, v[3:4], v[48:49]
	s_orn2_b64 vcc, vcc, exec
	s_branch .LBB6_250
.LBB6_255:                              ;   in Loop: Header=BB6_197 Depth=2
	s_or_b64 exec, exec, s[90:91]
	s_and_saveexec_b64 s[90:91], s[92:93]
	s_xor_b64 s[90:91], exec, s[90:91]
	s_cbranch_execz .LBB6_257
; %bb.256:                              ;   in Loop: Header=BB6_197 Depth=2
	ds_write_b32 v0, v60
	s_trap 2
.LBB6_257:                              ;   in Loop: Header=BB6_197 Depth=2
	s_or_b64 exec, exec, s[88:89]
	;;#ASMSTART
	s_wakeup
	;;#ASMEND
.LBB6_258:                              ;   in Loop: Header=BB6_197 Depth=2
	s_or_b64 exec, exec, s[44:45]
.LBB6_259:                              ;   in Loop: Header=BB6_197 Depth=2
	s_andn2_saveexec_b64 s[42:43], s[42:43]
	s_cbranch_execz .LBB6_261
; %bb.260:                              ;   in Loop: Header=BB6_197 Depth=2
	;;#ASMSTART
	s_waitcnt lgkmcnt(0) vmcnt(0)
	;;#ASMEND
	s_waitcnt vmcnt(0) lgkmcnt(0)
	s_barrier
.LBB6_261:                              ;   in Loop: Header=BB6_197 Depth=2
	s_or_b64 exec, exec, s[42:43]
	v_and_b32_e32 v3, 16, v62
	s_or_b64 exec, exec, s[26:27]
	v_cmp_ne_u32_e32 vcc, 0, v3
	s_and_saveexec_b64 s[26:27], vcc
	s_cbranch_execz .LBB6_196
.LBB6_262:                              ;   in Loop: Header=BB6_197 Depth=2
	s_and_saveexec_b64 s[42:43], s[14:15]
	s_cbranch_execz .LBB6_195
; %bb.263:                              ;   in Loop: Header=BB6_197 Depth=2
	s_waitcnt vmcnt(0)
	flat_store_dword v[36:37], v60
	s_branch .LBB6_195
.LBB6_264:                              ;   in Loop: Header=BB6_47 Depth=1
	s_or_b64 exec, exec, s[40:41]
.LBB6_265:                              ;   in Loop: Header=BB6_47 Depth=1
	s_or_b64 exec, exec, s[28:29]
	v_cndmask_b32_e64 v0, 0, 1, s[72:73]
	v_cmp_ne_u32_e64 s[26:27], 1, v0
	s_andn2_b64 vcc, exec, s[72:73]
	s_cbranch_vccnz .LBB6_620
; %bb.266:                              ;   in Loop: Header=BB6_47 Depth=1
	s_mov_b32 s79, 2
	s_branch .LBB6_269
.LBB6_267:                              ;   in Loop: Header=BB6_269 Depth=2
	s_or_b64 exec, exec, s[42:43]
.LBB6_268:                              ;   in Loop: Header=BB6_269 Depth=2
	s_or_b64 exec, exec, s[40:41]
	s_add_i32 s79, s79, 1
	s_cmp_eq_u32 s79, s54
	s_cbranch_scc1 .LBB6_620
.LBB6_269:                              ;   Parent Loop BB6_47 Depth=1
                                        ; =>  This Loop Header: Depth=2
                                        ;       Child Loop BB6_272 Depth 3
                                        ;         Child Loop BB6_280 Depth 4
                                        ;         Child Loop BB6_308 Depth 4
	;; [unrolled: 1-line block ×9, first 2 shown]
                                        ;       Child Loop BB6_548 Depth 3
                                        ;         Child Loop BB6_554 Depth 4
                                        ;         Child Loop BB6_582 Depth 4
	;; [unrolled: 1-line block ×3, first 2 shown]
	buffer_load_dword v10, off, s[0:3], s33 offset:128 ; 4-byte Folded Reload
	buffer_load_dword v11, off, s[0:3], s33 offset:132 ; 4-byte Folded Reload
	s_sub_i32 s28, s71, s79
	s_cmp_ge_i32 s28, s54
	s_cselect_b32 s29, s54, 0
	s_sub_i32 s28, s28, s29
	s_ashr_i32 s40, s28, 31
	v_mov_b32_e32 v56, 0
	s_waitcnt vmcnt(0)
	v_mul_lo_u32 v8, v10, s40
	v_mul_lo_u32 v0, v11, s28
	v_mad_u64_u32 v[3:4], s[28:29], v10, s28, 0
	v_add3_u32 v4, v4, v8, v0
	buffer_load_dword v8, off, s[0:3], s33 offset:120 ; 4-byte Folded Reload
	buffer_load_dword v9, off, s[0:3], s33 offset:124 ; 4-byte Folded Reload
	s_waitcnt vmcnt(0)
	v_sub_co_u32_e32 v8, vcc, v8, v3
	v_subb_co_u32_e32 v9, vcc, v9, v4, vcc
	v_cmp_lt_i64_e32 vcc, v[10:11], v[8:9]
	v_cndmask_b32_e32 v0, v8, v10, vcc
	v_max_i32_e32 v52, 0, v0
	v_add_u32_e32 v8, 31, v52
	v_lshrrev_b32_e32 v8, 1, v8
	v_and_b32_e32 v8, 0x3ffffff0, v8
	v_cmp_lt_i32_e32 vcc, 0, v0
	v_max_i32_e32 v46, s82, v8
	s_and_b64 s[28:29], s[76:77], vcc
	v_mov_b32_e32 v8, 0
	s_and_saveexec_b64 s[42:43], s[28:29]
	s_cbranch_execz .LBB6_545
; %bb.270:                              ;   in Loop: Header=BB6_269 Depth=2
	v_lshlrev_b64 v[26:27], 1, v[3:4]
	s_mov_b32 s86, 1
	s_mov_b64 s[88:89], -1
	v_mov_b32_e32 v56, 0
	s_mov_b64 s[44:45], 0
	s_branch .LBB6_272
.LBB6_271:                              ;   in Loop: Header=BB6_272 Depth=3
	s_or_b64 exec, exec, s[28:29]
	v_add_u32_e32 v56, v46, v56
	v_cmp_ge_i32_e32 vcc, v56, v52
	s_xor_b64 s[28:29], s[88:89], -1
	s_or_b64 s[28:29], s[28:29], vcc
	s_and_b64 s[28:29], exec, s[28:29]
	s_or_b64 s[44:45], s[28:29], s[44:45]
	s_mov_b64 s[88:89], 0
	v_mov_b32_e32 v8, s86
	s_mov_b32 s86, 2
	s_andn2_b64 exec, exec, s[44:45]
	s_cbranch_execz .LBB6_544
.LBB6_272:                              ;   Parent Loop BB6_47 Depth=1
                                        ;     Parent Loop BB6_269 Depth=2
                                        ; =>    This Loop Header: Depth=3
                                        ;         Child Loop BB6_280 Depth 4
                                        ;         Child Loop BB6_308 Depth 4
	;; [unrolled: 1-line block ×9, first 2 shown]
	s_and_saveexec_b64 s[28:29], s[4:5]
	s_cbranch_execz .LBB6_274
; %bb.273:                              ;   in Loop: Header=BB6_272 Depth=3
	s_trap 2
	ds_read_b64 v[3:4], v0
	buffer_load_dword v8, off, s[0:3], s33 offset:100 ; 4-byte Folded Reload
	buffer_load_dword v9, off, s[0:3], s33 offset:104 ; 4-byte Folded Reload
	v_ashrrev_i32_e32 v57, 31, v56
	s_waitcnt vmcnt(0)
	v_lshlrev_b64 v[8:9], 1, v[8:9]
	s_waitcnt lgkmcnt(0)
	v_add_co_u32_e32 v0, vcc, v3, v8
	v_addc_co_u32_e32 v3, vcc, v4, v9, vcc
	v_add_co_u32_e32 v0, vcc, v0, v26
	v_addc_co_u32_e32 v8, vcc, v3, v27, vcc
	v_lshlrev_b64 v[3:4], 1, v[56:57]
	v_add_co_u32_e32 v3, vcc, v0, v3
	v_addc_co_u32_e32 v4, vcc, v8, v4, vcc
	ds_write_b64 v0, v[3:4]
	v_mov_b32_e32 v3, v2
	ds_write_b64 v0, v[2:3]
.LBB6_274:                              ;   in Loop: Header=BB6_272 Depth=3
	s_or_b64 exec, exec, s[28:29]
	v_sub_u32_e32 v0, v52, v56
	v_min_i32_e32 v46, v46, v0
	v_and_b32_e32 v0, 12, v62
	v_cmp_ne_u32_e32 vcc, 0, v0
	s_and_saveexec_b64 s[40:41], vcc
	s_cbranch_execz .LBB6_300
; %bb.275:                              ;   in Loop: Header=BB6_272 Depth=3
	v_and_b32_e32 v14, 8, v62
	s_waitcnt vmcnt(0) lgkmcnt(0)
	v_add_co_u32_e32 v8, vcc, v38, v14
	v_addc_co_u32_e32 v9, vcc, 0, v39, vcc
	v_add_co_u32_e32 v3, vcc, 2, v40
	v_addc_co_u32_e32 v4, vcc, 0, v41, vcc
	v_cmp_lt_u64_e32 vcc, v[8:9], v[3:4]
	s_and_saveexec_b64 s[90:91], vcc
	s_cbranch_execz .LBB6_287
; %bb.276:                              ;   in Loop: Header=BB6_272 Depth=3
	v_and_b32_e32 v0, 64, v62
	s_mov_b32 s58, 0
	v_cmp_eq_u32_e32 vcc, 0, v0
	s_mov_b64 s[92:93], 0
                                        ; implicit-def: $sgpr94_sgpr95
                                        ; implicit-def: $sgpr30_sgpr31
                                        ; implicit-def: $sgpr34_sgpr35
	s_branch .LBB6_280
.LBB6_277:                              ;   in Loop: Header=BB6_280 Depth=4
	s_waitcnt vmcnt(0) lgkmcnt(0)
	v_add_co_u32_e64 v9, s[28:29], v38, v14
	v_addc_co_u32_e64 v10, s[28:29], 0, v39, s[28:29]
	v_cmp_ge_u64_e64 s[28:29], v[9:10], v[3:4]
	s_or_b64 s[48:49], s[48:49], exec
	s_orn2_b64 s[38:39], s[28:29], exec
.LBB6_278:                              ;   in Loop: Header=BB6_280 Depth=4
	s_or_b64 exec, exec, s[52:53]
	s_andn2_b64 s[28:29], s[34:35], exec
	s_and_b64 s[34:35], s[48:49], exec
	s_or_b64 s[34:35], s[28:29], s[34:35]
	s_andn2_b64 s[28:29], s[30:31], exec
	s_and_b64 s[30:31], s[38:39], exec
	s_or_b64 s[30:31], s[28:29], s[30:31]
.LBB6_279:                              ;   in Loop: Header=BB6_280 Depth=4
	s_or_b64 exec, exec, s[36:37]
	s_and_b64 s[28:29], exec, s[30:31]
	s_or_b64 s[92:93], s[28:29], s[92:93]
	s_andn2_b64 s[28:29], s[94:95], exec
	s_and_b64 s[94:95], s[34:35], exec
	s_or_b64 s[94:95], s[28:29], s[94:95]
	s_andn2_b64 exec, exec, s[92:93]
	s_cbranch_execz .LBB6_284
.LBB6_280:                              ;   Parent Loop BB6_47 Depth=1
                                        ;     Parent Loop BB6_269 Depth=2
                                        ;       Parent Loop BB6_272 Depth=3
                                        ; =>      This Inner Loop Header: Depth=4
	s_sleep 1
	s_waitcnt vmcnt(0) lgkmcnt(0)
	flat_load_dwordx2 v[38:39], v[32:33] glc
	s_or_b64 s[34:35], s[34:35], exec
	s_or_b64 s[30:31], s[30:31], exec
                                        ; implicit-def: $vgpr8
	s_and_saveexec_b64 s[36:37], vcc
	s_cbranch_execz .LBB6_279
; %bb.281:                              ;   in Loop: Header=BB6_280 Depth=4
	s_cmpk_lt_i32 s58, 0x270f
	s_cselect_b64 s[50:51], -1, 0
	s_cmpk_gt_i32 s58, 0x270e
	s_mov_b64 s[38:39], -1
	s_cbranch_scc0 .LBB6_283
; %bb.282:                              ;   in Loop: Header=BB6_280 Depth=4
	s_trap 2
	ds_read_b64 v[8:9], v0
	s_andn2_b64 s[50:51], s[50:51], exec
	s_mov_b32 s58, 0
	s_mov_b64 s[48:49], 0
	s_waitcnt vmcnt(0) lgkmcnt(0)
	flat_load_dword v8, v[8:9] glc
	s_waitcnt vmcnt(0) lgkmcnt(0)
	buffer_wbinvl1_vol
	v_cmp_eq_u32_e64 s[28:29], 0, v8
	s_and_b64 s[28:29], s[28:29], exec
	s_or_b64 s[50:51], s[50:51], s[28:29]
	s_and_saveexec_b64 s[52:53], s[50:51]
	s_cbranch_execz .LBB6_278
	s_branch .LBB6_277
.LBB6_283:                              ;   in Loop: Header=BB6_280 Depth=4
	s_add_i32 s58, s58, 1
	s_mov_b64 s[48:49], -1
                                        ; implicit-def: $vgpr8
	s_and_saveexec_b64 s[52:53], s[50:51]
	s_cbranch_execz .LBB6_278
	s_branch .LBB6_277
.LBB6_284:                              ;   in Loop: Header=BB6_272 Depth=3
	s_or_b64 exec, exec, s[92:93]
	s_xor_b64 s[28:29], s[94:95], -1
	s_and_saveexec_b64 s[92:93], s[28:29]
	s_xor_b64 s[28:29], exec, s[92:93]
	s_cbranch_execz .LBB6_286
; %bb.285:                              ;   in Loop: Header=BB6_272 Depth=3
	v_or_b32_e32 v62, 64, v62
	s_waitcnt lgkmcnt(0)
	ds_write_b32 v0, v8
	s_trap 2
.LBB6_286:                              ;   in Loop: Header=BB6_272 Depth=3
	s_or_b64 exec, exec, s[28:29]
.LBB6_287:                              ;   in Loop: Header=BB6_272 Depth=3
	s_or_b64 exec, exec, s[90:91]
	v_and_b32_e32 v0, 0x108, v62
	v_cmp_ne_u32_e32 vcc, s65, v0
	;;#ASMSTART
	s_wakeup
	;;#ASMEND
                                        ; implicit-def: $vgpr8_vgpr9
	s_and_saveexec_b64 s[28:29], vcc
	s_xor_b64 s[28:29], exec, s[28:29]
; %bb.288:                              ;   in Loop: Header=BB6_272 Depth=3
	v_and_b32_e32 v8, 7, v40
	v_mov_b32_e32 v9, v2
                                        ; implicit-def: $vgpr40_vgpr41
; %bb.289:                              ;   in Loop: Header=BB6_272 Depth=3
	s_andn2_saveexec_b64 s[28:29], s[28:29]
	s_cbranch_execz .LBB6_291
; %bb.290:                              ;   in Loop: Header=BB6_272 Depth=3
	buffer_load_dword v9, off, s[0:3], s33 offset:60 ; 4-byte Folded Reload
	buffer_load_dword v10, off, s[0:3], s33 offset:64 ; 4-byte Folded Reload
	;; [unrolled: 1-line block ×4, first 2 shown]
	v_and_b32_e32 v8, 7, v40
	v_ashrrev_i32_e32 v47, 31, v46
	s_waitcnt vmcnt(0)
	v_lshlrev_b64 v[12:13], 1, v[46:47]
	v_mad_u64_u32 v[10:11], s[90:91], v8, 24, v[9:10]
	v_mov_b32_e32 v9, v2
	flat_store_dwordx2 v[10:11], v[12:13] offset:8
.LBB6_291:                              ;   in Loop: Header=BB6_272 Depth=3
	s_or_b64 exec, exec, s[28:29]
	v_and_b32_e32 v0, 0x100, v62
	v_cmp_ne_u32_e32 vcc, 0, v0
	s_mov_b64 s[28:29], -1
                                        ; implicit-def: $vgpr10_vgpr11
	s_and_saveexec_b64 s[90:91], vcc
	s_cbranch_execz .LBB6_295
; %bb.292:                              ;   in Loop: Header=BB6_272 Depth=3
	buffer_load_dword v10, off, s[0:3], s33 offset:60 ; 4-byte Folded Reload
	buffer_load_dword v11, off, s[0:3], s33 offset:64 ; 4-byte Folded Reload
	;; [unrolled: 1-line block ×4, first 2 shown]
	s_waitcnt vmcnt(0)
	v_mad_u64_u32 v[12:13], s[28:29], v8, 24, v[10:11]
	v_mov_b32_e32 v0, v13
	v_mad_u64_u32 v[10:11], s[28:29], v9, 24, v[0:1]
	v_mov_b32_e32 v13, v10
	flat_load_dword v0, v[12:13]
                                        ; implicit-def: $vgpr10_vgpr11
	s_waitcnt vmcnt(0) lgkmcnt(0)
	v_cmp_ne_u32_e32 vcc, 1, v0
	v_cmp_eq_u32_e64 s[28:29], 1, v0
	s_and_saveexec_b64 s[92:93], s[28:29]
	s_cbranch_execz .LBB6_294
; %bb.293:                              ;   in Loop: Header=BB6_272 Depth=3
	flat_load_dword v10, v[12:13] offset:4 glc
	s_waitcnt vmcnt(0) lgkmcnt(0)
	v_ashrrev_i32_e32 v11, 31, v10
	v_lshrrev_b64 v[10:11], 1, v[10:11]
.LBB6_294:                              ;   in Loop: Header=BB6_272 Depth=3
	s_or_b64 exec, exec, s[92:93]
	s_orn2_b64 s[28:29], vcc, exec
.LBB6_295:                              ;   in Loop: Header=BB6_272 Depth=3
	s_or_b64 exec, exec, s[90:91]
	s_and_saveexec_b64 s[90:91], s[28:29]
	s_cbranch_execz .LBB6_297
; %bb.296:                              ;   in Loop: Header=BB6_272 Depth=3
	v_mul_lo_u32 v0, v9, v50
	v_mul_lo_u32 v9, v8, v45
	v_mad_u64_u32 v[10:11], s[28:29], v8, v50, 0
	v_add3_u32 v11, v11, v9, v0
.LBB6_297:                              ;   in Loop: Header=BB6_272 Depth=3
	s_or_b64 exec, exec, s[90:91]
	v_lshlrev_b64 v[8:9], 1, v[10:11]
	v_cmp_eq_u32_e32 vcc, 0, v14
	v_mov_b32_e32 v0, 0x90
	v_cndmask_b32_e32 v0, v61, v0, vcc
	v_add_co_u32_e32 v8, vcc, v5, v8
	v_addc_co_u32_e32 v9, vcc, v6, v9, vcc
	v_add_u32_e32 v0, v0, v0
	ds_write_b64 v0, v[8:9] offset:584
	v_and_b32_e32 v0, 0x2000, v62
	v_cmp_ne_u32_e32 vcc, 0, v0
	s_and_saveexec_b64 s[28:29], vcc
	s_cbranch_execz .LBB6_299
; %bb.298:                              ;   in Loop: Header=BB6_272 Depth=3
	ds_read_b64 v[8:9], v0 offset:872
	s_waitcnt lgkmcnt(0)
	v_add_co_u32_e32 v8, vcc, 1, v8
	v_addc_co_u32_e32 v9, vcc, 0, v9, vcc
	ds_write_b64 v0, v[8:9] offset:872
.LBB6_299:                              ;   in Loop: Header=BB6_272 Depth=3
	s_or_b64 exec, exec, s[28:29]
	v_mov_b32_e32 v41, v4
	v_mov_b32_e32 v40, v3
.LBB6_300:                              ;   in Loop: Header=BB6_272 Depth=3
	s_or_b64 exec, exec, s[40:41]
	s_and_saveexec_b64 s[28:29], s[10:11]
	s_cbranch_execz .LBB6_319
; %bb.301:                              ;   in Loop: Header=BB6_272 Depth=3
	s_and_saveexec_b64 s[40:41], s[60:61]
	s_xor_b64 s[40:41], exec, s[40:41]
	s_cbranch_execz .LBB6_316
; %bb.302:                              ;   in Loop: Header=BB6_272 Depth=3
	s_and_saveexec_b64 s[90:91], s[16:17]
	s_cbranch_execz .LBB6_315
; %bb.303:                              ;   in Loop: Header=BB6_272 Depth=3
	s_mov_b64 s[94:95], exec
	v_mbcnt_lo_u32_b32 v0, s94, 0
	v_mbcnt_hi_u32_b32 v0, s95, v0
	v_cmp_eq_u32_e32 vcc, 0, v0
	s_waitcnt vmcnt(0) lgkmcnt(0)
	buffer_wbinvl1_vol
	s_and_saveexec_b64 s[92:93], vcc
	s_cbranch_execz .LBB6_305
; %bb.304:                              ;   in Loop: Header=BB6_272 Depth=3
	s_bcnt1_i32_b64 s58, s[94:95]
	v_mov_b32_e32 v3, s58
	v_mov_b32_e32 v4, v2
	ds_add_u64 v0, v[3:4]
	s_trap 2
.LBB6_305:                              ;   in Loop: Header=BB6_272 Depth=3
	s_or_b64 exec, exec, s[92:93]
	s_trap 2
	ds_read_b64 v[3:4], v0
	s_waitcnt lgkmcnt(0)
	v_add_co_u32_e32 v48, vcc, v48, v51
	v_addc_co_u32_e32 v49, vcc, 0, v49, vcc
	v_cmp_lt_u64_e32 vcc, v[3:4], v[48:49]
	s_and_saveexec_b64 s[92:93], vcc
	s_cbranch_execz .LBB6_314
; %bb.306:                              ;   in Loop: Header=BB6_272 Depth=3
	s_mov_b32 s58, 0
	s_mov_b64 s[94:95], 0
                                        ; implicit-def: $sgpr30_sgpr31
                                        ; implicit-def: $sgpr34_sgpr35
	s_branch .LBB6_308
.LBB6_307:                              ;   in Loop: Header=BB6_308 Depth=4
	s_or_b64 exec, exec, s[38:39]
	s_and_b64 vcc, exec, vcc
	s_or_b64 s[94:95], vcc, s[94:95]
	s_andn2_b64 vcc, s[30:31], exec
	s_and_b64 s[30:31], s[34:35], exec
	s_or_b64 s[30:31], vcc, s[30:31]
	s_andn2_b64 exec, exec, s[94:95]
	s_cbranch_execz .LBB6_312
.LBB6_308:                              ;   Parent Loop BB6_47 Depth=1
                                        ;     Parent Loop BB6_269 Depth=2
                                        ;       Parent Loop BB6_272 Depth=3
                                        ; =>      This Inner Loop Header: Depth=4
	s_add_i32 s58, s58, 1
	s_cmpk_lg_i32 s58, 0x2710
	s_cselect_b64 s[36:37], -1, 0
	s_and_b64 vcc, exec, s[36:37]
	s_cbranch_vccz .LBB6_310
; %bb.309:                              ;   in Loop: Header=BB6_308 Depth=4
	s_mov_b64 vcc, -1
	s_or_b64 s[34:35], s[34:35], exec
	s_and_saveexec_b64 s[38:39], s[36:37]
	s_cbranch_execz .LBB6_307
	s_branch .LBB6_311
.LBB6_310:                              ;   in Loop: Header=BB6_308 Depth=4
	s_trap 2
	ds_read_b64 v[3:4], v0
	s_andn2_b64 s[36:37], s[36:37], exec
	s_mov_b32 s58, 0
	s_waitcnt lgkmcnt(0)
	flat_load_dword v0, v[3:4] glc
	s_waitcnt vmcnt(0) lgkmcnt(0)
	buffer_wbinvl1_vol
	v_cmp_eq_u32_e32 vcc, 0, v0
	s_and_b64 vcc, vcc, exec
	s_or_b64 s[36:37], s[36:37], vcc
	s_mov_b64 vcc, -1
	s_or_b64 s[34:35], s[34:35], exec
	s_and_saveexec_b64 s[38:39], s[36:37]
	s_cbranch_execz .LBB6_307
.LBB6_311:                              ;   in Loop: Header=BB6_308 Depth=4
	s_sleep 1
	s_trap 2
	ds_read_b64 v[3:4], v0
	s_waitcnt lgkmcnt(0)
	s_andn2_b64 s[34:35], s[34:35], exec
	v_cmp_ge_u64_e32 vcc, v[3:4], v[48:49]
	s_orn2_b64 vcc, vcc, exec
	s_branch .LBB6_307
.LBB6_312:                              ;   in Loop: Header=BB6_272 Depth=3
	s_or_b64 exec, exec, s[94:95]
	s_and_saveexec_b64 s[94:95], s[30:31]
	s_xor_b64 s[94:95], exec, s[94:95]
	s_cbranch_execz .LBB6_314
; %bb.313:                              ;   in Loop: Header=BB6_272 Depth=3
	ds_write_b32 v0, v60
	s_trap 2
.LBB6_314:                              ;   in Loop: Header=BB6_272 Depth=3
	s_or_b64 exec, exec, s[92:93]
	;;#ASMSTART
	s_wakeup
	;;#ASMEND
.LBB6_315:                              ;   in Loop: Header=BB6_272 Depth=3
	s_or_b64 exec, exec, s[90:91]
.LBB6_316:                              ;   in Loop: Header=BB6_272 Depth=3
	s_andn2_saveexec_b64 s[40:41], s[40:41]
	s_cbranch_execz .LBB6_318
; %bb.317:                              ;   in Loop: Header=BB6_272 Depth=3
	s_waitcnt vmcnt(0) lgkmcnt(0)
	buffer_wbinvl1_vol
	s_barrier
.LBB6_318:                              ;   in Loop: Header=BB6_272 Depth=3
	s_or_b64 exec, exec, s[40:41]
.LBB6_319:                              ;   in Loop: Header=BB6_272 Depth=3
	s_or_b64 exec, exec, s[28:29]
	s_trap 2
	ds_read_b32 v3, v0
	v_and_b32_e32 v0, 0x4000, v62
	v_cmp_ne_u32_e32 vcc, 0, v0
	s_xor_b64 s[28:29], s[6:7], -1
	s_and_b64 s[40:41], s[28:29], vcc
	s_and_saveexec_b64 s[28:29], s[40:41]
	s_cbranch_execz .LBB6_338
; %bb.320:                              ;   in Loop: Header=BB6_272 Depth=3
	s_and_saveexec_b64 s[40:41], s[60:61]
	s_xor_b64 s[40:41], exec, s[40:41]
	s_cbranch_execz .LBB6_335
; %bb.321:                              ;   in Loop: Header=BB6_272 Depth=3
	s_and_saveexec_b64 s[90:91], s[16:17]
	s_cbranch_execz .LBB6_334
; %bb.322:                              ;   in Loop: Header=BB6_272 Depth=3
	s_mov_b64 s[94:95], exec
	v_mbcnt_lo_u32_b32 v0, s94, 0
	v_mbcnt_hi_u32_b32 v0, s95, v0
	v_cmp_eq_u32_e32 vcc, 0, v0
	s_waitcnt vmcnt(0) lgkmcnt(0)
	buffer_wbinvl1_vol
	s_and_saveexec_b64 s[92:93], vcc
	s_cbranch_execz .LBB6_324
; %bb.323:                              ;   in Loop: Header=BB6_272 Depth=3
	s_bcnt1_i32_b64 s58, s[94:95]
	v_mov_b32_e32 v8, s58
	v_mov_b32_e32 v9, v2
	ds_add_u64 v0, v[8:9]
	s_trap 2
.LBB6_324:                              ;   in Loop: Header=BB6_272 Depth=3
	s_or_b64 exec, exec, s[92:93]
	s_trap 2
	ds_read_b64 v[8:9], v0
	s_waitcnt lgkmcnt(0)
	v_add_co_u32_e32 v48, vcc, v48, v51
	v_addc_co_u32_e32 v49, vcc, 0, v49, vcc
	v_cmp_lt_u64_e32 vcc, v[8:9], v[48:49]
	s_and_saveexec_b64 s[92:93], vcc
	s_cbranch_execz .LBB6_333
; %bb.325:                              ;   in Loop: Header=BB6_272 Depth=3
	s_mov_b32 s58, 0
	s_mov_b64 s[94:95], 0
                                        ; implicit-def: $sgpr30_sgpr31
                                        ; implicit-def: $sgpr34_sgpr35
	s_branch .LBB6_327
.LBB6_326:                              ;   in Loop: Header=BB6_327 Depth=4
	s_or_b64 exec, exec, s[38:39]
	s_and_b64 vcc, exec, vcc
	s_or_b64 s[94:95], vcc, s[94:95]
	s_andn2_b64 vcc, s[30:31], exec
	s_and_b64 s[30:31], s[34:35], exec
	s_or_b64 s[30:31], vcc, s[30:31]
	s_andn2_b64 exec, exec, s[94:95]
	s_cbranch_execz .LBB6_331
.LBB6_327:                              ;   Parent Loop BB6_47 Depth=1
                                        ;     Parent Loop BB6_269 Depth=2
                                        ;       Parent Loop BB6_272 Depth=3
                                        ; =>      This Inner Loop Header: Depth=4
	s_add_i32 s58, s58, 1
	s_cmpk_lg_i32 s58, 0x2710
	s_cselect_b64 s[36:37], -1, 0
	s_and_b64 vcc, exec, s[36:37]
	s_cbranch_vccz .LBB6_329
; %bb.328:                              ;   in Loop: Header=BB6_327 Depth=4
	s_mov_b64 vcc, -1
	s_or_b64 s[34:35], s[34:35], exec
	s_and_saveexec_b64 s[38:39], s[36:37]
	s_cbranch_execz .LBB6_326
	s_branch .LBB6_330
.LBB6_329:                              ;   in Loop: Header=BB6_327 Depth=4
	s_trap 2
	ds_read_b64 v[8:9], v0
	s_andn2_b64 s[36:37], s[36:37], exec
	s_mov_b32 s58, 0
	s_waitcnt lgkmcnt(0)
	flat_load_dword v0, v[8:9] glc
	s_waitcnt vmcnt(0) lgkmcnt(0)
	buffer_wbinvl1_vol
	v_cmp_eq_u32_e32 vcc, 0, v0
	s_and_b64 vcc, vcc, exec
	s_or_b64 s[36:37], s[36:37], vcc
	s_mov_b64 vcc, -1
	s_or_b64 s[34:35], s[34:35], exec
	s_and_saveexec_b64 s[38:39], s[36:37]
	s_cbranch_execz .LBB6_326
.LBB6_330:                              ;   in Loop: Header=BB6_327 Depth=4
	s_sleep 1
	s_trap 2
	ds_read_b64 v[8:9], v0
	s_waitcnt lgkmcnt(0)
	s_andn2_b64 s[34:35], s[34:35], exec
	v_cmp_ge_u64_e32 vcc, v[8:9], v[48:49]
	s_orn2_b64 vcc, vcc, exec
	s_branch .LBB6_326
.LBB6_331:                              ;   in Loop: Header=BB6_272 Depth=3
	s_or_b64 exec, exec, s[94:95]
	s_and_saveexec_b64 s[94:95], s[30:31]
	s_xor_b64 s[94:95], exec, s[94:95]
	s_cbranch_execz .LBB6_333
; %bb.332:                              ;   in Loop: Header=BB6_272 Depth=3
	ds_write_b32 v0, v60
	s_trap 2
.LBB6_333:                              ;   in Loop: Header=BB6_272 Depth=3
	s_or_b64 exec, exec, s[92:93]
	;;#ASMSTART
	s_wakeup
	;;#ASMEND
.LBB6_334:                              ;   in Loop: Header=BB6_272 Depth=3
	s_or_b64 exec, exec, s[90:91]
.LBB6_335:                              ;   in Loop: Header=BB6_272 Depth=3
	s_andn2_saveexec_b64 s[40:41], s[40:41]
	s_cbranch_execz .LBB6_337
; %bb.336:                              ;   in Loop: Header=BB6_272 Depth=3
	s_waitcnt vmcnt(0) lgkmcnt(0)
	buffer_wbinvl1_vol
	s_barrier
.LBB6_337:                              ;   in Loop: Header=BB6_272 Depth=3
	s_or_b64 exec, exec, s[40:41]
.LBB6_338:                              ;   in Loop: Header=BB6_272 Depth=3
	s_or_b64 exec, exec, s[28:29]
	s_trap 2
	ds_read_b64 v[28:29], v0
	s_waitcnt lgkmcnt(0)
	v_cmp_eq_u64_e32 vcc, 0, v[28:29]
	s_cbranch_vccnz .LBB6_346
; %bb.339:                              ;   in Loop: Header=BB6_272 Depth=3
	s_trap 2
	ds_read_b64 v[57:58], v0
	s_waitcnt lgkmcnt(0)
	v_cmp_eq_u64_e32 vcc, 0, v[57:58]
	s_cbranch_vccnz .LBB6_346
; %bb.340:                              ;   in Loop: Header=BB6_272 Depth=3
	s_trap 2
	ds_read_b64 v[8:9], v0
	s_mov_b64 s[40:41], -1
	s_waitcnt lgkmcnt(0)
	v_readfirstlane_b32 s34, v8
	s_and_saveexec_b64 s[28:29], s[22:23]
	s_cbranch_execz .LBB6_342
; %bb.341:                              ;   in Loop: Header=BB6_272 Depth=3
	ds_read_b32 v0, v0 offset:720
	s_waitcnt lgkmcnt(0)
	v_and_b32_e32 v0, 15, v0
	v_cmp_eq_u32_e32 vcc, 0, v0
	s_orn2_b64 s[40:41], vcc, exec
.LBB6_342:                              ;   in Loop: Header=BB6_272 Depth=3
	s_or_b64 exec, exec, s[28:29]
	s_and_saveexec_b64 s[28:29], s[20:21]
	s_cbranch_execz .LBB6_344
; %bb.343:                              ;   in Loop: Header=BB6_272 Depth=3
	ds_read_b32 v0, v0 offset:784
	s_waitcnt lgkmcnt(0)
	v_and_b32_e32 v0, 15, v0
	v_cmp_eq_u32_e32 vcc, 0, v0
	s_and_b64 s[90:91], s[40:41], vcc
	s_andn2_b64 s[40:41], s[40:41], exec
	s_and_b64 s[90:91], s[90:91], exec
	s_or_b64 s[40:41], s[40:41], s[90:91]
.LBB6_344:                              ;   in Loop: Header=BB6_272 Depth=3
	s_or_b64 exec, exec, s[28:29]
	v_cmp_eq_u32_e32 vcc, 0, v3
	s_xor_b64 s[40:41], s[40:41], -1
	v_cndmask_b32_e32 v53, 0, v46, vcc
	v_cndmask_b32_e64 v0, 0, 1, s[40:41]
	v_lshlrev_b32_e32 v47, 1, v53
	s_mov_b64 s[28:29], -1
	v_cmp_ne_u32_e32 vcc, 0, v0
	v_mov_b32_e32 v12, 0
	s_cbranch_vccz .LBB6_351
; %bb.345:                              ;   in Loop: Header=BB6_272 Depth=3
	v_mov_b32_e32 v13, v44
	s_and_saveexec_b64 s[40:41], s[28:29]
	s_cbranch_execnz .LBB6_458
	s_branch .LBB6_502
.LBB6_346:                              ;   in Loop: Header=BB6_272 Depth=3
	s_mov_b64 s[28:29], 0
	s_and_saveexec_b64 s[40:41], s[10:11]
	s_cbranch_execnz .LBB6_503
.LBB6_347:                              ;   in Loop: Header=BB6_272 Depth=3
	s_or_b64 exec, exec, s[40:41]
                                        ; implicit-def: $vgpr3
	s_and_saveexec_b64 s[40:41], s[24:25]
	s_xor_b64 s[40:41], exec, s[40:41]
	s_cbranch_execz .LBB6_521
.LBB6_348:                              ;   in Loop: Header=BB6_272 Depth=3
	v_and_b32_e32 v0, 16, v62
	v_cmp_ne_u32_e32 vcc, 0, v0
	v_and_b32_e32 v3, 16, v62
	s_and_b64 s[90:91], vcc, s[28:29]
	s_and_saveexec_b64 s[28:29], s[90:91]
	s_cbranch_execz .LBB6_350
; %bb.349:                              ;   in Loop: Header=BB6_272 Depth=3
	v_mov_b32_e32 v3, 1
	s_waitcnt vmcnt(0) lgkmcnt(0)
	buffer_wbinvl1_vol
.LBB6_350:                              ;   in Loop: Header=BB6_272 Depth=3
	s_or_b64 exec, exec, s[28:29]
	s_andn2_saveexec_b64 s[28:29], s[40:41]
	s_cbranch_execz .LBB6_540
	s_branch .LBB6_522
.LBB6_351:                              ;   in Loop: Header=BB6_272 Depth=3
	v_ashrrev_i32_e32 v0, 31, v47
	v_lshrrev_b32_e32 v0, 21, v0
	v_add_u32_e32 v0, v47, v0
	v_ashrrev_i32_e32 v54, 11, v0
	buffer_load_dword v0, off, s[0:3], s33 offset:108 ; 4-byte Folded Reload
	s_waitcnt vmcnt(0)
	v_sub_u32_e32 v61, v54, v0
	v_cmp_lt_i32_e32 vcc, 0, v61
	s_and_saveexec_b64 s[40:41], vcc
	s_cbranch_execz .LBB6_419
; %bb.352:                              ;   in Loop: Header=BB6_272 Depth=3
	s_trap 2
	ds_read_b64 v[8:9], v0
	buffer_load_dword v0, off, s[0:3], s33 offset:136 ; 4-byte Folded Reload
	s_and_b32 s58, s34, 1
	s_cmp_eq_u64 s[58:59], 0
	s_mov_b64 s[90:91], 0
	s_waitcnt vmcnt(0)
	v_add_co_u32_e32 v3, vcc, v28, v0
	v_addc_co_u32_e32 v4, vcc, 0, v29, vcc
	s_waitcnt lgkmcnt(0)
	v_add_co_u32_e32 v24, vcc, v8, v0
	v_addc_co_u32_e32 v25, vcc, 0, v9, vcc
	v_add_co_u32_e32 v30, vcc, v57, v0
	v_addc_co_u32_e32 v31, vcc, 0, v58, vcc
	s_cselect_b64 vcc, -1, 0
	s_branch .LBB6_354
.LBB6_353:                              ;   in Loop: Header=BB6_354 Depth=4
	s_or_b64 exec, exec, s[92:93]
	v_lshrrev_b32_e32 v0, 16, v20
	v_and_or_b32 v17, v17, s68, v0
	v_lshrrev_b32_e32 v0, 16, v55
	v_and_or_b32 v16, v16, s68, v0
	;; [unrolled: 2-line block ×3, first 2 shown]
	v_lshrrev_b32_e32 v0, 16, v22
	v_add_co_u32_e64 v3, s[28:29], v3, v59
	v_and_or_b32 v19, v19, s68, v0
	v_lshrrev_b32_e32 v0, 16, v12
	v_addc_co_u32_e64 v4, s[28:29], 0, v4, s[28:29]
	v_and_or_b32 v9, v9, s68, v0
	v_lshrrev_b32_e32 v0, 16, v23
	v_add_co_u32_e64 v24, s[28:29], v24, v59
	v_and_or_b32 v8, v8, s68, v0
	v_lshrrev_b32_e32 v0, 16, v13
	v_addc_co_u32_e64 v25, s[28:29], 0, v25, s[28:29]
	v_sub_u32_e32 v61, v61, v51
	v_and_or_b32 v10, v10, s68, v0
	v_lshrrev_b32_e32 v0, 16, v14
	v_cmp_gt_i32_e64 s[28:29], 1, v61
	v_and_or_b32 v11, v11, s68, v0
	global_store_dwordx4 v[30:31], v[16:19], off glc slc
	global_store_dwordx4 v[30:31], v[8:11], off offset:1024 glc slc
	s_or_b64 s[90:91], s[28:29], s[90:91]
	v_add_co_u32_e64 v30, s[28:29], v30, v59
	v_addc_co_u32_e64 v31, s[28:29], 0, v31, s[28:29]
	s_andn2_b64 exec, exec, s[90:91]
	s_cbranch_execz .LBB6_418
.LBB6_354:                              ;   Parent Loop BB6_47 Depth=1
                                        ;     Parent Loop BB6_269 Depth=2
                                        ;       Parent Loop BB6_272 Depth=3
                                        ; =>      This Inner Loop Header: Depth=4
	global_load_dwordx4 v[16:19], v[3:4], off glc slc
	global_load_dwordx4 v[20:23], v[24:25], off glc slc
	global_load_dwordx4 v[8:11], v[3:4], off offset:1024 glc slc
	global_load_dwordx4 v[12:15], v[24:25], off offset:1024 glc slc
                                        ; implicit-def: $vgpr55
	s_waitcnt vmcnt(3)
	v_lshlrev_b32_e32 v0, 16, v16
	s_waitcnt vmcnt(2)
	v_lshlrev_b32_e32 v34, 16, v20
	v_max_f32_e32 v34, v34, v34
	v_max_f32_e32 v0, v0, v0
	v_min_f32_e32 v35, v0, v34
	v_max_f32_e32 v0, v0, v34
	v_cndmask_b32_e32 v60, v0, v35, vcc
	v_and_b32_e32 v0, 0x7f800000, v60
	v_cmp_ne_u32_e64 s[28:29], s66, v0
	s_and_saveexec_b64 s[92:93], s[28:29]
	s_xor_b64 s[28:29], exec, s[92:93]
; %bb.355:                              ;   in Loop: Header=BB6_354 Depth=4
	v_bfe_u32 v0, v60, 16, 1
	v_add3_u32 v55, v60, v0, s67
                                        ; implicit-def: $vgpr60
; %bb.356:                              ;   in Loop: Header=BB6_354 Depth=4
	s_andn2_saveexec_b64 s[92:93], s[28:29]
; %bb.357:                              ;   in Loop: Header=BB6_354 Depth=4
	v_or_b32_e32 v0, 0x10000, v60
	v_cmp_eq_u32_sdwa s[28:29], v60, v2 src0_sel:WORD_0 src1_sel:DWORD
	v_cndmask_b32_e64 v55, v0, v60, s[28:29]
; %bb.358:                              ;   in Loop: Header=BB6_354 Depth=4
	s_or_b64 exec, exec, s[92:93]
	v_and_b32_e32 v0, 0xffff0000, v16
	v_and_b32_e32 v16, 0xffff0000, v20
	v_max_f32_e32 v16, v16, v16
	v_max_f32_e32 v0, v0, v0
	v_min_f32_e32 v20, v0, v16
	v_max_f32_e32 v0, v0, v16
	v_cndmask_b32_e32 v20, v0, v20, vcc
	v_and_b32_e32 v0, 0x7f800000, v20
	v_cmp_ne_u32_e64 s[28:29], s66, v0
                                        ; implicit-def: $vgpr16
	s_and_saveexec_b64 s[92:93], s[28:29]
	s_xor_b64 s[28:29], exec, s[92:93]
; %bb.359:                              ;   in Loop: Header=BB6_354 Depth=4
	v_bfe_u32 v0, v20, 16, 1
	v_add3_u32 v16, v20, v0, s67
                                        ; implicit-def: $vgpr20
; %bb.360:                              ;   in Loop: Header=BB6_354 Depth=4
	s_andn2_saveexec_b64 s[92:93], s[28:29]
; %bb.361:                              ;   in Loop: Header=BB6_354 Depth=4
	v_or_b32_e32 v0, 0x10000, v20
	v_cmp_eq_u32_sdwa s[28:29], v20, v2 src0_sel:WORD_0 src1_sel:DWORD
	v_cndmask_b32_e64 v16, v0, v20, s[28:29]
; %bb.362:                              ;   in Loop: Header=BB6_354 Depth=4
	s_or_b64 exec, exec, s[92:93]
	v_lshlrev_b32_e32 v0, 16, v17
	v_lshlrev_b32_e32 v20, 16, v21
	v_max_f32_e32 v20, v20, v20
	v_max_f32_e32 v0, v0, v0
	v_min_f32_e32 v34, v0, v20
	v_max_f32_e32 v0, v0, v20
	v_cndmask_b32_e32 v60, v0, v34, vcc
	v_and_b32_e32 v0, 0x7f800000, v60
	v_cmp_ne_u32_e64 s[28:29], s66, v0
                                        ; implicit-def: $vgpr20
	s_and_saveexec_b64 s[92:93], s[28:29]
	s_xor_b64 s[28:29], exec, s[92:93]
; %bb.363:                              ;   in Loop: Header=BB6_354 Depth=4
	v_bfe_u32 v0, v60, 16, 1
	v_add3_u32 v20, v60, v0, s67
                                        ; implicit-def: $vgpr60
; %bb.364:                              ;   in Loop: Header=BB6_354 Depth=4
	s_andn2_saveexec_b64 s[92:93], s[28:29]
; %bb.365:                              ;   in Loop: Header=BB6_354 Depth=4
	v_or_b32_e32 v0, 0x10000, v60
	v_cmp_eq_u32_sdwa s[28:29], v60, v2 src0_sel:WORD_0 src1_sel:DWORD
	v_cndmask_b32_e64 v20, v0, v60, s[28:29]
; %bb.366:                              ;   in Loop: Header=BB6_354 Depth=4
	s_or_b64 exec, exec, s[92:93]
	v_and_b32_e32 v0, 0xffff0000, v17
	v_and_b32_e32 v17, 0xffff0000, v21
	v_max_f32_e32 v17, v17, v17
	v_max_f32_e32 v0, v0, v0
	v_min_f32_e32 v21, v0, v17
	v_max_f32_e32 v0, v0, v17
	v_cndmask_b32_e32 v21, v0, v21, vcc
	v_and_b32_e32 v0, 0x7f800000, v21
	v_cmp_ne_u32_e64 s[28:29], s66, v0
                                        ; implicit-def: $vgpr17
	s_and_saveexec_b64 s[92:93], s[28:29]
	s_xor_b64 s[28:29], exec, s[92:93]
; %bb.367:                              ;   in Loop: Header=BB6_354 Depth=4
	v_bfe_u32 v0, v21, 16, 1
	v_add3_u32 v17, v21, v0, s67
                                        ; implicit-def: $vgpr21
; %bb.368:                              ;   in Loop: Header=BB6_354 Depth=4
	s_andn2_saveexec_b64 s[92:93], s[28:29]
; %bb.369:                              ;   in Loop: Header=BB6_354 Depth=4
	v_or_b32_e32 v0, 0x10000, v21
	v_cmp_eq_u32_sdwa s[28:29], v21, v2 src0_sel:WORD_0 src1_sel:DWORD
	v_cndmask_b32_e64 v17, v0, v21, s[28:29]
; %bb.370:                              ;   in Loop: Header=BB6_354 Depth=4
	s_or_b64 exec, exec, s[92:93]
	v_lshlrev_b32_e32 v0, 16, v18
	v_lshlrev_b32_e32 v21, 16, v22
	v_max_f32_e32 v21, v21, v21
	v_max_f32_e32 v0, v0, v0
	v_min_f32_e32 v34, v0, v21
	v_max_f32_e32 v0, v0, v21
	v_cndmask_b32_e32 v60, v0, v34, vcc
	v_and_b32_e32 v0, 0x7f800000, v60
	v_cmp_ne_u32_e64 s[28:29], s66, v0
                                        ; implicit-def: $vgpr21
	s_and_saveexec_b64 s[92:93], s[28:29]
	s_xor_b64 s[28:29], exec, s[92:93]
; %bb.371:                              ;   in Loop: Header=BB6_354 Depth=4
	v_bfe_u32 v0, v60, 16, 1
	v_add3_u32 v21, v60, v0, s67
                                        ; implicit-def: $vgpr60
; %bb.372:                              ;   in Loop: Header=BB6_354 Depth=4
	s_andn2_saveexec_b64 s[92:93], s[28:29]
; %bb.373:                              ;   in Loop: Header=BB6_354 Depth=4
	v_or_b32_e32 v0, 0x10000, v60
	v_cmp_eq_u32_sdwa s[28:29], v60, v2 src0_sel:WORD_0 src1_sel:DWORD
	v_cndmask_b32_e64 v21, v0, v60, s[28:29]
; %bb.374:                              ;   in Loop: Header=BB6_354 Depth=4
	s_or_b64 exec, exec, s[92:93]
	v_and_b32_e32 v0, 0xffff0000, v18
	v_and_b32_e32 v18, 0xffff0000, v22
	v_max_f32_e32 v18, v18, v18
	v_max_f32_e32 v0, v0, v0
	v_min_f32_e32 v22, v0, v18
	v_max_f32_e32 v0, v0, v18
	v_cndmask_b32_e32 v22, v0, v22, vcc
	v_and_b32_e32 v0, 0x7f800000, v22
	v_cmp_ne_u32_e64 s[28:29], s66, v0
                                        ; implicit-def: $vgpr18
	s_and_saveexec_b64 s[92:93], s[28:29]
	s_xor_b64 s[28:29], exec, s[92:93]
; %bb.375:                              ;   in Loop: Header=BB6_354 Depth=4
	v_bfe_u32 v0, v22, 16, 1
	v_add3_u32 v18, v22, v0, s67
                                        ; implicit-def: $vgpr22
; %bb.376:                              ;   in Loop: Header=BB6_354 Depth=4
	s_andn2_saveexec_b64 s[92:93], s[28:29]
; %bb.377:                              ;   in Loop: Header=BB6_354 Depth=4
	v_or_b32_e32 v0, 0x10000, v22
	v_cmp_eq_u32_sdwa s[28:29], v22, v2 src0_sel:WORD_0 src1_sel:DWORD
	v_cndmask_b32_e64 v18, v0, v22, s[28:29]
; %bb.378:                              ;   in Loop: Header=BB6_354 Depth=4
	s_or_b64 exec, exec, s[92:93]
	v_lshlrev_b32_e32 v0, 16, v19
	v_lshlrev_b32_e32 v22, 16, v23
	v_max_f32_e32 v22, v22, v22
	v_max_f32_e32 v0, v0, v0
	v_min_f32_e32 v34, v0, v22
	v_max_f32_e32 v0, v0, v22
	v_cndmask_b32_e32 v60, v0, v34, vcc
	v_and_b32_e32 v0, 0x7f800000, v60
	v_cmp_ne_u32_e64 s[28:29], s66, v0
                                        ; implicit-def: $vgpr22
	s_and_saveexec_b64 s[92:93], s[28:29]
	s_xor_b64 s[28:29], exec, s[92:93]
; %bb.379:                              ;   in Loop: Header=BB6_354 Depth=4
	v_bfe_u32 v0, v60, 16, 1
	v_add3_u32 v22, v60, v0, s67
                                        ; implicit-def: $vgpr60
; %bb.380:                              ;   in Loop: Header=BB6_354 Depth=4
	s_andn2_saveexec_b64 s[92:93], s[28:29]
; %bb.381:                              ;   in Loop: Header=BB6_354 Depth=4
	v_or_b32_e32 v0, 0x10000, v60
	v_cmp_eq_u32_sdwa s[28:29], v60, v2 src0_sel:WORD_0 src1_sel:DWORD
	v_cndmask_b32_e64 v22, v0, v60, s[28:29]
; %bb.382:                              ;   in Loop: Header=BB6_354 Depth=4
	s_or_b64 exec, exec, s[92:93]
	v_and_b32_e32 v0, 0xffff0000, v19
	v_and_b32_e32 v19, 0xffff0000, v23
	v_max_f32_e32 v19, v19, v19
	v_max_f32_e32 v0, v0, v0
	v_min_f32_e32 v23, v0, v19
	v_max_f32_e32 v0, v0, v19
	v_cndmask_b32_e32 v23, v0, v23, vcc
	v_and_b32_e32 v0, 0x7f800000, v23
	v_cmp_ne_u32_e64 s[28:29], s66, v0
                                        ; implicit-def: $vgpr19
	s_and_saveexec_b64 s[92:93], s[28:29]
	s_xor_b64 s[28:29], exec, s[92:93]
; %bb.383:                              ;   in Loop: Header=BB6_354 Depth=4
	v_bfe_u32 v0, v23, 16, 1
	v_add3_u32 v19, v23, v0, s67
                                        ; implicit-def: $vgpr23
; %bb.384:                              ;   in Loop: Header=BB6_354 Depth=4
	s_andn2_saveexec_b64 s[92:93], s[28:29]
; %bb.385:                              ;   in Loop: Header=BB6_354 Depth=4
	v_or_b32_e32 v0, 0x10000, v23
	v_cmp_eq_u32_sdwa s[28:29], v23, v2 src0_sel:WORD_0 src1_sel:DWORD
	v_cndmask_b32_e64 v19, v0, v23, s[28:29]
; %bb.386:                              ;   in Loop: Header=BB6_354 Depth=4
	s_or_b64 exec, exec, s[92:93]
	s_waitcnt vmcnt(1)
	v_lshlrev_b32_e32 v0, 16, v8
	s_waitcnt vmcnt(0)
	v_lshlrev_b32_e32 v23, 16, v12
	v_max_f32_e32 v23, v23, v23
	v_max_f32_e32 v0, v0, v0
	v_min_f32_e32 v34, v0, v23
	v_max_f32_e32 v0, v0, v23
	v_cndmask_b32_e32 v60, v0, v34, vcc
	v_and_b32_e32 v0, 0x7f800000, v60
	v_cmp_ne_u32_e64 s[28:29], s66, v0
                                        ; implicit-def: $vgpr23
	s_and_saveexec_b64 s[92:93], s[28:29]
	s_xor_b64 s[28:29], exec, s[92:93]
; %bb.387:                              ;   in Loop: Header=BB6_354 Depth=4
	v_bfe_u32 v0, v60, 16, 1
	v_add3_u32 v23, v60, v0, s67
                                        ; implicit-def: $vgpr60
; %bb.388:                              ;   in Loop: Header=BB6_354 Depth=4
	s_andn2_saveexec_b64 s[92:93], s[28:29]
; %bb.389:                              ;   in Loop: Header=BB6_354 Depth=4
	v_or_b32_e32 v0, 0x10000, v60
	v_cmp_eq_u32_sdwa s[28:29], v60, v2 src0_sel:WORD_0 src1_sel:DWORD
	v_cndmask_b32_e64 v23, v0, v60, s[28:29]
; %bb.390:                              ;   in Loop: Header=BB6_354 Depth=4
	s_or_b64 exec, exec, s[92:93]
	v_and_b32_e32 v0, 0xffff0000, v8
	v_and_b32_e32 v8, 0xffff0000, v12
	v_max_f32_e32 v8, v8, v8
	v_max_f32_e32 v0, v0, v0
	v_min_f32_e32 v12, v0, v8
	v_max_f32_e32 v0, v0, v8
	v_cndmask_b32_e32 v12, v0, v12, vcc
	v_and_b32_e32 v0, 0x7f800000, v12
	v_cmp_ne_u32_e64 s[28:29], s66, v0
                                        ; implicit-def: $vgpr8
	s_and_saveexec_b64 s[92:93], s[28:29]
	s_xor_b64 s[28:29], exec, s[92:93]
; %bb.391:                              ;   in Loop: Header=BB6_354 Depth=4
	v_bfe_u32 v0, v12, 16, 1
	v_add3_u32 v8, v12, v0, s67
                                        ; implicit-def: $vgpr12
; %bb.392:                              ;   in Loop: Header=BB6_354 Depth=4
	s_andn2_saveexec_b64 s[92:93], s[28:29]
; %bb.393:                              ;   in Loop: Header=BB6_354 Depth=4
	v_or_b32_e32 v0, 0x10000, v12
	v_cmp_eq_u32_sdwa s[28:29], v12, v2 src0_sel:WORD_0 src1_sel:DWORD
	v_cndmask_b32_e64 v8, v0, v12, s[28:29]
; %bb.394:                              ;   in Loop: Header=BB6_354 Depth=4
	s_or_b64 exec, exec, s[92:93]
	v_lshlrev_b32_e32 v0, 16, v9
	v_lshlrev_b32_e32 v12, 16, v13
	v_max_f32_e32 v12, v12, v12
	v_max_f32_e32 v0, v0, v0
	v_min_f32_e32 v34, v0, v12
	v_max_f32_e32 v0, v0, v12
	v_cndmask_b32_e32 v60, v0, v34, vcc
	v_and_b32_e32 v0, 0x7f800000, v60
	v_cmp_ne_u32_e64 s[28:29], s66, v0
                                        ; implicit-def: $vgpr12
	s_and_saveexec_b64 s[92:93], s[28:29]
	s_xor_b64 s[28:29], exec, s[92:93]
; %bb.395:                              ;   in Loop: Header=BB6_354 Depth=4
	v_bfe_u32 v0, v60, 16, 1
	v_add3_u32 v12, v60, v0, s67
                                        ; implicit-def: $vgpr60
; %bb.396:                              ;   in Loop: Header=BB6_354 Depth=4
	s_andn2_saveexec_b64 s[92:93], s[28:29]
; %bb.397:                              ;   in Loop: Header=BB6_354 Depth=4
	v_or_b32_e32 v0, 0x10000, v60
	v_cmp_eq_u32_sdwa s[28:29], v60, v2 src0_sel:WORD_0 src1_sel:DWORD
	v_cndmask_b32_e64 v12, v0, v60, s[28:29]
; %bb.398:                              ;   in Loop: Header=BB6_354 Depth=4
	s_or_b64 exec, exec, s[92:93]
	v_and_b32_e32 v0, 0xffff0000, v9
	v_and_b32_e32 v9, 0xffff0000, v13
	v_max_f32_e32 v9, v9, v9
	v_max_f32_e32 v0, v0, v0
	v_min_f32_e32 v13, v0, v9
	v_max_f32_e32 v0, v0, v9
	v_cndmask_b32_e32 v13, v0, v13, vcc
	v_and_b32_e32 v0, 0x7f800000, v13
	v_cmp_ne_u32_e64 s[28:29], s66, v0
                                        ; implicit-def: $vgpr9
	s_and_saveexec_b64 s[92:93], s[28:29]
	s_xor_b64 s[28:29], exec, s[92:93]
; %bb.399:                              ;   in Loop: Header=BB6_354 Depth=4
	v_bfe_u32 v0, v13, 16, 1
	v_add3_u32 v9, v13, v0, s67
                                        ; implicit-def: $vgpr13
; %bb.400:                              ;   in Loop: Header=BB6_354 Depth=4
	s_andn2_saveexec_b64 s[92:93], s[28:29]
; %bb.401:                              ;   in Loop: Header=BB6_354 Depth=4
	v_or_b32_e32 v0, 0x10000, v13
	v_cmp_eq_u32_sdwa s[28:29], v13, v2 src0_sel:WORD_0 src1_sel:DWORD
	v_cndmask_b32_e64 v9, v0, v13, s[28:29]
; %bb.402:                              ;   in Loop: Header=BB6_354 Depth=4
	s_or_b64 exec, exec, s[92:93]
	v_lshlrev_b32_e32 v0, 16, v10
	v_lshlrev_b32_e32 v13, 16, v14
	v_max_f32_e32 v13, v13, v13
	v_max_f32_e32 v0, v0, v0
	v_min_f32_e32 v34, v0, v13
	v_max_f32_e32 v0, v0, v13
	v_cndmask_b32_e32 v60, v0, v34, vcc
	v_and_b32_e32 v0, 0x7f800000, v60
	v_cmp_ne_u32_e64 s[28:29], s66, v0
                                        ; implicit-def: $vgpr13
	s_and_saveexec_b64 s[92:93], s[28:29]
	s_xor_b64 s[28:29], exec, s[92:93]
; %bb.403:                              ;   in Loop: Header=BB6_354 Depth=4
	v_bfe_u32 v0, v60, 16, 1
	v_add3_u32 v13, v60, v0, s67
                                        ; implicit-def: $vgpr60
; %bb.404:                              ;   in Loop: Header=BB6_354 Depth=4
	s_andn2_saveexec_b64 s[92:93], s[28:29]
; %bb.405:                              ;   in Loop: Header=BB6_354 Depth=4
	v_or_b32_e32 v0, 0x10000, v60
	v_cmp_eq_u32_sdwa s[28:29], v60, v2 src0_sel:WORD_0 src1_sel:DWORD
	v_cndmask_b32_e64 v13, v0, v60, s[28:29]
; %bb.406:                              ;   in Loop: Header=BB6_354 Depth=4
	s_or_b64 exec, exec, s[92:93]
	v_and_b32_e32 v0, 0xffff0000, v10
	v_and_b32_e32 v10, 0xffff0000, v14
	v_max_f32_e32 v10, v10, v10
	v_max_f32_e32 v0, v0, v0
	v_min_f32_e32 v14, v0, v10
	v_max_f32_e32 v0, v0, v10
	v_cndmask_b32_e32 v14, v0, v14, vcc
	v_and_b32_e32 v0, 0x7f800000, v14
	v_cmp_ne_u32_e64 s[28:29], s66, v0
                                        ; implicit-def: $vgpr10
	s_and_saveexec_b64 s[92:93], s[28:29]
	s_xor_b64 s[28:29], exec, s[92:93]
; %bb.407:                              ;   in Loop: Header=BB6_354 Depth=4
	v_bfe_u32 v0, v14, 16, 1
	v_add3_u32 v10, v14, v0, s67
                                        ; implicit-def: $vgpr14
; %bb.408:                              ;   in Loop: Header=BB6_354 Depth=4
	s_andn2_saveexec_b64 s[92:93], s[28:29]
; %bb.409:                              ;   in Loop: Header=BB6_354 Depth=4
	v_or_b32_e32 v0, 0x10000, v14
	v_cmp_eq_u32_sdwa s[28:29], v14, v2 src0_sel:WORD_0 src1_sel:DWORD
	v_cndmask_b32_e64 v10, v0, v14, s[28:29]
; %bb.410:                              ;   in Loop: Header=BB6_354 Depth=4
	s_or_b64 exec, exec, s[92:93]
	v_lshlrev_b32_e32 v0, 16, v11
	v_lshlrev_b32_e32 v14, 16, v15
	v_max_f32_e32 v14, v14, v14
	v_max_f32_e32 v0, v0, v0
	v_min_f32_e32 v34, v0, v14
	v_max_f32_e32 v0, v0, v14
	v_cndmask_b32_e32 v60, v0, v34, vcc
	v_and_b32_e32 v0, 0x7f800000, v60
	v_cmp_ne_u32_e64 s[28:29], s66, v0
                                        ; implicit-def: $vgpr14
	s_and_saveexec_b64 s[92:93], s[28:29]
	s_xor_b64 s[28:29], exec, s[92:93]
; %bb.411:                              ;   in Loop: Header=BB6_354 Depth=4
	v_bfe_u32 v0, v60, 16, 1
	v_add3_u32 v14, v60, v0, s67
                                        ; implicit-def: $vgpr60
; %bb.412:                              ;   in Loop: Header=BB6_354 Depth=4
	s_andn2_saveexec_b64 s[92:93], s[28:29]
; %bb.413:                              ;   in Loop: Header=BB6_354 Depth=4
	v_or_b32_e32 v0, 0x10000, v60
	v_cmp_eq_u32_sdwa s[28:29], v60, v2 src0_sel:WORD_0 src1_sel:DWORD
	v_cndmask_b32_e64 v14, v0, v60, s[28:29]
; %bb.414:                              ;   in Loop: Header=BB6_354 Depth=4
	s_or_b64 exec, exec, s[92:93]
	v_and_b32_e32 v0, 0xffff0000, v11
	v_and_b32_e32 v11, 0xffff0000, v15
	v_max_f32_e32 v11, v11, v11
	v_max_f32_e32 v0, v0, v0
	v_min_f32_e32 v15, v0, v11
	v_max_f32_e32 v0, v0, v11
	v_cndmask_b32_e32 v15, v0, v15, vcc
	v_and_b32_e32 v0, 0x7f800000, v15
	v_cmp_ne_u32_e64 s[28:29], s66, v0
                                        ; implicit-def: $vgpr11
	s_and_saveexec_b64 s[92:93], s[28:29]
	s_xor_b64 s[28:29], exec, s[92:93]
; %bb.415:                              ;   in Loop: Header=BB6_354 Depth=4
	v_bfe_u32 v0, v15, 16, 1
	v_add3_u32 v11, v15, v0, s67
                                        ; implicit-def: $vgpr15
; %bb.416:                              ;   in Loop: Header=BB6_354 Depth=4
	s_andn2_saveexec_b64 s[92:93], s[28:29]
	s_cbranch_execz .LBB6_353
; %bb.417:                              ;   in Loop: Header=BB6_354 Depth=4
	v_or_b32_e32 v0, 0x10000, v15
	v_cmp_eq_u32_sdwa s[28:29], v15, v2 src0_sel:WORD_0 src1_sel:DWORD
	v_cndmask_b32_e64 v11, v0, v15, s[28:29]
	s_branch .LBB6_353
.LBB6_418:                              ;   in Loop: Header=BB6_272 Depth=3
	s_or_b64 exec, exec, s[90:91]
	v_mov_b32_e32 v60, 1
.LBB6_419:                              ;   in Loop: Header=BB6_272 Depth=3
	s_or_b64 exec, exec, s[40:41]
	v_lshlrev_b32_e32 v20, 11, v54
	v_cmp_ne_u32_e32 vcc, v47, v20
	s_mov_b64 s[28:29], 0
	v_mov_b32_e32 v12, 0
                                        ; implicit-def: $vgpr13
	s_and_saveexec_b64 s[90:91], vcc
	s_cbranch_execz .LBB6_457
; %bb.420:                              ;   in Loop: Header=BB6_272 Depth=3
	buffer_load_dword v4, off, s[0:3], s33 offset:140 ; 4-byte Folded Reload
	v_lshlrev_b32_e32 v0, 6, v61
	v_sub_u32_e32 v3, v47, v20
	s_waitcnt vmcnt(0)
	v_sub_u32_e32 v0, v4, v0
	v_ashrrev_i32_e32 v4, 31, v0
	v_lshrrev_b32_e32 v4, 26, v4
	v_add_u32_e32 v4, v0, v4
	v_ashrrev_i32_e32 v8, 6, v4
	v_and_b32_e32 v4, 0xffffffc0, v4
	v_sub_u32_e32 v21, v0, v4
	v_ashrrev_i32_e32 v4, 31, v3
	v_lshrrev_b32_e32 v4, 22, v4
	v_add_u32_e32 v4, v3, v4
	v_and_b32_e32 v22, 0xfffffc00, v4
	v_lshlrev_b32_e32 v0, 4, v21
	v_sub_u32_e32 v23, v3, v22
	v_lshl_add_u32 v0, v8, 10, v0
	v_ashrrev_i32_e32 v9, 10, v4
	v_cmp_lt_i32_e32 vcc, 15, v23
	v_sub_u32_e32 v25, v3, v0
	v_addc_co_u32_e64 v3, s[28:29], 0, v9, vcc
	v_sub_u32_e32 v24, v3, v8
	v_cmp_lt_i32_e64 s[28:29], 15, v25
	s_and_saveexec_b64 s[92:93], s[28:29]
	s_cbranch_execz .LBB6_456
; %bb.421:                              ;   in Loop: Header=BB6_272 Depth=3
	v_add_u32_e32 v0, v0, v20
	s_trap 2
	ds_read_b64 v[8:9], v0
	v_ashrrev_i32_e32 v10, 31, v0
	v_add_co_u32_e64 v3, s[28:29], v0, v28
	v_addc_co_u32_e64 v4, s[28:29], v10, v29, s[28:29]
	s_waitcnt lgkmcnt(0)
	v_add_co_u32_e64 v16, s[28:29], v8, v0
	v_addc_co_u32_e64 v17, s[28:29], v9, v10, s[28:29]
	v_add_co_u32_e64 v18, s[28:29], v0, v57
	s_and_b32 s58, s34, 1
	v_addc_co_u32_e64 v19, s[28:29], v10, v58, s[28:29]
	s_cmp_eq_u64 s[58:59], 0
	s_mov_b64 s[94:95], 0
	s_cselect_b64 s[28:29], -1, 0
	s_branch .LBB6_423
.LBB6_422:                              ;   in Loop: Header=BB6_423 Depth=4
	s_or_b64 exec, exec, s[30:31]
	v_lshrrev_b32_e32 v0, 16, v12
	v_and_or_b32 v9, v9, s68, v0
	v_lshrrev_b32_e32 v0, 16, v30
	v_add_co_u32_e64 v3, s[40:41], v3, v43
	v_and_or_b32 v8, v8, s68, v0
	v_lshrrev_b32_e32 v0, 16, v13
	v_addc_co_u32_e64 v4, s[40:41], 0, v4, s[40:41]
	v_and_or_b32 v10, v10, s68, v0
	v_lshrrev_b32_e32 v0, 16, v14
	v_add_co_u32_e64 v16, s[40:41], v16, v43
	v_and_or_b32 v11, v11, s68, v0
	v_addc_co_u32_e64 v17, s[40:41], 0, v17, s[40:41]
	global_store_dwordx4 v[18:19], v[8:11], off glc slc
	v_add_co_u32_e64 v18, s[40:41], v18, v43
	v_addc_co_u32_e64 v19, s[40:41], 0, v19, s[40:41]
	v_sub_u32_e32 v25, v25, v43
	v_cmp_gt_i32_e64 s[40:41], 16, v25
	s_or_b64 s[94:95], s[40:41], s[94:95]
	v_sub_u32_e32 v24, v24, v51
	s_andn2_b64 exec, exec, s[94:95]
	s_cbranch_execz .LBB6_455
.LBB6_423:                              ;   Parent Loop BB6_47 Depth=1
                                        ;     Parent Loop BB6_269 Depth=2
                                        ;       Parent Loop BB6_272 Depth=3
                                        ; =>      This Inner Loop Header: Depth=4
	global_load_dwordx4 v[8:11], v[16:17], off glc slc
	global_load_dwordx4 v[12:15], v[3:4], off glc slc
	s_waitcnt vmcnt(1)
	v_lshlrev_b32_e32 v0, 16, v8
	s_waitcnt vmcnt(0)
	v_lshlrev_b32_e32 v30, 16, v12
	v_max_f32_e32 v0, v0, v0
	v_max_f32_e32 v30, v30, v30
	v_min_f32_e32 v31, v30, v0
	v_max_f32_e32 v0, v30, v0
	v_cndmask_b32_e64 v31, v0, v31, s[28:29]
	v_and_b32_e32 v0, 0x7f800000, v31
	v_cmp_ne_u32_e64 s[40:41], s66, v0
                                        ; implicit-def: $vgpr30
	s_and_saveexec_b64 s[30:31], s[40:41]
	s_xor_b64 s[40:41], exec, s[30:31]
; %bb.424:                              ;   in Loop: Header=BB6_423 Depth=4
	v_bfe_u32 v0, v31, 16, 1
	v_add3_u32 v30, v31, v0, s67
                                        ; implicit-def: $vgpr31
; %bb.425:                              ;   in Loop: Header=BB6_423 Depth=4
	s_andn2_saveexec_b64 s[30:31], s[40:41]
; %bb.426:                              ;   in Loop: Header=BB6_423 Depth=4
	v_or_b32_e32 v0, 0x10000, v31
	v_cmp_eq_u32_sdwa s[40:41], v31, v2 src0_sel:WORD_0 src1_sel:DWORD
	v_cndmask_b32_e64 v30, v0, v31, s[40:41]
; %bb.427:                              ;   in Loop: Header=BB6_423 Depth=4
	s_or_b64 exec, exec, s[30:31]
	v_and_b32_e32 v0, 0xffff0000, v8
	v_and_b32_e32 v8, 0xffff0000, v12
	v_max_f32_e32 v0, v0, v0
	v_max_f32_e32 v8, v8, v8
	v_min_f32_e32 v12, v8, v0
	v_max_f32_e32 v0, v8, v0
	v_cndmask_b32_e64 v12, v0, v12, s[28:29]
	v_and_b32_e32 v0, 0x7f800000, v12
	v_cmp_ne_u32_e64 s[40:41], s66, v0
                                        ; implicit-def: $vgpr8
	s_and_saveexec_b64 s[30:31], s[40:41]
	s_xor_b64 s[40:41], exec, s[30:31]
; %bb.428:                              ;   in Loop: Header=BB6_423 Depth=4
	v_bfe_u32 v0, v12, 16, 1
	v_add3_u32 v8, v12, v0, s67
                                        ; implicit-def: $vgpr12
; %bb.429:                              ;   in Loop: Header=BB6_423 Depth=4
	s_andn2_saveexec_b64 s[30:31], s[40:41]
; %bb.430:                              ;   in Loop: Header=BB6_423 Depth=4
	v_or_b32_e32 v0, 0x10000, v12
	v_cmp_eq_u32_sdwa s[40:41], v12, v2 src0_sel:WORD_0 src1_sel:DWORD
	v_cndmask_b32_e64 v8, v0, v12, s[40:41]
; %bb.431:                              ;   in Loop: Header=BB6_423 Depth=4
	s_or_b64 exec, exec, s[30:31]
	v_lshlrev_b32_e32 v0, 16, v9
	v_lshlrev_b32_e32 v12, 16, v13
	v_max_f32_e32 v0, v0, v0
	v_max_f32_e32 v12, v12, v12
	v_min_f32_e32 v31, v12, v0
	v_max_f32_e32 v0, v12, v0
	v_cndmask_b32_e64 v31, v0, v31, s[28:29]
	v_and_b32_e32 v0, 0x7f800000, v31
	v_cmp_ne_u32_e64 s[40:41], s66, v0
                                        ; implicit-def: $vgpr12
	s_and_saveexec_b64 s[30:31], s[40:41]
	s_xor_b64 s[40:41], exec, s[30:31]
; %bb.432:                              ;   in Loop: Header=BB6_423 Depth=4
	v_bfe_u32 v0, v31, 16, 1
	v_add3_u32 v12, v31, v0, s67
                                        ; implicit-def: $vgpr31
; %bb.433:                              ;   in Loop: Header=BB6_423 Depth=4
	s_andn2_saveexec_b64 s[30:31], s[40:41]
; %bb.434:                              ;   in Loop: Header=BB6_423 Depth=4
	v_or_b32_e32 v0, 0x10000, v31
	v_cmp_eq_u32_sdwa s[40:41], v31, v2 src0_sel:WORD_0 src1_sel:DWORD
	v_cndmask_b32_e64 v12, v0, v31, s[40:41]
; %bb.435:                              ;   in Loop: Header=BB6_423 Depth=4
	s_or_b64 exec, exec, s[30:31]
	v_and_b32_e32 v0, 0xffff0000, v13
	v_and_b32_e32 v9, 0xffff0000, v9
	v_max_f32_e32 v9, v9, v9
	v_max_f32_e32 v0, v0, v0
	v_min_f32_e32 v13, v0, v9
	v_max_f32_e32 v0, v0, v9
	v_cndmask_b32_e64 v13, v0, v13, s[28:29]
	v_and_b32_e32 v0, 0x7f800000, v13
	v_cmp_ne_u32_e64 s[40:41], s66, v0
                                        ; implicit-def: $vgpr9
	s_and_saveexec_b64 s[30:31], s[40:41]
	s_xor_b64 s[40:41], exec, s[30:31]
; %bb.436:                              ;   in Loop: Header=BB6_423 Depth=4
	v_bfe_u32 v0, v13, 16, 1
	v_add3_u32 v9, v13, v0, s67
                                        ; implicit-def: $vgpr13
; %bb.437:                              ;   in Loop: Header=BB6_423 Depth=4
	s_andn2_saveexec_b64 s[30:31], s[40:41]
; %bb.438:                              ;   in Loop: Header=BB6_423 Depth=4
	v_or_b32_e32 v0, 0x10000, v13
	v_cmp_eq_u32_sdwa s[40:41], v13, v2 src0_sel:WORD_0 src1_sel:DWORD
	v_cndmask_b32_e64 v9, v0, v13, s[40:41]
; %bb.439:                              ;   in Loop: Header=BB6_423 Depth=4
	s_or_b64 exec, exec, s[30:31]
	v_lshlrev_b32_e32 v0, 16, v10
	v_lshlrev_b32_e32 v13, 16, v14
	v_max_f32_e32 v0, v0, v0
	v_max_f32_e32 v13, v13, v13
	v_min_f32_e32 v31, v13, v0
	v_max_f32_e32 v0, v13, v0
	v_cndmask_b32_e64 v31, v0, v31, s[28:29]
	v_and_b32_e32 v0, 0x7f800000, v31
	v_cmp_ne_u32_e64 s[40:41], s66, v0
                                        ; implicit-def: $vgpr13
	s_and_saveexec_b64 s[30:31], s[40:41]
	s_xor_b64 s[40:41], exec, s[30:31]
; %bb.440:                              ;   in Loop: Header=BB6_423 Depth=4
	v_bfe_u32 v0, v31, 16, 1
	v_add3_u32 v13, v31, v0, s67
                                        ; implicit-def: $vgpr31
; %bb.441:                              ;   in Loop: Header=BB6_423 Depth=4
	s_andn2_saveexec_b64 s[30:31], s[40:41]
; %bb.442:                              ;   in Loop: Header=BB6_423 Depth=4
	v_or_b32_e32 v0, 0x10000, v31
	v_cmp_eq_u32_sdwa s[40:41], v31, v2 src0_sel:WORD_0 src1_sel:DWORD
	v_cndmask_b32_e64 v13, v0, v31, s[40:41]
; %bb.443:                              ;   in Loop: Header=BB6_423 Depth=4
	s_or_b64 exec, exec, s[30:31]
	v_and_b32_e32 v0, 0xffff0000, v14
	v_and_b32_e32 v10, 0xffff0000, v10
	v_max_f32_e32 v10, v10, v10
	v_max_f32_e32 v0, v0, v0
	v_min_f32_e32 v14, v0, v10
	v_max_f32_e32 v0, v0, v10
	v_cndmask_b32_e64 v14, v0, v14, s[28:29]
	v_and_b32_e32 v0, 0x7f800000, v14
	v_cmp_ne_u32_e64 s[40:41], s66, v0
                                        ; implicit-def: $vgpr10
	s_and_saveexec_b64 s[30:31], s[40:41]
	s_xor_b64 s[40:41], exec, s[30:31]
; %bb.444:                              ;   in Loop: Header=BB6_423 Depth=4
	v_bfe_u32 v0, v14, 16, 1
	v_add3_u32 v10, v14, v0, s67
                                        ; implicit-def: $vgpr14
; %bb.445:                              ;   in Loop: Header=BB6_423 Depth=4
	s_andn2_saveexec_b64 s[30:31], s[40:41]
; %bb.446:                              ;   in Loop: Header=BB6_423 Depth=4
	v_or_b32_e32 v0, 0x10000, v14
	v_cmp_eq_u32_sdwa s[40:41], v14, v2 src0_sel:WORD_0 src1_sel:DWORD
	v_cndmask_b32_e64 v10, v0, v14, s[40:41]
; %bb.447:                              ;   in Loop: Header=BB6_423 Depth=4
	s_or_b64 exec, exec, s[30:31]
	v_lshlrev_b32_e32 v0, 16, v11
	v_lshlrev_b32_e32 v14, 16, v15
	v_max_f32_e32 v0, v0, v0
	v_max_f32_e32 v14, v14, v14
	v_min_f32_e32 v31, v14, v0
	v_max_f32_e32 v0, v14, v0
	v_cndmask_b32_e64 v31, v0, v31, s[28:29]
	v_and_b32_e32 v0, 0x7f800000, v31
	v_cmp_ne_u32_e64 s[40:41], s66, v0
                                        ; implicit-def: $vgpr14
	s_and_saveexec_b64 s[30:31], s[40:41]
	s_xor_b64 s[40:41], exec, s[30:31]
; %bb.448:                              ;   in Loop: Header=BB6_423 Depth=4
	v_bfe_u32 v0, v31, 16, 1
	v_add3_u32 v14, v31, v0, s67
                                        ; implicit-def: $vgpr31
; %bb.449:                              ;   in Loop: Header=BB6_423 Depth=4
	s_andn2_saveexec_b64 s[30:31], s[40:41]
; %bb.450:                              ;   in Loop: Header=BB6_423 Depth=4
	v_or_b32_e32 v0, 0x10000, v31
	v_cmp_eq_u32_sdwa s[40:41], v31, v2 src0_sel:WORD_0 src1_sel:DWORD
	v_cndmask_b32_e64 v14, v0, v31, s[40:41]
; %bb.451:                              ;   in Loop: Header=BB6_423 Depth=4
	s_or_b64 exec, exec, s[30:31]
	v_and_b32_e32 v0, 0xffff0000, v15
	v_and_b32_e32 v11, 0xffff0000, v11
	v_max_f32_e32 v11, v11, v11
	v_max_f32_e32 v0, v0, v0
	v_min_f32_e32 v15, v0, v11
	v_max_f32_e32 v0, v0, v11
	v_cndmask_b32_e64 v15, v0, v15, s[28:29]
	v_and_b32_e32 v0, 0x7f800000, v15
	v_cmp_ne_u32_e64 s[40:41], s66, v0
                                        ; implicit-def: $vgpr11
	s_and_saveexec_b64 s[30:31], s[40:41]
	s_xor_b64 s[40:41], exec, s[30:31]
; %bb.452:                              ;   in Loop: Header=BB6_423 Depth=4
	v_bfe_u32 v0, v15, 16, 1
	v_add3_u32 v11, v15, v0, s67
                                        ; implicit-def: $vgpr15
; %bb.453:                              ;   in Loop: Header=BB6_423 Depth=4
	s_andn2_saveexec_b64 s[30:31], s[40:41]
	s_cbranch_execz .LBB6_422
; %bb.454:                              ;   in Loop: Header=BB6_423 Depth=4
	v_or_b32_e32 v0, 0x10000, v15
	v_cmp_eq_u32_sdwa s[40:41], v15, v2 src0_sel:WORD_0 src1_sel:DWORD
	v_cndmask_b32_e64 v11, v0, v15, s[40:41]
	s_branch .LBB6_422
.LBB6_455:                              ;   in Loop: Header=BB6_272 Depth=3
	s_or_b64 exec, exec, s[94:95]
.LBB6_456:                              ;   in Loop: Header=BB6_272 Depth=3
	s_or_b64 exec, exec, s[92:93]
	v_and_b32_e32 v0, 14, v47
	v_sub_u32_e32 v3, v23, v0
	v_cndmask_b32_e32 v3, 0, v3, vcc
	v_cndmask_b32_e32 v47, v23, v0, vcc
	v_cmp_lt_i32_e32 vcc, 0, v24
	v_cndmask_b32_e32 v0, 0, v51, vcc
	v_sub_u32_e32 v0, v0, v24
	v_cmp_ne_u32_e32 vcc, 0, v47
	v_add3_u32 v12, v22, v20, v3
	v_lshl_add_u32 v13, v0, 6, v21
	s_and_b64 s[28:29], vcc, exec
.LBB6_457:                              ;   in Loop: Header=BB6_272 Depth=3
	s_or_b64 exec, exec, s[90:91]
	v_mov_b32_e32 v61, 0xc8
	s_and_saveexec_b64 s[40:41], s[28:29]
	s_cbranch_execz .LBB6_502
.LBB6_458:                              ;   in Loop: Header=BB6_272 Depth=3
	v_ashrrev_i32_e32 v0, 31, v13
	v_ashrrev_i32_e32 v3, 31, v47
	v_lshrrev_b32_e32 v0, 26, v0
	v_lshrrev_b32_e32 v3, 22, v3
	v_add_u32_e32 v0, v13, v0
	v_add_u32_e32 v3, v47, v3
	v_ashrrev_i32_e32 v14, 6, v0
	v_ashrrev_i32_e32 v16, 10, v3
	v_sub_u32_e32 v15, v16, v14
	v_cmp_lt_i32_e32 vcc, 0, v15
	s_and_saveexec_b64 s[90:91], vcc
	s_cbranch_execz .LBB6_494
; %bb.459:                              ;   in Loop: Header=BB6_272 Depth=3
	v_and_b32_e32 v0, 0x7fffffc0, v0
	v_sub_u32_e32 v0, v13, v0
	v_lshlrev_b32_e32 v0, 1, v0
	v_lshlrev_b32_e32 v3, 10, v14
	v_add3_u32 v0, v0, v12, v3
	s_trap 2
	ds_read_b64 v[8:9], v0
	v_ashrrev_i32_e32 v11, 31, v0
	v_add_co_u32_e32 v3, vcc, v0, v28
	v_addc_co_u32_e32 v4, vcc, v11, v29, vcc
	s_waitcnt lgkmcnt(0)
	v_add_co_u32_e32 v8, vcc, v8, v0
	v_addc_co_u32_e32 v9, vcc, v9, v11, vcc
	v_add_co_u32_e32 v10, vcc, 0x380, v57
	s_and_b32 s58, s34, 1
	v_addc_co_u32_e32 v17, vcc, 0, v58, vcc
	s_cmp_eq_u64 s[58:59], 0
	v_add_co_u32_e32 v10, vcc, v10, v0
	s_mov_b64 s[92:93], 0
	s_cselect_b64 s[28:29], -1, 0
	v_addc_co_u32_e32 v11, vcc, v17, v11, vcc
	s_branch .LBB6_461
.LBB6_460:                              ;   in Loop: Header=BB6_461 Depth=4
	s_or_b64 exec, exec, s[94:95]
	v_add_co_u32_e32 v34, vcc, 0xfffffc80, v10
	v_addc_co_u32_e32 v35, vcc, -1, v11, vcc
	flat_store_short_d16_hi v[34:35], v17 glc slc
	v_add_co_u32_e32 v34, vcc, 0xfffffd00, v10
	v_addc_co_u32_e32 v35, vcc, -1, v11, vcc
	v_add_co_u32_e32 v19, vcc, 0xfffffd80, v10
	flat_store_short_d16_hi v[34:35], v20 glc slc
	v_addc_co_u32_e32 v20, vcc, -1, v11, vcc
	flat_store_short_d16_hi v[19:20], v22 glc slc
	v_add_co_u32_e32 v19, vcc, 0xfffffe00, v10
	v_addc_co_u32_e32 v20, vcc, -1, v11, vcc
	flat_store_short_d16_hi v[19:20], v25 glc slc
	v_add_co_u32_e32 v19, vcc, 0xfffffe80, v10
	;; [unrolled: 3-line block ×4, first 2 shown]
	v_addc_co_u32_e32 v20, vcc, -1, v11, vcc
	v_add_co_u32_e32 v3, vcc, v3, v43
	v_addc_co_u32_e32 v4, vcc, 0, v4, vcc
	v_add_co_u32_e32 v8, vcc, v8, v43
	v_addc_co_u32_e32 v9, vcc, 0, v9, vcc
	v_sub_u32_e32 v15, v15, v51
	v_cmp_gt_i32_e32 vcc, 1, v15
	flat_store_short_d16_hi v[19:20], v21 glc slc
	flat_store_short_d16_hi v[10:11], v18 glc slc
	s_or_b64 s[92:93], vcc, s[92:93]
	v_add_co_u32_e32 v10, vcc, v10, v43
	v_addc_co_u32_e32 v11, vcc, 0, v11, vcc
	s_andn2_b64 exec, exec, s[92:93]
	s_cbranch_execz .LBB6_493
.LBB6_461:                              ;   Parent Loop BB6_47 Depth=1
                                        ;     Parent Loop BB6_269 Depth=2
                                        ;       Parent Loop BB6_272 Depth=3
                                        ; =>      This Inner Loop Header: Depth=4
	flat_load_ushort v0, v[8:9] glc slc
	flat_load_ushort v22, v[3:4] offset:256 glc slc
	flat_load_ushort v25, v[3:4] offset:384 glc slc
	;; [unrolled: 1-line block ×5, first 2 shown]
	flat_load_ushort v17, v[3:4] glc slc
	flat_load_ushort v18, v[3:4] offset:896 glc slc
	flat_load_ushort v20, v[3:4] offset:128 glc slc
	;; [unrolled: 1-line block ×9, first 2 shown]
	s_waitcnt vmcnt(0) lgkmcnt(0)
	v_lshlrev_b32_e32 v0, 16, v0
	v_max_f32_e32 v0, v0, v0
	v_lshlrev_b32_e32 v17, 16, v17
	v_max_f32_e32 v17, v17, v17
	v_min_f32_e32 v34, v17, v0
	v_max_f32_e32 v0, v17, v0
	v_cndmask_b32_e64 v0, v0, v34, s[28:29]
	v_and_b32_e32 v17, 0x7f800000, v0
	v_cmp_ne_u32_e32 vcc, s66, v17
                                        ; implicit-def: $vgpr17
	s_and_saveexec_b64 s[94:95], vcc
	s_xor_b64 s[94:95], exec, s[94:95]
; %bb.462:                              ;   in Loop: Header=BB6_461 Depth=4
	v_bfe_u32 v17, v0, 16, 1
	v_add3_u32 v17, v0, v17, s67
                                        ; implicit-def: $vgpr0
; %bb.463:                              ;   in Loop: Header=BB6_461 Depth=4
	s_andn2_saveexec_b64 s[94:95], s[94:95]
; %bb.464:                              ;   in Loop: Header=BB6_461 Depth=4
	v_or_b32_e32 v17, 0x10000, v0
	v_cmp_eq_u32_sdwa vcc, v0, v2 src0_sel:WORD_0 src1_sel:DWORD
	v_cndmask_b32_e32 v17, v17, v0, vcc
; %bb.465:                              ;   in Loop: Header=BB6_461 Depth=4
	s_or_b64 exec, exec, s[94:95]
	v_lshlrev_b32_e32 v0, 16, v20
	v_lshlrev_b32_e32 v20, 16, v60
	v_max_f32_e32 v20, v20, v20
	v_max_f32_e32 v0, v0, v0
	v_min_f32_e32 v34, v0, v20
	v_max_f32_e32 v0, v0, v20
	v_cndmask_b32_e64 v0, v0, v34, s[28:29]
	v_and_b32_e32 v20, 0x7f800000, v0
	v_cmp_ne_u32_e32 vcc, s66, v20
                                        ; implicit-def: $vgpr20
	s_and_saveexec_b64 s[94:95], vcc
	s_xor_b64 s[94:95], exec, s[94:95]
; %bb.466:                              ;   in Loop: Header=BB6_461 Depth=4
	v_bfe_u32 v20, v0, 16, 1
	v_add3_u32 v20, v0, v20, s67
                                        ; implicit-def: $vgpr0
; %bb.467:                              ;   in Loop: Header=BB6_461 Depth=4
	s_andn2_saveexec_b64 s[94:95], s[94:95]
; %bb.468:                              ;   in Loop: Header=BB6_461 Depth=4
	v_or_b32_e32 v20, 0x10000, v0
	v_cmp_eq_u32_sdwa vcc, v0, v2 src0_sel:WORD_0 src1_sel:DWORD
	v_cndmask_b32_e32 v20, v20, v0, vcc
; %bb.469:                              ;   in Loop: Header=BB6_461 Depth=4
	s_or_b64 exec, exec, s[94:95]
	v_lshlrev_b32_e32 v0, 16, v22
	v_lshlrev_b32_e32 v22, 16, v61
	v_max_f32_e32 v22, v22, v22
	v_max_f32_e32 v0, v0, v0
	v_min_f32_e32 v34, v0, v22
	v_max_f32_e32 v0, v0, v22
	v_cndmask_b32_e64 v0, v0, v34, s[28:29]
	v_and_b32_e32 v22, 0x7f800000, v0
	v_cmp_ne_u32_e32 vcc, s66, v22
                                        ; implicit-def: $vgpr22
	s_and_saveexec_b64 s[94:95], vcc
	s_xor_b64 s[94:95], exec, s[94:95]
; %bb.470:                              ;   in Loop: Header=BB6_461 Depth=4
	v_bfe_u32 v22, v0, 16, 1
	v_add3_u32 v22, v0, v22, s67
                                        ; implicit-def: $vgpr0
; %bb.471:                              ;   in Loop: Header=BB6_461 Depth=4
	s_andn2_saveexec_b64 s[94:95], s[94:95]
; %bb.472:                              ;   in Loop: Header=BB6_461 Depth=4
	v_or_b32_e32 v22, 0x10000, v0
	v_cmp_eq_u32_sdwa vcc, v0, v2 src0_sel:WORD_0 src1_sel:DWORD
	v_cndmask_b32_e32 v22, v22, v0, vcc
; %bb.473:                              ;   in Loop: Header=BB6_461 Depth=4
	s_or_b64 exec, exec, s[94:95]
	v_lshlrev_b32_e32 v0, 16, v25
	v_lshlrev_b32_e32 v25, 16, v55
	v_max_f32_e32 v25, v25, v25
	v_max_f32_e32 v0, v0, v0
	v_min_f32_e32 v34, v0, v25
	v_max_f32_e32 v0, v0, v25
	v_cndmask_b32_e64 v0, v0, v34, s[28:29]
	v_and_b32_e32 v25, 0x7f800000, v0
	v_cmp_ne_u32_e32 vcc, s66, v25
                                        ; implicit-def: $vgpr25
	s_and_saveexec_b64 s[94:95], vcc
	s_xor_b64 s[94:95], exec, s[94:95]
; %bb.474:                              ;   in Loop: Header=BB6_461 Depth=4
	v_bfe_u32 v25, v0, 16, 1
	v_add3_u32 v25, v0, v25, s67
                                        ; implicit-def: $vgpr0
; %bb.475:                              ;   in Loop: Header=BB6_461 Depth=4
	s_andn2_saveexec_b64 s[94:95], s[94:95]
; %bb.476:                              ;   in Loop: Header=BB6_461 Depth=4
	v_or_b32_e32 v25, 0x10000, v0
	v_cmp_eq_u32_sdwa vcc, v0, v2 src0_sel:WORD_0 src1_sel:DWORD
	v_cndmask_b32_e32 v25, v25, v0, vcc
; %bb.477:                              ;   in Loop: Header=BB6_461 Depth=4
	s_or_b64 exec, exec, s[94:95]
	v_lshlrev_b32_e32 v0, 16, v31
	v_lshlrev_b32_e32 v31, 16, v54
	v_max_f32_e32 v31, v31, v31
	v_max_f32_e32 v0, v0, v0
	v_min_f32_e32 v34, v0, v31
	v_max_f32_e32 v0, v0, v31
	v_cndmask_b32_e64 v0, v0, v34, s[28:29]
	v_and_b32_e32 v31, 0x7f800000, v0
	v_cmp_ne_u32_e32 vcc, s66, v31
                                        ; implicit-def: $vgpr31
	s_and_saveexec_b64 s[94:95], vcc
	s_xor_b64 s[94:95], exec, s[94:95]
; %bb.478:                              ;   in Loop: Header=BB6_461 Depth=4
	v_bfe_u32 v31, v0, 16, 1
	v_add3_u32 v31, v0, v31, s67
                                        ; implicit-def: $vgpr0
; %bb.479:                              ;   in Loop: Header=BB6_461 Depth=4
	s_andn2_saveexec_b64 s[94:95], s[94:95]
; %bb.480:                              ;   in Loop: Header=BB6_461 Depth=4
	v_or_b32_e32 v31, 0x10000, v0
	v_cmp_eq_u32_sdwa vcc, v0, v2 src0_sel:WORD_0 src1_sel:DWORD
	v_cndmask_b32_e32 v31, v31, v0, vcc
; %bb.481:                              ;   in Loop: Header=BB6_461 Depth=4
	s_or_b64 exec, exec, s[94:95]
	v_lshlrev_b32_e32 v0, 16, v24
	v_lshlrev_b32_e32 v24, 16, v30
	v_max_f32_e32 v24, v24, v24
	v_max_f32_e32 v0, v0, v0
	v_min_f32_e32 v30, v0, v24
	v_max_f32_e32 v0, v0, v24
	v_cndmask_b32_e64 v0, v0, v30, s[28:29]
	v_and_b32_e32 v24, 0x7f800000, v0
	v_cmp_ne_u32_e32 vcc, s66, v24
                                        ; implicit-def: $vgpr24
	s_and_saveexec_b64 s[94:95], vcc
	s_xor_b64 s[94:95], exec, s[94:95]
; %bb.482:                              ;   in Loop: Header=BB6_461 Depth=4
	v_bfe_u32 v24, v0, 16, 1
	v_add3_u32 v24, v0, v24, s67
                                        ; implicit-def: $vgpr0
; %bb.483:                              ;   in Loop: Header=BB6_461 Depth=4
	s_andn2_saveexec_b64 s[94:95], s[94:95]
; %bb.484:                              ;   in Loop: Header=BB6_461 Depth=4
	v_or_b32_e32 v24, 0x10000, v0
	v_cmp_eq_u32_sdwa vcc, v0, v2 src0_sel:WORD_0 src1_sel:DWORD
	v_cndmask_b32_e32 v24, v24, v0, vcc
; %bb.485:                              ;   in Loop: Header=BB6_461 Depth=4
	s_or_b64 exec, exec, s[94:95]
	v_lshlrev_b32_e32 v0, 16, v21
	v_lshlrev_b32_e32 v21, 16, v23
	v_max_f32_e32 v21, v21, v21
	v_max_f32_e32 v0, v0, v0
	v_min_f32_e32 v23, v0, v21
	v_max_f32_e32 v0, v0, v21
	v_cndmask_b32_e64 v0, v0, v23, s[28:29]
	v_and_b32_e32 v21, 0x7f800000, v0
	v_cmp_ne_u32_e32 vcc, s66, v21
                                        ; implicit-def: $vgpr21
	s_and_saveexec_b64 s[94:95], vcc
	s_xor_b64 s[94:95], exec, s[94:95]
; %bb.486:                              ;   in Loop: Header=BB6_461 Depth=4
	v_bfe_u32 v21, v0, 16, 1
	v_add3_u32 v21, v0, v21, s67
                                        ; implicit-def: $vgpr0
; %bb.487:                              ;   in Loop: Header=BB6_461 Depth=4
	s_andn2_saveexec_b64 s[94:95], s[94:95]
; %bb.488:                              ;   in Loop: Header=BB6_461 Depth=4
	v_or_b32_e32 v21, 0x10000, v0
	v_cmp_eq_u32_sdwa vcc, v0, v2 src0_sel:WORD_0 src1_sel:DWORD
	v_cndmask_b32_e32 v21, v21, v0, vcc
; %bb.489:                              ;   in Loop: Header=BB6_461 Depth=4
	s_or_b64 exec, exec, s[94:95]
	v_lshlrev_b32_e32 v0, 16, v18
	v_lshlrev_b32_e32 v18, 16, v19
	v_max_f32_e32 v18, v18, v18
	v_max_f32_e32 v0, v0, v0
	v_min_f32_e32 v19, v0, v18
	v_max_f32_e32 v0, v0, v18
	v_cndmask_b32_e64 v0, v0, v19, s[28:29]
	v_and_b32_e32 v18, 0x7f800000, v0
	v_cmp_ne_u32_e32 vcc, s66, v18
                                        ; implicit-def: $vgpr18
	s_and_saveexec_b64 s[94:95], vcc
	s_xor_b64 s[94:95], exec, s[94:95]
; %bb.490:                              ;   in Loop: Header=BB6_461 Depth=4
	v_bfe_u32 v18, v0, 16, 1
	v_add3_u32 v18, v0, v18, s67
                                        ; implicit-def: $vgpr0
; %bb.491:                              ;   in Loop: Header=BB6_461 Depth=4
	s_andn2_saveexec_b64 s[94:95], s[94:95]
	s_cbranch_execz .LBB6_460
; %bb.492:                              ;   in Loop: Header=BB6_461 Depth=4
	v_or_b32_e32 v18, 0x10000, v0
	v_cmp_eq_u32_sdwa vcc, v0, v2 src0_sel:WORD_0 src1_sel:DWORD
	v_cndmask_b32_e32 v18, v18, v0, vcc
	s_branch .LBB6_460
.LBB6_493:                              ;   in Loop: Header=BB6_272 Depth=3
	s_or_b64 exec, exec, s[92:93]
	v_mov_b32_e32 v60, 1
	v_mov_b32_e32 v61, 0xc8
.LBB6_494:                              ;   in Loop: Header=BB6_272 Depth=3
	s_or_b64 exec, exec, s[90:91]
	v_lshlrev_b32_e32 v0, 10, v16
	v_cmp_ne_u32_e32 vcc, v47, v0
	s_and_b64 exec, exec, vcc
	s_cbranch_execz .LBB6_502
; %bb.495:                              ;   in Loop: Header=BB6_272 Depth=3
	v_lshlrev_b32_e32 v3, 6, v14
	v_sub_u32_e32 v3, v13, v3
	v_lshlrev_b32_e32 v4, 6, v15
	v_sub_u32_e32 v3, v3, v4
	v_ashrrev_i32_e32 v4, 31, v3
	v_lshrrev_b32_e32 v4, 26, v4
	v_add_u32_e32 v4, v3, v4
	v_and_b32_e32 v8, 0x7fffffc0, v4
	v_sub_u32_e32 v3, v3, v8
	v_lshlrev_b32_e32 v4, 1, v4
	v_and_b32_e32 v4, 0xffffff80, v4
	v_lshlrev_b32_e32 v3, 1, v3
	v_add3_u32 v0, v4, v3, v0
	v_sub_u32_e32 v13, v47, v0
	v_cmp_lt_i32_e32 vcc, 1, v13
	s_and_b64 exec, exec, vcc
	s_cbranch_execz .LBB6_502
; %bb.496:                              ;   in Loop: Header=BB6_272 Depth=3
	v_add_u32_e32 v0, v0, v12
	s_trap 2
	ds_read_b64 v[8:9], v0
	v_ashrrev_i32_e32 v11, 31, v0
	v_add_co_u32_e32 v3, vcc, v0, v28
	v_addc_co_u32_e32 v4, vcc, v11, v29, vcc
	s_waitcnt lgkmcnt(0)
	v_add_co_u32_e32 v8, vcc, v8, v0
	v_addc_co_u32_e32 v9, vcc, v9, v11, vcc
	v_add_co_u32_e32 v10, vcc, v0, v57
	s_and_b32 s58, s34, 1
	v_addc_co_u32_e32 v11, vcc, v11, v58, vcc
	s_cmp_eq_u64 s[58:59], 0
	s_mov_b64 s[90:91], 0
	s_cselect_b64 vcc, -1, 0
	s_branch .LBB6_498
.LBB6_497:                              ;   in Loop: Header=BB6_498 Depth=4
	s_or_b64 exec, exec, s[92:93]
	v_add_co_u32_e64 v3, s[28:29], v3, v42
	v_addc_co_u32_e64 v4, s[28:29], 0, v4, s[28:29]
	v_add_co_u32_e64 v8, s[28:29], v8, v42
	v_addc_co_u32_e64 v9, s[28:29], 0, v9, s[28:29]
	v_sub_u32_e32 v13, v13, v42
	v_cmp_gt_i32_e64 s[28:29], 2, v13
	flat_store_short_d16_hi v[10:11], v12 glc slc
	s_or_b64 s[90:91], s[28:29], s[90:91]
	v_add_co_u32_e64 v10, s[28:29], v10, v42
	v_addc_co_u32_e64 v11, s[28:29], 0, v11, s[28:29]
	s_andn2_b64 exec, exec, s[90:91]
	s_cbranch_execz .LBB6_502
.LBB6_498:                              ;   Parent Loop BB6_47 Depth=1
                                        ;     Parent Loop BB6_269 Depth=2
                                        ;       Parent Loop BB6_272 Depth=3
                                        ; =>      This Inner Loop Header: Depth=4
	flat_load_ushort v0, v[8:9] glc slc
	flat_load_ushort v12, v[3:4] glc slc
	s_waitcnt vmcnt(0) lgkmcnt(0)
	v_lshlrev_b32_e32 v0, 16, v0
	v_lshlrev_b32_e32 v12, 16, v12
	v_max_f32_e32 v0, v0, v0
	v_max_f32_e32 v12, v12, v12
	v_min_f32_e32 v14, v12, v0
	v_max_f32_e32 v0, v12, v0
	v_cndmask_b32_e32 v0, v0, v14, vcc
	v_and_b32_e32 v12, 0x7f800000, v0
	v_cmp_ne_u32_e64 s[28:29], s66, v12
                                        ; implicit-def: $vgpr12
	s_and_saveexec_b64 s[92:93], s[28:29]
	s_xor_b64 s[28:29], exec, s[92:93]
; %bb.499:                              ;   in Loop: Header=BB6_498 Depth=4
	v_bfe_u32 v12, v0, 16, 1
	v_add3_u32 v12, v0, v12, s67
                                        ; implicit-def: $vgpr0
; %bb.500:                              ;   in Loop: Header=BB6_498 Depth=4
	s_andn2_saveexec_b64 s[92:93], s[28:29]
	s_cbranch_execz .LBB6_497
; %bb.501:                              ;   in Loop: Header=BB6_498 Depth=4
	v_or_b32_e32 v12, 0x10000, v0
	v_cmp_eq_u32_sdwa s[28:29], v0, v2 src0_sel:WORD_0 src1_sel:DWORD
	v_cndmask_b32_e64 v12, v12, v0, s[28:29]
	s_branch .LBB6_497
.LBB6_502:                              ;   in Loop: Header=BB6_272 Depth=3
	s_or_b64 exec, exec, s[40:41]
	v_cmp_lt_i32_e64 s[28:29], 0, v53
	s_and_saveexec_b64 s[40:41], s[10:11]
	s_cbranch_execz .LBB6_347
.LBB6_503:                              ;   in Loop: Header=BB6_272 Depth=3
	s_and_saveexec_b64 s[90:91], s[60:61]
	s_xor_b64 s[90:91], exec, s[90:91]
	s_cbranch_execz .LBB6_518
; %bb.504:                              ;   in Loop: Header=BB6_272 Depth=3
	s_and_saveexec_b64 s[92:93], s[16:17]
	s_cbranch_execz .LBB6_517
; %bb.505:                              ;   in Loop: Header=BB6_272 Depth=3
	s_mov_b64 s[30:31], exec
	v_mbcnt_lo_u32_b32 v0, s30, 0
	v_mbcnt_hi_u32_b32 v0, s31, v0
	v_cmp_eq_u32_e32 vcc, 0, v0
	s_waitcnt vmcnt(0) lgkmcnt(0)
	buffer_wbinvl1_vol
	s_and_saveexec_b64 s[94:95], vcc
	s_cbranch_execz .LBB6_507
; %bb.506:                              ;   in Loop: Header=BB6_272 Depth=3
	s_bcnt1_i32_b64 s58, s[30:31]
	v_mov_b32_e32 v3, s58
	v_mov_b32_e32 v4, v2
	ds_add_u64 v0, v[3:4]
	s_trap 2
.LBB6_507:                              ;   in Loop: Header=BB6_272 Depth=3
	s_or_b64 exec, exec, s[94:95]
	s_trap 2
	ds_read_b64 v[3:4], v0
	s_waitcnt lgkmcnt(0)
	v_add_co_u32_e32 v48, vcc, v48, v51
	v_addc_co_u32_e32 v49, vcc, 0, v49, vcc
	v_cmp_lt_u64_e32 vcc, v[3:4], v[48:49]
	s_and_saveexec_b64 s[94:95], vcc
	s_cbranch_execz .LBB6_516
; %bb.508:                              ;   in Loop: Header=BB6_272 Depth=3
	s_mov_b32 s58, 0
	s_mov_b64 s[30:31], 0
                                        ; implicit-def: $sgpr34_sgpr35
                                        ; implicit-def: $sgpr36_sgpr37
	s_branch .LBB6_510
.LBB6_509:                              ;   in Loop: Header=BB6_510 Depth=4
	s_or_b64 exec, exec, s[48:49]
	s_and_b64 vcc, exec, vcc
	s_or_b64 s[30:31], vcc, s[30:31]
	s_andn2_b64 vcc, s[34:35], exec
	s_and_b64 s[34:35], s[36:37], exec
	s_or_b64 s[34:35], vcc, s[34:35]
	s_andn2_b64 exec, exec, s[30:31]
	s_cbranch_execz .LBB6_514
.LBB6_510:                              ;   Parent Loop BB6_47 Depth=1
                                        ;     Parent Loop BB6_269 Depth=2
                                        ;       Parent Loop BB6_272 Depth=3
                                        ; =>      This Inner Loop Header: Depth=4
	s_add_i32 s58, s58, 1
	s_cmpk_lg_i32 s58, 0x2710
	s_cselect_b64 s[38:39], -1, 0
	s_and_b64 vcc, exec, s[38:39]
	s_cbranch_vccz .LBB6_512
; %bb.511:                              ;   in Loop: Header=BB6_510 Depth=4
	s_mov_b64 vcc, -1
	s_or_b64 s[36:37], s[36:37], exec
	s_and_saveexec_b64 s[48:49], s[38:39]
	s_cbranch_execz .LBB6_509
	s_branch .LBB6_513
.LBB6_512:                              ;   in Loop: Header=BB6_510 Depth=4
	s_trap 2
	ds_read_b64 v[3:4], v0
	s_andn2_b64 s[38:39], s[38:39], exec
	s_mov_b32 s58, 0
	s_waitcnt lgkmcnt(0)
	flat_load_dword v0, v[3:4] glc
	s_waitcnt vmcnt(0) lgkmcnt(0)
	buffer_wbinvl1_vol
	v_cmp_eq_u32_e32 vcc, 0, v0
	s_and_b64 vcc, vcc, exec
	s_or_b64 s[38:39], s[38:39], vcc
	s_mov_b64 vcc, -1
	s_or_b64 s[36:37], s[36:37], exec
	s_and_saveexec_b64 s[48:49], s[38:39]
	s_cbranch_execz .LBB6_509
.LBB6_513:                              ;   in Loop: Header=BB6_510 Depth=4
	s_sleep 1
	s_trap 2
	ds_read_b64 v[3:4], v0
	s_waitcnt lgkmcnt(0)
	s_andn2_b64 s[36:37], s[36:37], exec
	v_cmp_ge_u64_e32 vcc, v[3:4], v[48:49]
	s_orn2_b64 vcc, vcc, exec
	s_branch .LBB6_509
.LBB6_514:                              ;   in Loop: Header=BB6_272 Depth=3
	s_or_b64 exec, exec, s[30:31]
	s_and_saveexec_b64 vcc, s[34:35]
	s_xor_b64 vcc, exec, vcc
	s_cbranch_execz .LBB6_516
; %bb.515:                              ;   in Loop: Header=BB6_272 Depth=3
	ds_write_b32 v0, v60
	s_trap 2
.LBB6_516:                              ;   in Loop: Header=BB6_272 Depth=3
	s_or_b64 exec, exec, s[94:95]
	;;#ASMSTART
	s_wakeup
	;;#ASMEND
.LBB6_517:                              ;   in Loop: Header=BB6_272 Depth=3
	s_or_b64 exec, exec, s[92:93]
.LBB6_518:                              ;   in Loop: Header=BB6_272 Depth=3
	s_andn2_saveexec_b64 s[90:91], s[90:91]
	s_cbranch_execz .LBB6_520
; %bb.519:                              ;   in Loop: Header=BB6_272 Depth=3
	s_waitcnt vmcnt(0) lgkmcnt(0)
	buffer_wbinvl1_vol
	s_barrier
.LBB6_520:                              ;   in Loop: Header=BB6_272 Depth=3
	s_or_b64 exec, exec, s[90:91]
	s_or_b64 exec, exec, s[40:41]
                                        ; implicit-def: $vgpr3
	s_and_saveexec_b64 s[40:41], s[24:25]
	s_xor_b64 s[40:41], exec, s[40:41]
	s_cbranch_execnz .LBB6_348
.LBB6_521:                              ;   in Loop: Header=BB6_272 Depth=3
	s_andn2_saveexec_b64 s[28:29], s[40:41]
	s_cbranch_execz .LBB6_540
.LBB6_522:                              ;   in Loop: Header=BB6_272 Depth=3
	s_and_saveexec_b64 s[40:41], s[60:61]
	s_xor_b64 s[40:41], exec, s[40:41]
	s_cbranch_execz .LBB6_537
; %bb.523:                              ;   in Loop: Header=BB6_272 Depth=3
	s_and_saveexec_b64 s[90:91], s[16:17]
	s_cbranch_execz .LBB6_536
; %bb.524:                              ;   in Loop: Header=BB6_272 Depth=3
	s_mov_b64 s[94:95], exec
	v_mbcnt_lo_u32_b32 v0, s94, 0
	v_mbcnt_hi_u32_b32 v0, s95, v0
	v_cmp_eq_u32_e32 vcc, 0, v0
	;;#ASMSTART
	s_waitcnt lgkmcnt(0) vmcnt(0)
	;;#ASMEND
	s_and_saveexec_b64 s[92:93], vcc
	s_cbranch_execz .LBB6_526
; %bb.525:                              ;   in Loop: Header=BB6_272 Depth=3
	s_bcnt1_i32_b64 s58, s[94:95]
	v_mov_b32_e32 v3, s58
	v_mov_b32_e32 v4, v2
	s_waitcnt lgkmcnt(0)
	ds_add_u64 v0, v[3:4]
	s_trap 2
.LBB6_526:                              ;   in Loop: Header=BB6_272 Depth=3
	s_or_b64 exec, exec, s[92:93]
	s_trap 2
	ds_read_b64 v[3:4], v0
	s_waitcnt lgkmcnt(0)
	v_add_co_u32_e32 v48, vcc, v48, v51
	v_addc_co_u32_e32 v49, vcc, 0, v49, vcc
	v_cmp_lt_u64_e32 vcc, v[3:4], v[48:49]
	s_and_saveexec_b64 s[92:93], vcc
	s_cbranch_execz .LBB6_535
; %bb.527:                              ;   in Loop: Header=BB6_272 Depth=3
	s_mov_b32 s58, 0
	s_mov_b64 s[94:95], 0
                                        ; implicit-def: $sgpr30_sgpr31
                                        ; implicit-def: $sgpr34_sgpr35
	s_branch .LBB6_529
.LBB6_528:                              ;   in Loop: Header=BB6_529 Depth=4
	s_or_b64 exec, exec, s[38:39]
	s_and_b64 vcc, exec, vcc
	s_or_b64 s[94:95], vcc, s[94:95]
	s_andn2_b64 vcc, s[30:31], exec
	s_and_b64 s[30:31], s[34:35], exec
	s_or_b64 s[30:31], vcc, s[30:31]
	s_andn2_b64 exec, exec, s[94:95]
	s_cbranch_execz .LBB6_533
.LBB6_529:                              ;   Parent Loop BB6_47 Depth=1
                                        ;     Parent Loop BB6_269 Depth=2
                                        ;       Parent Loop BB6_272 Depth=3
                                        ; =>      This Inner Loop Header: Depth=4
	s_add_i32 s58, s58, 1
	s_cmpk_lg_i32 s58, 0x2710
	s_cselect_b64 s[36:37], -1, 0
	s_and_b64 vcc, exec, s[36:37]
	s_cbranch_vccz .LBB6_531
; %bb.530:                              ;   in Loop: Header=BB6_529 Depth=4
	s_mov_b64 vcc, -1
	s_or_b64 s[34:35], s[34:35], exec
	s_and_saveexec_b64 s[38:39], s[36:37]
	s_cbranch_execz .LBB6_528
	s_branch .LBB6_532
.LBB6_531:                              ;   in Loop: Header=BB6_529 Depth=4
	s_trap 2
	ds_read_b64 v[3:4], v0
	s_andn2_b64 s[36:37], s[36:37], exec
	s_mov_b32 s58, 0
	s_waitcnt vmcnt(0) lgkmcnt(0)
	flat_load_dword v0, v[3:4] glc
	s_waitcnt vmcnt(0) lgkmcnt(0)
	buffer_wbinvl1_vol
	v_cmp_eq_u32_e32 vcc, 0, v0
	s_and_b64 vcc, vcc, exec
	s_or_b64 s[36:37], s[36:37], vcc
	s_mov_b64 vcc, -1
	s_or_b64 s[34:35], s[34:35], exec
	s_and_saveexec_b64 s[38:39], s[36:37]
	s_cbranch_execz .LBB6_528
.LBB6_532:                              ;   in Loop: Header=BB6_529 Depth=4
	s_sleep 1
	s_trap 2
	ds_read_b64 v[3:4], v0
	s_waitcnt lgkmcnt(0)
	s_andn2_b64 s[34:35], s[34:35], exec
	v_cmp_ge_u64_e32 vcc, v[3:4], v[48:49]
	s_orn2_b64 vcc, vcc, exec
	s_branch .LBB6_528
.LBB6_533:                              ;   in Loop: Header=BB6_272 Depth=3
	s_or_b64 exec, exec, s[94:95]
	s_and_saveexec_b64 s[94:95], s[30:31]
	s_xor_b64 s[94:95], exec, s[94:95]
	s_cbranch_execz .LBB6_535
; %bb.534:                              ;   in Loop: Header=BB6_272 Depth=3
	ds_write_b32 v0, v60
	s_trap 2
.LBB6_535:                              ;   in Loop: Header=BB6_272 Depth=3
	s_or_b64 exec, exec, s[92:93]
	;;#ASMSTART
	s_wakeup
	;;#ASMEND
.LBB6_536:                              ;   in Loop: Header=BB6_272 Depth=3
	s_or_b64 exec, exec, s[90:91]
.LBB6_537:                              ;   in Loop: Header=BB6_272 Depth=3
	s_andn2_saveexec_b64 s[40:41], s[40:41]
	s_cbranch_execz .LBB6_539
; %bb.538:                              ;   in Loop: Header=BB6_272 Depth=3
	;;#ASMSTART
	s_waitcnt lgkmcnt(0) vmcnt(0)
	;;#ASMEND
	s_waitcnt vmcnt(0) lgkmcnt(0)
	s_barrier
.LBB6_539:                              ;   in Loop: Header=BB6_272 Depth=3
	s_or_b64 exec, exec, s[40:41]
	v_and_b32_e32 v3, 16, v62
.LBB6_540:                              ;   in Loop: Header=BB6_272 Depth=3
	s_or_b64 exec, exec, s[28:29]
	v_cmp_ne_u32_e32 vcc, 0, v3
	s_xor_b64 s[28:29], s[12:13], -1
	s_and_b64 s[40:41], vcc, s[28:29]
	s_and_saveexec_b64 s[28:29], s[40:41]
	s_cbranch_execz .LBB6_542
; %bb.541:                              ;   in Loop: Header=BB6_272 Depth=3
	flat_store_dword v[36:37], v60
.LBB6_542:                              ;   in Loop: Header=BB6_272 Depth=3
	s_or_b64 exec, exec, s[28:29]
	v_and_b32_e32 v0, 48, v62
	v_cmp_ne_u32_e32 vcc, 0, v0
	s_and_saveexec_b64 s[28:29], vcc
	s_cbranch_execz .LBB6_271
; %bb.543:                              ;   in Loop: Header=BB6_272 Depth=3
	v_add_co_u32_e32 v40, vcc, 2, v40
	v_addc_co_u32_e32 v41, vcc, 0, v41, vcc
	flat_store_dwordx2 v[32:33], v[40:41]
	s_branch .LBB6_271
.LBB6_544:                              ;   in Loop: Header=BB6_269 Depth=2
	s_or_b64 exec, exec, s[44:45]
.LBB6_545:                              ;   in Loop: Header=BB6_269 Depth=2
	s_or_b64 exec, exec, s[42:43]
	v_cmp_gt_i32_e32 vcc, 2, v8
	s_and_saveexec_b64 s[40:41], vcc
	s_cbranch_execz .LBB6_268
; %bb.546:                              ;   in Loop: Header=BB6_269 Depth=2
	v_cmp_eq_u32_e64 s[44:45], 0, v8
	s_mov_b64 s[42:43], 0
	s_branch .LBB6_548
.LBB6_547:                              ;   in Loop: Header=BB6_548 Depth=3
	s_or_b64 exec, exec, s[28:29]
	v_add_u32_e32 v56, v46, v56
	s_mov_b64 s[44:45], 0
	s_andn2_b64 exec, exec, s[42:43]
	s_cbranch_execz .LBB6_267
.LBB6_548:                              ;   Parent Loop BB6_47 Depth=1
                                        ;     Parent Loop BB6_269 Depth=2
                                        ; =>    This Loop Header: Depth=3
                                        ;         Child Loop BB6_554 Depth 4
                                        ;         Child Loop BB6_582 Depth 4
	;; [unrolled: 1-line block ×3, first 2 shown]
	v_sub_u32_e32 v0, v52, v56
	v_min_i32_e32 v46, v46, v0
	v_and_b32_e32 v0, 12, v62
	v_cmp_ne_u32_e32 vcc, 0, v0
	s_and_saveexec_b64 s[88:89], vcc
	s_cbranch_execz .LBB6_574
; %bb.549:                              ;   in Loop: Header=BB6_548 Depth=3
	v_and_b32_e32 v14, 8, v62
	s_waitcnt vmcnt(0) lgkmcnt(0)
	v_add_co_u32_e32 v8, vcc, v38, v14
	v_addc_co_u32_e32 v9, vcc, 0, v39, vcc
	v_add_co_u32_e32 v3, vcc, 2, v40
	v_addc_co_u32_e32 v4, vcc, 0, v41, vcc
	v_cmp_lt_u64_e32 vcc, v[8:9], v[3:4]
	s_and_saveexec_b64 s[90:91], vcc
	s_cbranch_execz .LBB6_561
; %bb.550:                              ;   in Loop: Header=BB6_548 Depth=3
	v_and_b32_e32 v0, 64, v62
	s_mov_b32 s58, 0
	v_cmp_eq_u32_e32 vcc, 0, v0
	s_mov_b64 s[92:93], 0
                                        ; implicit-def: $sgpr94_sgpr95
                                        ; implicit-def: $sgpr30_sgpr31
                                        ; implicit-def: $sgpr34_sgpr35
	s_branch .LBB6_554
.LBB6_551:                              ;   in Loop: Header=BB6_554 Depth=4
	s_waitcnt vmcnt(0) lgkmcnt(0)
	v_add_co_u32_e64 v9, s[28:29], v38, v14
	v_addc_co_u32_e64 v10, s[28:29], 0, v39, s[28:29]
	v_cmp_ge_u64_e64 s[28:29], v[9:10], v[3:4]
	s_or_b64 s[48:49], s[48:49], exec
	s_orn2_b64 s[38:39], s[28:29], exec
.LBB6_552:                              ;   in Loop: Header=BB6_554 Depth=4
	s_or_b64 exec, exec, s[52:53]
	s_andn2_b64 s[28:29], s[34:35], exec
	s_and_b64 s[34:35], s[48:49], exec
	s_or_b64 s[34:35], s[28:29], s[34:35]
	s_andn2_b64 s[28:29], s[30:31], exec
	s_and_b64 s[30:31], s[38:39], exec
	s_or_b64 s[30:31], s[28:29], s[30:31]
.LBB6_553:                              ;   in Loop: Header=BB6_554 Depth=4
	s_or_b64 exec, exec, s[36:37]
	s_and_b64 s[28:29], exec, s[30:31]
	s_or_b64 s[92:93], s[28:29], s[92:93]
	s_andn2_b64 s[28:29], s[94:95], exec
	s_and_b64 s[94:95], s[34:35], exec
	s_or_b64 s[94:95], s[28:29], s[94:95]
	s_andn2_b64 exec, exec, s[92:93]
	s_cbranch_execz .LBB6_558
.LBB6_554:                              ;   Parent Loop BB6_47 Depth=1
                                        ;     Parent Loop BB6_269 Depth=2
                                        ;       Parent Loop BB6_548 Depth=3
                                        ; =>      This Inner Loop Header: Depth=4
	s_sleep 1
	s_waitcnt vmcnt(0) lgkmcnt(0)
	flat_load_dwordx2 v[38:39], v[32:33] glc
	s_or_b64 s[34:35], s[34:35], exec
	s_or_b64 s[30:31], s[30:31], exec
                                        ; implicit-def: $vgpr8
	s_and_saveexec_b64 s[36:37], vcc
	s_cbranch_execz .LBB6_553
; %bb.555:                              ;   in Loop: Header=BB6_554 Depth=4
	s_cmpk_lt_i32 s58, 0x270f
	s_cselect_b64 s[50:51], -1, 0
	s_cmpk_gt_i32 s58, 0x270e
	s_mov_b64 s[38:39], -1
	s_cbranch_scc0 .LBB6_557
; %bb.556:                              ;   in Loop: Header=BB6_554 Depth=4
	s_trap 2
	ds_read_b64 v[8:9], v0
	s_andn2_b64 s[50:51], s[50:51], exec
	s_mov_b32 s58, 0
	s_mov_b64 s[48:49], 0
	s_waitcnt vmcnt(0) lgkmcnt(0)
	flat_load_dword v8, v[8:9] glc
	s_waitcnt vmcnt(0) lgkmcnt(0)
	buffer_wbinvl1_vol
	v_cmp_eq_u32_e64 s[28:29], 0, v8
	s_and_b64 s[28:29], s[28:29], exec
	s_or_b64 s[50:51], s[50:51], s[28:29]
	s_and_saveexec_b64 s[52:53], s[50:51]
	s_cbranch_execz .LBB6_552
	s_branch .LBB6_551
.LBB6_557:                              ;   in Loop: Header=BB6_554 Depth=4
	s_add_i32 s58, s58, 1
	s_mov_b64 s[48:49], -1
                                        ; implicit-def: $vgpr8
	s_and_saveexec_b64 s[52:53], s[50:51]
	s_cbranch_execz .LBB6_552
	s_branch .LBB6_551
.LBB6_558:                              ;   in Loop: Header=BB6_548 Depth=3
	s_or_b64 exec, exec, s[92:93]
	s_xor_b64 s[28:29], s[94:95], -1
	s_and_saveexec_b64 s[92:93], s[28:29]
	s_xor_b64 s[28:29], exec, s[92:93]
	s_cbranch_execz .LBB6_560
; %bb.559:                              ;   in Loop: Header=BB6_548 Depth=3
	v_or_b32_e32 v62, 64, v62
	s_waitcnt lgkmcnt(0)
	ds_write_b32 v0, v8
	s_trap 2
.LBB6_560:                              ;   in Loop: Header=BB6_548 Depth=3
	s_or_b64 exec, exec, s[28:29]
.LBB6_561:                              ;   in Loop: Header=BB6_548 Depth=3
	s_or_b64 exec, exec, s[90:91]
	v_and_b32_e32 v0, 0x108, v62
	v_cmp_ne_u32_e32 vcc, s65, v0
	;;#ASMSTART
	s_wakeup
	;;#ASMEND
                                        ; implicit-def: $vgpr8_vgpr9
	s_and_saveexec_b64 s[28:29], vcc
	s_xor_b64 s[28:29], exec, s[28:29]
; %bb.562:                              ;   in Loop: Header=BB6_548 Depth=3
	v_and_b32_e32 v8, 7, v40
	v_mov_b32_e32 v9, v2
                                        ; implicit-def: $vgpr40_vgpr41
; %bb.563:                              ;   in Loop: Header=BB6_548 Depth=3
	s_andn2_saveexec_b64 s[28:29], s[28:29]
	s_cbranch_execz .LBB6_565
; %bb.564:                              ;   in Loop: Header=BB6_548 Depth=3
	buffer_load_dword v9, off, s[0:3], s33 offset:60 ; 4-byte Folded Reload
	buffer_load_dword v10, off, s[0:3], s33 offset:64 ; 4-byte Folded Reload
	;; [unrolled: 1-line block ×4, first 2 shown]
	v_and_b32_e32 v8, 7, v40
	v_ashrrev_i32_e32 v47, 31, v46
	s_waitcnt vmcnt(0)
	v_lshlrev_b64 v[12:13], 1, v[46:47]
	v_mad_u64_u32 v[10:11], s[90:91], v8, 24, v[9:10]
	v_mov_b32_e32 v9, v2
	flat_store_dwordx2 v[10:11], v[12:13] offset:8
.LBB6_565:                              ;   in Loop: Header=BB6_548 Depth=3
	s_or_b64 exec, exec, s[28:29]
	v_and_b32_e32 v0, 0x100, v62
	v_cmp_ne_u32_e32 vcc, 0, v0
	s_mov_b64 s[28:29], -1
                                        ; implicit-def: $vgpr10_vgpr11
	s_and_saveexec_b64 s[90:91], vcc
	s_cbranch_execz .LBB6_569
; %bb.566:                              ;   in Loop: Header=BB6_548 Depth=3
	buffer_load_dword v10, off, s[0:3], s33 offset:60 ; 4-byte Folded Reload
	buffer_load_dword v11, off, s[0:3], s33 offset:64 ; 4-byte Folded Reload
	;; [unrolled: 1-line block ×4, first 2 shown]
	s_waitcnt vmcnt(0)
	v_mad_u64_u32 v[12:13], s[28:29], v8, 24, v[10:11]
	v_mov_b32_e32 v0, v13
	v_mad_u64_u32 v[10:11], s[28:29], v9, 24, v[0:1]
	v_mov_b32_e32 v13, v10
	flat_load_dword v0, v[12:13]
                                        ; implicit-def: $vgpr10_vgpr11
	s_waitcnt vmcnt(0) lgkmcnt(0)
	v_cmp_ne_u32_e32 vcc, 1, v0
	v_cmp_eq_u32_e64 s[28:29], 1, v0
	s_and_saveexec_b64 s[92:93], s[28:29]
	s_cbranch_execz .LBB6_568
; %bb.567:                              ;   in Loop: Header=BB6_548 Depth=3
	flat_load_dword v10, v[12:13] offset:4 glc
	s_waitcnt vmcnt(0) lgkmcnt(0)
	v_ashrrev_i32_e32 v11, 31, v10
	v_lshrrev_b64 v[10:11], 1, v[10:11]
.LBB6_568:                              ;   in Loop: Header=BB6_548 Depth=3
	s_or_b64 exec, exec, s[92:93]
	s_orn2_b64 s[28:29], vcc, exec
.LBB6_569:                              ;   in Loop: Header=BB6_548 Depth=3
	s_or_b64 exec, exec, s[90:91]
	s_and_saveexec_b64 s[90:91], s[28:29]
	s_cbranch_execz .LBB6_571
; %bb.570:                              ;   in Loop: Header=BB6_548 Depth=3
	v_mul_lo_u32 v0, v9, v50
	v_mul_lo_u32 v9, v8, v45
	v_mad_u64_u32 v[10:11], s[28:29], v8, v50, 0
	v_add3_u32 v11, v11, v9, v0
.LBB6_571:                              ;   in Loop: Header=BB6_548 Depth=3
	s_or_b64 exec, exec, s[90:91]
	v_lshlrev_b64 v[8:9], 1, v[10:11]
	v_cmp_eq_u32_e32 vcc, 0, v14
	v_mov_b32_e32 v0, 0x90
	v_cndmask_b32_e32 v0, v61, v0, vcc
	v_add_co_u32_e32 v8, vcc, v5, v8
	v_addc_co_u32_e32 v9, vcc, v6, v9, vcc
	v_add_u32_e32 v0, v0, v0
	ds_write_b64 v0, v[8:9] offset:584
	v_and_b32_e32 v0, 0x2000, v62
	v_cmp_ne_u32_e32 vcc, 0, v0
	s_and_saveexec_b64 s[28:29], vcc
	s_cbranch_execz .LBB6_573
; %bb.572:                              ;   in Loop: Header=BB6_548 Depth=3
	ds_read_b64 v[8:9], v0 offset:872
	s_waitcnt lgkmcnt(0)
	v_add_co_u32_e32 v8, vcc, 1, v8
	v_addc_co_u32_e32 v9, vcc, 0, v9, vcc
	ds_write_b64 v0, v[8:9] offset:872
.LBB6_573:                              ;   in Loop: Header=BB6_548 Depth=3
	s_or_b64 exec, exec, s[28:29]
	v_mov_b32_e32 v41, v4
	v_mov_b32_e32 v40, v3
.LBB6_574:                              ;   in Loop: Header=BB6_548 Depth=3
	s_or_b64 exec, exec, s[88:89]
	s_xor_b64 s[28:29], s[44:45], -1
	s_and_b64 s[28:29], exec, s[28:29]
	s_or_b64 s[42:43], s[28:29], s[42:43]
	s_and_saveexec_b64 s[28:29], s[10:11]
	s_cbranch_execz .LBB6_593
; %bb.575:                              ;   in Loop: Header=BB6_548 Depth=3
	s_and_saveexec_b64 s[44:45], s[60:61]
	s_xor_b64 s[44:45], exec, s[44:45]
	s_cbranch_execz .LBB6_590
; %bb.576:                              ;   in Loop: Header=BB6_548 Depth=3
	s_and_saveexec_b64 s[88:89], s[16:17]
	s_cbranch_execz .LBB6_589
; %bb.577:                              ;   in Loop: Header=BB6_548 Depth=3
	s_mov_b64 s[92:93], exec
	v_mbcnt_lo_u32_b32 v0, s92, 0
	v_mbcnt_hi_u32_b32 v0, s93, v0
	v_cmp_eq_u32_e32 vcc, 0, v0
	s_waitcnt vmcnt(0) lgkmcnt(0)
	buffer_wbinvl1_vol
	s_and_saveexec_b64 s[90:91], vcc
	s_cbranch_execz .LBB6_579
; %bb.578:                              ;   in Loop: Header=BB6_548 Depth=3
	s_bcnt1_i32_b64 s58, s[92:93]
	v_mov_b32_e32 v3, s58
	v_mov_b32_e32 v4, v2
	ds_add_u64 v0, v[3:4]
	s_trap 2
.LBB6_579:                              ;   in Loop: Header=BB6_548 Depth=3
	s_or_b64 exec, exec, s[90:91]
	s_trap 2
	ds_read_b64 v[3:4], v0
	s_waitcnt lgkmcnt(0)
	v_add_co_u32_e32 v48, vcc, v48, v51
	v_addc_co_u32_e32 v49, vcc, 0, v49, vcc
	v_cmp_lt_u64_e32 vcc, v[3:4], v[48:49]
	s_and_saveexec_b64 s[90:91], vcc
	s_cbranch_execz .LBB6_588
; %bb.580:                              ;   in Loop: Header=BB6_548 Depth=3
	s_mov_b32 s58, 0
	s_mov_b64 s[92:93], 0
                                        ; implicit-def: $sgpr94_sgpr95
                                        ; implicit-def: $sgpr30_sgpr31
	s_branch .LBB6_582
.LBB6_581:                              ;   in Loop: Header=BB6_582 Depth=4
	s_or_b64 exec, exec, s[36:37]
	s_and_b64 vcc, exec, vcc
	s_or_b64 s[92:93], vcc, s[92:93]
	s_andn2_b64 s[94:95], s[94:95], exec
	s_and_b64 vcc, s[30:31], exec
	s_or_b64 s[94:95], s[94:95], vcc
	s_andn2_b64 exec, exec, s[92:93]
	s_cbranch_execz .LBB6_586
.LBB6_582:                              ;   Parent Loop BB6_47 Depth=1
                                        ;     Parent Loop BB6_269 Depth=2
                                        ;       Parent Loop BB6_548 Depth=3
                                        ; =>      This Inner Loop Header: Depth=4
	s_add_i32 s58, s58, 1
	s_cmpk_lg_i32 s58, 0x2710
	s_cselect_b64 s[34:35], -1, 0
	s_and_b64 vcc, exec, s[34:35]
	s_cbranch_vccz .LBB6_584
; %bb.583:                              ;   in Loop: Header=BB6_582 Depth=4
	s_mov_b64 vcc, -1
	s_or_b64 s[30:31], s[30:31], exec
	s_and_saveexec_b64 s[36:37], s[34:35]
	s_cbranch_execz .LBB6_581
	s_branch .LBB6_585
.LBB6_584:                              ;   in Loop: Header=BB6_582 Depth=4
	s_trap 2
	ds_read_b64 v[3:4], v0
	s_andn2_b64 s[34:35], s[34:35], exec
	s_mov_b32 s58, 0
	s_waitcnt lgkmcnt(0)
	flat_load_dword v0, v[3:4] glc
	s_waitcnt vmcnt(0) lgkmcnt(0)
	buffer_wbinvl1_vol
	v_cmp_eq_u32_e32 vcc, 0, v0
	s_and_b64 vcc, vcc, exec
	s_or_b64 s[34:35], s[34:35], vcc
	s_mov_b64 vcc, -1
	s_or_b64 s[30:31], s[30:31], exec
	s_and_saveexec_b64 s[36:37], s[34:35]
	s_cbranch_execz .LBB6_581
.LBB6_585:                              ;   in Loop: Header=BB6_582 Depth=4
	s_sleep 1
	s_trap 2
	ds_read_b64 v[3:4], v0
	s_waitcnt lgkmcnt(0)
	s_andn2_b64 s[30:31], s[30:31], exec
	v_cmp_ge_u64_e32 vcc, v[3:4], v[48:49]
	s_orn2_b64 vcc, vcc, exec
	s_branch .LBB6_581
.LBB6_586:                              ;   in Loop: Header=BB6_548 Depth=3
	s_or_b64 exec, exec, s[92:93]
	s_and_saveexec_b64 s[92:93], s[94:95]
	s_xor_b64 s[92:93], exec, s[92:93]
	s_cbranch_execz .LBB6_588
; %bb.587:                              ;   in Loop: Header=BB6_548 Depth=3
	ds_write_b32 v0, v60
	s_trap 2
.LBB6_588:                              ;   in Loop: Header=BB6_548 Depth=3
	s_or_b64 exec, exec, s[90:91]
	;;#ASMSTART
	s_wakeup
	;;#ASMEND
.LBB6_589:                              ;   in Loop: Header=BB6_548 Depth=3
	s_or_b64 exec, exec, s[88:89]
.LBB6_590:                              ;   in Loop: Header=BB6_548 Depth=3
	s_andn2_saveexec_b64 s[44:45], s[44:45]
	s_cbranch_execz .LBB6_592
; %bb.591:                              ;   in Loop: Header=BB6_548 Depth=3
	s_waitcnt vmcnt(0) lgkmcnt(0)
	buffer_wbinvl1_vol
	s_barrier
.LBB6_592:                              ;   in Loop: Header=BB6_548 Depth=3
	s_or_b64 exec, exec, s[44:45]
.LBB6_593:                              ;   in Loop: Header=BB6_548 Depth=3
	s_or_b64 exec, exec, s[28:29]
                                        ; implicit-def: $vgpr3
	s_and_saveexec_b64 s[28:29], s[74:75]
	s_xor_b64 s[28:29], exec, s[28:29]
	s_cbranch_execz .LBB6_605
; %bb.594:                              ;   in Loop: Header=BB6_548 Depth=3
	s_and_saveexec_b64 s[44:45], s[60:61]
	s_xor_b64 s[44:45], exec, s[44:45]
	s_cbranch_execz .LBB6_610
; %bb.595:                              ;   in Loop: Header=BB6_548 Depth=3
	s_and_saveexec_b64 s[88:89], s[16:17]
	s_cbranch_execz .LBB6_609
; %bb.596:                              ;   in Loop: Header=BB6_548 Depth=3
	s_mov_b64 s[92:93], exec
	v_mbcnt_lo_u32_b32 v0, s92, 0
	v_mbcnt_hi_u32_b32 v0, s93, v0
	v_cmp_eq_u32_e32 vcc, 0, v0
	;;#ASMSTART
	s_waitcnt lgkmcnt(0) vmcnt(0)
	;;#ASMEND
	s_and_saveexec_b64 s[90:91], vcc
	s_cbranch_execz .LBB6_598
; %bb.597:                              ;   in Loop: Header=BB6_548 Depth=3
	s_bcnt1_i32_b64 s58, s[92:93]
	v_mov_b32_e32 v3, s58
	v_mov_b32_e32 v4, v2
	s_waitcnt lgkmcnt(0)
	ds_add_u64 v0, v[3:4]
	s_trap 2
.LBB6_598:                              ;   in Loop: Header=BB6_548 Depth=3
	s_or_b64 exec, exec, s[90:91]
	s_trap 2
	ds_read_b64 v[3:4], v0
	s_waitcnt lgkmcnt(0)
	v_add_co_u32_e32 v48, vcc, v48, v51
	v_addc_co_u32_e32 v49, vcc, 0, v49, vcc
	v_cmp_lt_u64_e32 vcc, v[3:4], v[48:49]
	s_and_saveexec_b64 s[90:91], vcc
	s_cbranch_execz .LBB6_608
; %bb.599:                              ;   in Loop: Header=BB6_548 Depth=3
	s_mov_b32 s58, 0
	s_mov_b64 s[92:93], 0
                                        ; implicit-def: $sgpr94_sgpr95
                                        ; implicit-def: $sgpr30_sgpr31
	s_branch .LBB6_601
.LBB6_600:                              ;   in Loop: Header=BB6_601 Depth=4
	s_or_b64 exec, exec, s[36:37]
	s_and_b64 vcc, exec, vcc
	s_or_b64 s[92:93], vcc, s[92:93]
	s_andn2_b64 s[94:95], s[94:95], exec
	s_and_b64 vcc, s[30:31], exec
	s_or_b64 s[94:95], s[94:95], vcc
	s_andn2_b64 exec, exec, s[92:93]
	s_cbranch_execz .LBB6_606
.LBB6_601:                              ;   Parent Loop BB6_47 Depth=1
                                        ;     Parent Loop BB6_269 Depth=2
                                        ;       Parent Loop BB6_548 Depth=3
                                        ; =>      This Inner Loop Header: Depth=4
	s_add_i32 s58, s58, 1
	s_cmpk_lg_i32 s58, 0x2710
	s_cselect_b64 s[34:35], -1, 0
	s_and_b64 vcc, exec, s[34:35]
	s_cbranch_vccz .LBB6_603
; %bb.602:                              ;   in Loop: Header=BB6_601 Depth=4
	s_mov_b64 vcc, -1
	s_or_b64 s[30:31], s[30:31], exec
	s_and_saveexec_b64 s[36:37], s[34:35]
	s_cbranch_execz .LBB6_600
	s_branch .LBB6_604
.LBB6_603:                              ;   in Loop: Header=BB6_601 Depth=4
	s_trap 2
	ds_read_b64 v[3:4], v0
	s_andn2_b64 s[34:35], s[34:35], exec
	s_mov_b32 s58, 0
	s_waitcnt vmcnt(0) lgkmcnt(0)
	flat_load_dword v0, v[3:4] glc
	s_waitcnt vmcnt(0) lgkmcnt(0)
	buffer_wbinvl1_vol
	v_cmp_eq_u32_e32 vcc, 0, v0
	s_and_b64 vcc, vcc, exec
	s_or_b64 s[34:35], s[34:35], vcc
	s_mov_b64 vcc, -1
	s_or_b64 s[30:31], s[30:31], exec
	s_and_saveexec_b64 s[36:37], s[34:35]
	s_cbranch_execz .LBB6_600
.LBB6_604:                              ;   in Loop: Header=BB6_601 Depth=4
	s_sleep 1
	s_trap 2
	ds_read_b64 v[3:4], v0
	s_waitcnt lgkmcnt(0)
	s_andn2_b64 s[30:31], s[30:31], exec
	v_cmp_ge_u64_e32 vcc, v[3:4], v[48:49]
	s_orn2_b64 vcc, vcc, exec
	s_branch .LBB6_600
.LBB6_605:                              ;   in Loop: Header=BB6_548 Depth=3
	s_andn2_saveexec_b64 s[28:29], s[28:29]
	s_cbranch_execnz .LBB6_613
	s_branch .LBB6_616
.LBB6_606:                              ;   in Loop: Header=BB6_548 Depth=3
	s_or_b64 exec, exec, s[92:93]
	s_and_saveexec_b64 s[92:93], s[94:95]
	s_xor_b64 s[92:93], exec, s[92:93]
	s_cbranch_execz .LBB6_608
; %bb.607:                              ;   in Loop: Header=BB6_548 Depth=3
	ds_write_b32 v0, v60
	s_trap 2
.LBB6_608:                              ;   in Loop: Header=BB6_548 Depth=3
	s_or_b64 exec, exec, s[90:91]
	;;#ASMSTART
	s_wakeup
	;;#ASMEND
.LBB6_609:                              ;   in Loop: Header=BB6_548 Depth=3
	s_or_b64 exec, exec, s[88:89]
.LBB6_610:                              ;   in Loop: Header=BB6_548 Depth=3
	s_andn2_saveexec_b64 s[44:45], s[44:45]
	s_cbranch_execz .LBB6_612
; %bb.611:                              ;   in Loop: Header=BB6_548 Depth=3
	;;#ASMSTART
	s_waitcnt lgkmcnt(0) vmcnt(0)
	;;#ASMEND
	s_waitcnt vmcnt(0) lgkmcnt(0)
	s_barrier
.LBB6_612:                              ;   in Loop: Header=BB6_548 Depth=3
	s_or_b64 exec, exec, s[44:45]
	v_and_b32_e32 v3, 16, v62
	s_andn2_saveexec_b64 s[28:29], s[28:29]
	s_cbranch_execz .LBB6_616
.LBB6_613:                              ;   in Loop: Header=BB6_548 Depth=3
	s_trap 2
	ds_read_b32 v0, v0
	v_cmp_lt_i32_e32 vcc, 0, v46
	v_and_b32_e32 v3, 16, v62
	s_waitcnt lgkmcnt(0)
	v_readfirstlane_b32 s44, v0
	s_cmp_eq_u32 s44, 0
	s_cselect_b64 s[44:45], -1, 0
	v_and_b32_e32 v0, 16, v62
	s_and_b64 s[44:45], vcc, s[44:45]
	v_cmp_ne_u32_e32 vcc, 0, v0
	s_and_b64 s[88:89], vcc, s[44:45]
	s_and_saveexec_b64 s[44:45], s[88:89]
	s_cbranch_execz .LBB6_615
; %bb.614:                              ;   in Loop: Header=BB6_548 Depth=3
	v_mov_b32_e32 v3, 1
	s_waitcnt vmcnt(0)
	buffer_wbinvl1_vol
.LBB6_615:                              ;   in Loop: Header=BB6_548 Depth=3
	s_or_b64 exec, exec, s[44:45]
.LBB6_616:                              ;   in Loop: Header=BB6_548 Depth=3
	s_or_b64 exec, exec, s[28:29]
	v_cmp_ne_u32_e32 vcc, 0, v3
	s_xor_b64 s[28:29], s[12:13], -1
	s_and_b64 s[44:45], vcc, s[28:29]
	s_and_saveexec_b64 s[28:29], s[44:45]
	s_cbranch_execz .LBB6_618
; %bb.617:                              ;   in Loop: Header=BB6_548 Depth=3
	flat_store_dword v[36:37], v60
.LBB6_618:                              ;   in Loop: Header=BB6_548 Depth=3
	s_or_b64 exec, exec, s[28:29]
	v_and_b32_e32 v0, 48, v62
	v_cmp_ne_u32_e32 vcc, 0, v0
	s_and_saveexec_b64 s[28:29], vcc
	s_cbranch_execz .LBB6_547
; %bb.619:                              ;   in Loop: Header=BB6_548 Depth=3
	v_add_co_u32_e32 v40, vcc, 2, v40
	v_addc_co_u32_e32 v41, vcc, 0, v41, vcc
	flat_store_dwordx2 v[32:33], v[40:41]
	s_branch .LBB6_547
.LBB6_620:                              ;   in Loop: Header=BB6_47 Depth=1
	buffer_load_dword v10, off, s[0:3], s33 offset:128 ; 4-byte Folded Reload
	buffer_load_dword v11, off, s[0:3], s33 offset:132 ; 4-byte Folded Reload
	v_mov_b32_e32 v56, 0
	s_waitcnt vmcnt(0)
	v_mul_lo_u32 v8, v10, s55
	v_mul_lo_u32 v0, v11, s54
	v_mad_u64_u32 v[3:4], s[28:29], v10, s54, 0
	v_add3_u32 v4, v4, v8, v0
	buffer_load_dword v8, off, s[0:3], s33 offset:120 ; 4-byte Folded Reload
	buffer_load_dword v9, off, s[0:3], s33 offset:124 ; 4-byte Folded Reload
	s_waitcnt vmcnt(0)
	v_sub_co_u32_e32 v8, vcc, v8, v3
	v_subb_co_u32_e32 v9, vcc, v9, v4, vcc
	v_cmp_lt_i64_e32 vcc, v[10:11], v[8:9]
	v_cndmask_b32_e32 v0, v8, v10, vcc
	v_max_i32_e32 v34, 0, v0
	v_add_u32_e32 v9, 31, v34
	v_lshrrev_b32_e32 v9, 1, v9
	v_and_b32_e32 v9, 0x3ffffff0, v9
	v_cmp_lt_i32_e32 vcc, 0, v0
	v_mov_b32_e32 v8, 0
	v_max_i32_e32 v46, s82, v9
	s_and_b64 s[28:29], s[76:77], vcc
	s_and_saveexec_b64 s[88:89], s[28:29]
	s_cbranch_execz .LBB6_1061
; %bb.621:                              ;   in Loop: Header=BB6_47 Depth=1
	buffer_load_dword v8, off, s[0:3], s33 offset:100 ; 4-byte Folded Reload
	buffer_load_dword v9, off, s[0:3], s33 offset:104 ; 4-byte Folded Reload
	s_mov_b32 s79, 1
	s_mov_b64 s[92:93], -1
	v_mov_b32_e32 v56, 0
	s_mov_b64 s[90:91], 0
	s_waitcnt vmcnt(0)
	v_add_co_u32_e32 v3, vcc, v3, v8
	v_addc_co_u32_e32 v4, vcc, v4, v9, vcc
	v_lshlrev_b64 v[3:4], 1, v[3:4]
	buffer_store_dword v3, off, s[0:3], s33 offset:156 ; 4-byte Folded Spill
	s_nop 0
	buffer_store_dword v4, off, s[0:3], s33 offset:160 ; 4-byte Folded Spill
	s_branch .LBB6_623
.LBB6_622:                              ;   in Loop: Header=BB6_623 Depth=2
	s_or_b64 exec, exec, s[28:29]
	v_add_u32_e32 v56, v46, v56
	v_cmp_ge_i32_e32 vcc, v56, v34
	s_xor_b64 s[28:29], s[92:93], -1
	s_or_b64 s[28:29], s[28:29], vcc
	s_and_b64 s[28:29], exec, s[28:29]
	s_or_b64 s[90:91], s[28:29], s[90:91]
	s_mov_b64 s[92:93], 0
	v_mov_b32_e32 v8, s79
	s_mov_b32 s79, 2
	s_andn2_b64 exec, exec, s[90:91]
	s_cbranch_execz .LBB6_1060
.LBB6_623:                              ;   Parent Loop BB6_47 Depth=1
                                        ; =>  This Loop Header: Depth=2
                                        ;       Child Loop BB6_631 Depth 3
                                        ;       Child Loop BB6_659 Depth 3
	;; [unrolled: 1-line block ×9, first 2 shown]
                                        ;         Child Loop BB6_809 Depth 4
                                        ;       Child Loop BB6_817 Depth 3
                                        ;       Child Loop BB6_853 Depth 3
                                        ;         Child Loop BB6_858 Depth 4
                                        ;       Child Loop BB6_1026 Depth 3
                                        ;       Child Loop BB6_1045 Depth 3
	s_and_saveexec_b64 s[28:29], s[4:5]
	s_cbranch_execz .LBB6_625
; %bb.624:                              ;   in Loop: Header=BB6_623 Depth=2
	s_trap 2
	ds_read2_b64 v[8:11], v0 offset1:1
	buffer_load_dword v12, off, s[0:3], s33 offset:156 ; 4-byte Folded Reload
	buffer_load_dword v13, off, s[0:3], s33 offset:160 ; 4-byte Folded Reload
	v_ashrrev_i32_e32 v57, 31, v56
	v_lshlrev_b64 v[3:4], 1, v[56:57]
	s_waitcnt vmcnt(0) lgkmcnt(0)
	v_add_co_u32_e32 v0, vcc, v8, v12
	v_addc_co_u32_e32 v9, vcc, v9, v13, vcc
	v_add_co_u32_e32 v8, vcc, v0, v3
	v_addc_co_u32_e32 v9, vcc, v9, v4, vcc
	ds_write_b64 v0, v[8:9]
	v_add_co_u32_e32 v0, vcc, v10, v12
	v_addc_co_u32_e32 v9, vcc, v11, v13, vcc
	v_add_co_u32_e32 v8, vcc, v0, v3
	v_addc_co_u32_e32 v9, vcc, v9, v4, vcc
	ds_write_b64 v0, v[8:9]
	ds_read_b64 v[8:9], v0
	s_waitcnt lgkmcnt(0)
	v_add_co_u32_e32 v0, vcc, v8, v12
	v_addc_co_u32_e32 v10, vcc, v9, v13, vcc
	v_add_co_u32_e32 v0, vcc, v0, v3
	v_addc_co_u32_e32 v3, vcc, v10, v4, vcc
	v_cmp_ne_u64_e32 vcc, 0, v[8:9]
	v_cndmask_b32_e32 v4, 0, v3, vcc
	v_cndmask_b32_e32 v3, 0, v0, vcc
	ds_write_b64 v0, v[3:4]
.LBB6_625:                              ;   in Loop: Header=BB6_623 Depth=2
	s_or_b64 exec, exec, s[28:29]
	v_sub_u32_e32 v0, v34, v56
	v_min_i32_e32 v46, v46, v0
	v_and_b32_e32 v0, 12, v62
	v_cmp_ne_u32_e32 vcc, 0, v0
	s_and_saveexec_b64 s[40:41], vcc
	s_cbranch_execz .LBB6_651
; %bb.626:                              ;   in Loop: Header=BB6_623 Depth=2
	v_and_b32_e32 v14, 8, v62
	s_waitcnt vmcnt(0) lgkmcnt(0)
	v_add_co_u32_e32 v8, vcc, v38, v14
	v_addc_co_u32_e32 v9, vcc, 0, v39, vcc
	v_add_co_u32_e32 v3, vcc, 2, v40
	v_addc_co_u32_e32 v4, vcc, 0, v41, vcc
	v_cmp_lt_u64_e32 vcc, v[8:9], v[3:4]
	s_and_saveexec_b64 s[42:43], vcc
	s_cbranch_execz .LBB6_638
; %bb.627:                              ;   in Loop: Header=BB6_623 Depth=2
	v_and_b32_e32 v0, 64, v62
	s_mov_b32 s58, 0
	v_cmp_eq_u32_e32 vcc, 0, v0
	s_mov_b64 s[44:45], 0
                                        ; implicit-def: $sgpr94_sgpr95
                                        ; implicit-def: $sgpr30_sgpr31
                                        ; implicit-def: $sgpr34_sgpr35
	s_branch .LBB6_631
.LBB6_628:                              ;   in Loop: Header=BB6_631 Depth=3
	s_waitcnt vmcnt(0) lgkmcnt(0)
	v_add_co_u32_e64 v9, s[28:29], v38, v14
	v_addc_co_u32_e64 v10, s[28:29], 0, v39, s[28:29]
	v_cmp_ge_u64_e64 s[28:29], v[9:10], v[3:4]
	s_or_b64 s[48:49], s[48:49], exec
	s_orn2_b64 s[38:39], s[28:29], exec
.LBB6_629:                              ;   in Loop: Header=BB6_631 Depth=3
	s_or_b64 exec, exec, s[52:53]
	s_andn2_b64 s[28:29], s[34:35], exec
	s_and_b64 s[34:35], s[48:49], exec
	s_or_b64 s[34:35], s[28:29], s[34:35]
	s_andn2_b64 s[28:29], s[30:31], exec
	s_and_b64 s[30:31], s[38:39], exec
	s_or_b64 s[30:31], s[28:29], s[30:31]
.LBB6_630:                              ;   in Loop: Header=BB6_631 Depth=3
	s_or_b64 exec, exec, s[36:37]
	s_and_b64 s[28:29], exec, s[30:31]
	s_or_b64 s[44:45], s[28:29], s[44:45]
	s_andn2_b64 s[28:29], s[94:95], exec
	s_and_b64 s[94:95], s[34:35], exec
	s_or_b64 s[94:95], s[28:29], s[94:95]
	s_andn2_b64 exec, exec, s[44:45]
	s_cbranch_execz .LBB6_635
.LBB6_631:                              ;   Parent Loop BB6_47 Depth=1
                                        ;     Parent Loop BB6_623 Depth=2
                                        ; =>    This Inner Loop Header: Depth=3
	s_sleep 1
	s_waitcnt vmcnt(0) lgkmcnt(0)
	flat_load_dwordx2 v[38:39], v[32:33] glc
	s_or_b64 s[34:35], s[34:35], exec
	s_or_b64 s[30:31], s[30:31], exec
                                        ; implicit-def: $vgpr8
	s_and_saveexec_b64 s[36:37], vcc
	s_cbranch_execz .LBB6_630
; %bb.632:                              ;   in Loop: Header=BB6_631 Depth=3
	s_cmpk_lt_i32 s58, 0x270f
	s_cselect_b64 s[50:51], -1, 0
	s_cmpk_gt_i32 s58, 0x270e
	s_mov_b64 s[38:39], -1
	s_cbranch_scc0 .LBB6_634
; %bb.633:                              ;   in Loop: Header=BB6_631 Depth=3
	s_trap 2
	ds_read_b64 v[8:9], v0
	s_andn2_b64 s[50:51], s[50:51], exec
	s_mov_b32 s58, 0
	s_mov_b64 s[48:49], 0
	s_waitcnt vmcnt(0) lgkmcnt(0)
	flat_load_dword v8, v[8:9] glc
	s_waitcnt vmcnt(0) lgkmcnt(0)
	buffer_wbinvl1_vol
	v_cmp_eq_u32_e64 s[28:29], 0, v8
	s_and_b64 s[28:29], s[28:29], exec
	s_or_b64 s[50:51], s[50:51], s[28:29]
	s_and_saveexec_b64 s[52:53], s[50:51]
	s_cbranch_execz .LBB6_629
	s_branch .LBB6_628
.LBB6_634:                              ;   in Loop: Header=BB6_631 Depth=3
	s_add_i32 s58, s58, 1
	s_mov_b64 s[48:49], -1
                                        ; implicit-def: $vgpr8
	s_and_saveexec_b64 s[52:53], s[50:51]
	s_cbranch_execz .LBB6_629
	s_branch .LBB6_628
.LBB6_635:                              ;   in Loop: Header=BB6_623 Depth=2
	s_or_b64 exec, exec, s[44:45]
	s_xor_b64 s[28:29], s[94:95], -1
	s_and_saveexec_b64 s[44:45], s[28:29]
	s_xor_b64 s[28:29], exec, s[44:45]
	s_cbranch_execz .LBB6_637
; %bb.636:                              ;   in Loop: Header=BB6_623 Depth=2
	v_or_b32_e32 v62, 64, v62
	s_waitcnt lgkmcnt(0)
	ds_write_b32 v0, v8
	s_trap 2
.LBB6_637:                              ;   in Loop: Header=BB6_623 Depth=2
	s_or_b64 exec, exec, s[28:29]
.LBB6_638:                              ;   in Loop: Header=BB6_623 Depth=2
	s_or_b64 exec, exec, s[42:43]
	v_and_b32_e32 v0, 0x108, v62
	v_cmp_ne_u32_e32 vcc, s65, v0
	;;#ASMSTART
	s_wakeup
	;;#ASMEND
                                        ; implicit-def: $vgpr8_vgpr9
	s_and_saveexec_b64 s[28:29], vcc
	s_xor_b64 s[28:29], exec, s[28:29]
; %bb.639:                              ;   in Loop: Header=BB6_623 Depth=2
	v_and_b32_e32 v8, 7, v40
	v_mov_b32_e32 v9, v2
                                        ; implicit-def: $vgpr40_vgpr41
; %bb.640:                              ;   in Loop: Header=BB6_623 Depth=2
	s_andn2_saveexec_b64 s[28:29], s[28:29]
	s_cbranch_execz .LBB6_642
; %bb.641:                              ;   in Loop: Header=BB6_623 Depth=2
	buffer_load_dword v9, off, s[0:3], s33 offset:60 ; 4-byte Folded Reload
	buffer_load_dword v10, off, s[0:3], s33 offset:64 ; 4-byte Folded Reload
	;; [unrolled: 1-line block ×4, first 2 shown]
	v_and_b32_e32 v8, 7, v40
	v_ashrrev_i32_e32 v47, 31, v46
	s_waitcnt vmcnt(0)
	v_lshlrev_b64 v[12:13], 1, v[46:47]
	v_mad_u64_u32 v[10:11], s[42:43], v8, 24, v[9:10]
	v_mov_b32_e32 v9, v2
	flat_store_dwordx2 v[10:11], v[12:13] offset:8
.LBB6_642:                              ;   in Loop: Header=BB6_623 Depth=2
	s_or_b64 exec, exec, s[28:29]
	v_and_b32_e32 v0, 0x100, v62
	v_cmp_ne_u32_e32 vcc, 0, v0
	s_mov_b64 s[28:29], -1
                                        ; implicit-def: $vgpr10_vgpr11
	s_and_saveexec_b64 s[42:43], vcc
	s_cbranch_execz .LBB6_646
; %bb.643:                              ;   in Loop: Header=BB6_623 Depth=2
	buffer_load_dword v10, off, s[0:3], s33 offset:60 ; 4-byte Folded Reload
	buffer_load_dword v11, off, s[0:3], s33 offset:64 ; 4-byte Folded Reload
	;; [unrolled: 1-line block ×4, first 2 shown]
	s_waitcnt vmcnt(0)
	v_mad_u64_u32 v[12:13], s[28:29], v8, 24, v[10:11]
	v_mov_b32_e32 v0, v13
	v_mad_u64_u32 v[10:11], s[28:29], v9, 24, v[0:1]
	v_mov_b32_e32 v13, v10
	flat_load_dword v0, v[12:13]
                                        ; implicit-def: $vgpr10_vgpr11
	s_waitcnt vmcnt(0) lgkmcnt(0)
	v_cmp_ne_u32_e32 vcc, 1, v0
	v_cmp_eq_u32_e64 s[28:29], 1, v0
	s_and_saveexec_b64 s[44:45], s[28:29]
	s_cbranch_execz .LBB6_645
; %bb.644:                              ;   in Loop: Header=BB6_623 Depth=2
	flat_load_dword v10, v[12:13] offset:4 glc
	s_waitcnt vmcnt(0) lgkmcnt(0)
	v_ashrrev_i32_e32 v11, 31, v10
	v_lshrrev_b64 v[10:11], 1, v[10:11]
.LBB6_645:                              ;   in Loop: Header=BB6_623 Depth=2
	s_or_b64 exec, exec, s[44:45]
	s_orn2_b64 s[28:29], vcc, exec
.LBB6_646:                              ;   in Loop: Header=BB6_623 Depth=2
	s_or_b64 exec, exec, s[42:43]
	s_and_saveexec_b64 s[42:43], s[28:29]
	s_cbranch_execz .LBB6_648
; %bb.647:                              ;   in Loop: Header=BB6_623 Depth=2
	v_mul_lo_u32 v0, v9, v50
	v_mul_lo_u32 v9, v8, v45
	v_mad_u64_u32 v[10:11], s[28:29], v8, v50, 0
	v_add3_u32 v11, v11, v9, v0
.LBB6_648:                              ;   in Loop: Header=BB6_623 Depth=2
	s_or_b64 exec, exec, s[42:43]
	v_cmp_eq_u32_e32 vcc, 0, v14
	v_mov_b32_e32 v0, 0x90
	v_mov_b32_e32 v8, 0xd0
	v_cndmask_b32_e32 v0, v8, v0, vcc
	v_lshlrev_b64 v[8:9], 1, v[10:11]
	v_add_u32_e32 v0, v0, v0
	v_add_co_u32_e32 v8, vcc, v5, v8
	v_addc_co_u32_e32 v9, vcc, v6, v9, vcc
	ds_write_b64 v0, v[8:9] offset:584
	v_and_b32_e32 v0, 0x2000, v62
	v_cmp_ne_u32_e32 vcc, 0, v0
	s_and_saveexec_b64 s[28:29], vcc
	s_cbranch_execz .LBB6_650
; %bb.649:                              ;   in Loop: Header=BB6_623 Depth=2
	ds_read_b64 v[8:9], v0 offset:872
	s_waitcnt lgkmcnt(0)
	v_add_co_u32_e32 v8, vcc, 1, v8
	v_addc_co_u32_e32 v9, vcc, 0, v9, vcc
	ds_write_b64 v0, v[8:9] offset:872
.LBB6_650:                              ;   in Loop: Header=BB6_623 Depth=2
	s_or_b64 exec, exec, s[28:29]
	v_mov_b32_e32 v41, v4
	v_mov_b32_e32 v40, v3
.LBB6_651:                              ;   in Loop: Header=BB6_623 Depth=2
	s_or_b64 exec, exec, s[40:41]
	s_and_saveexec_b64 s[28:29], s[10:11]
	s_cbranch_execz .LBB6_670
; %bb.652:                              ;   in Loop: Header=BB6_623 Depth=2
	s_and_saveexec_b64 s[40:41], s[60:61]
	s_xor_b64 s[40:41], exec, s[40:41]
	s_cbranch_execz .LBB6_667
; %bb.653:                              ;   in Loop: Header=BB6_623 Depth=2
	s_and_saveexec_b64 s[42:43], s[16:17]
	s_cbranch_execz .LBB6_666
; %bb.654:                              ;   in Loop: Header=BB6_623 Depth=2
	s_mov_b64 s[94:95], exec
	v_mbcnt_lo_u32_b32 v0, s94, 0
	v_mbcnt_hi_u32_b32 v0, s95, v0
	v_cmp_eq_u32_e32 vcc, 0, v0
	s_waitcnt vmcnt(0) lgkmcnt(0)
	buffer_wbinvl1_vol
	s_and_saveexec_b64 s[44:45], vcc
	s_cbranch_execz .LBB6_656
; %bb.655:                              ;   in Loop: Header=BB6_623 Depth=2
	s_bcnt1_i32_b64 s58, s[94:95]
	v_mov_b32_e32 v3, s58
	v_mov_b32_e32 v4, v2
	ds_add_u64 v0, v[3:4]
	s_trap 2
.LBB6_656:                              ;   in Loop: Header=BB6_623 Depth=2
	s_or_b64 exec, exec, s[44:45]
	s_trap 2
	ds_read_b64 v[3:4], v0
	s_waitcnt lgkmcnt(0)
	v_add_co_u32_e32 v48, vcc, v48, v51
	v_addc_co_u32_e32 v49, vcc, 0, v49, vcc
	v_cmp_lt_u64_e32 vcc, v[3:4], v[48:49]
	s_and_saveexec_b64 s[44:45], vcc
	s_cbranch_execz .LBB6_665
; %bb.657:                              ;   in Loop: Header=BB6_623 Depth=2
	s_mov_b32 s58, 0
	s_mov_b64 s[94:95], 0
                                        ; implicit-def: $sgpr30_sgpr31
                                        ; implicit-def: $sgpr34_sgpr35
	s_branch .LBB6_659
.LBB6_658:                              ;   in Loop: Header=BB6_659 Depth=3
	s_or_b64 exec, exec, s[38:39]
	s_and_b64 vcc, exec, vcc
	s_or_b64 s[94:95], vcc, s[94:95]
	s_andn2_b64 vcc, s[30:31], exec
	s_and_b64 s[30:31], s[34:35], exec
	s_or_b64 s[30:31], vcc, s[30:31]
	s_andn2_b64 exec, exec, s[94:95]
	s_cbranch_execz .LBB6_663
.LBB6_659:                              ;   Parent Loop BB6_47 Depth=1
                                        ;     Parent Loop BB6_623 Depth=2
                                        ; =>    This Inner Loop Header: Depth=3
	s_add_i32 s58, s58, 1
	s_cmpk_lg_i32 s58, 0x2710
	s_cselect_b64 s[36:37], -1, 0
	s_and_b64 vcc, exec, s[36:37]
	s_cbranch_vccz .LBB6_661
; %bb.660:                              ;   in Loop: Header=BB6_659 Depth=3
	s_mov_b64 vcc, -1
	s_or_b64 s[34:35], s[34:35], exec
	s_and_saveexec_b64 s[38:39], s[36:37]
	s_cbranch_execz .LBB6_658
	s_branch .LBB6_662
.LBB6_661:                              ;   in Loop: Header=BB6_659 Depth=3
	s_trap 2
	ds_read_b64 v[3:4], v0
	s_andn2_b64 s[36:37], s[36:37], exec
	s_mov_b32 s58, 0
	s_waitcnt lgkmcnt(0)
	flat_load_dword v0, v[3:4] glc
	s_waitcnt vmcnt(0) lgkmcnt(0)
	buffer_wbinvl1_vol
	v_cmp_eq_u32_e32 vcc, 0, v0
	s_and_b64 vcc, vcc, exec
	s_or_b64 s[36:37], s[36:37], vcc
	s_mov_b64 vcc, -1
	s_or_b64 s[34:35], s[34:35], exec
	s_and_saveexec_b64 s[38:39], s[36:37]
	s_cbranch_execz .LBB6_658
.LBB6_662:                              ;   in Loop: Header=BB6_659 Depth=3
	s_sleep 1
	s_trap 2
	ds_read_b64 v[3:4], v0
	s_waitcnt lgkmcnt(0)
	s_andn2_b64 s[34:35], s[34:35], exec
	v_cmp_ge_u64_e32 vcc, v[3:4], v[48:49]
	s_orn2_b64 vcc, vcc, exec
	s_branch .LBB6_658
.LBB6_663:                              ;   in Loop: Header=BB6_623 Depth=2
	s_or_b64 exec, exec, s[94:95]
	s_and_saveexec_b64 s[94:95], s[30:31]
	s_xor_b64 s[94:95], exec, s[94:95]
	s_cbranch_execz .LBB6_665
; %bb.664:                              ;   in Loop: Header=BB6_623 Depth=2
	ds_write_b32 v0, v60
	s_trap 2
.LBB6_665:                              ;   in Loop: Header=BB6_623 Depth=2
	s_or_b64 exec, exec, s[44:45]
	;;#ASMSTART
	s_wakeup
	;;#ASMEND
.LBB6_666:                              ;   in Loop: Header=BB6_623 Depth=2
	s_or_b64 exec, exec, s[42:43]
.LBB6_667:                              ;   in Loop: Header=BB6_623 Depth=2
	s_andn2_saveexec_b64 s[40:41], s[40:41]
	s_cbranch_execz .LBB6_669
; %bb.668:                              ;   in Loop: Header=BB6_623 Depth=2
	s_waitcnt vmcnt(0) lgkmcnt(0)
	buffer_wbinvl1_vol
	s_barrier
.LBB6_669:                              ;   in Loop: Header=BB6_623 Depth=2
	s_or_b64 exec, exec, s[40:41]
.LBB6_670:                              ;   in Loop: Header=BB6_623 Depth=2
	s_or_b64 exec, exec, s[28:29]
	s_trap 2
	ds_read_b32 v3, v0
	v_and_b32_e32 v0, 0x4000, v62
	v_cmp_ne_u32_e32 vcc, 0, v0
	s_xor_b64 s[28:29], s[6:7], -1
	s_and_b64 s[40:41], s[28:29], vcc
	s_and_saveexec_b64 s[28:29], s[40:41]
	s_cbranch_execz .LBB6_689
; %bb.671:                              ;   in Loop: Header=BB6_623 Depth=2
	s_and_saveexec_b64 s[40:41], s[60:61]
	s_xor_b64 s[40:41], exec, s[40:41]
	s_cbranch_execz .LBB6_686
; %bb.672:                              ;   in Loop: Header=BB6_623 Depth=2
	s_and_saveexec_b64 s[42:43], s[16:17]
	s_cbranch_execz .LBB6_685
; %bb.673:                              ;   in Loop: Header=BB6_623 Depth=2
	s_mov_b64 s[94:95], exec
	v_mbcnt_lo_u32_b32 v0, s94, 0
	v_mbcnt_hi_u32_b32 v0, s95, v0
	v_cmp_eq_u32_e32 vcc, 0, v0
	s_waitcnt vmcnt(0) lgkmcnt(0)
	buffer_wbinvl1_vol
	s_and_saveexec_b64 s[44:45], vcc
	s_cbranch_execz .LBB6_675
; %bb.674:                              ;   in Loop: Header=BB6_623 Depth=2
	s_bcnt1_i32_b64 s58, s[94:95]
	v_mov_b32_e32 v8, s58
	v_mov_b32_e32 v9, v2
	ds_add_u64 v0, v[8:9]
	s_trap 2
.LBB6_675:                              ;   in Loop: Header=BB6_623 Depth=2
	s_or_b64 exec, exec, s[44:45]
	s_trap 2
	ds_read_b64 v[8:9], v0
	s_waitcnt lgkmcnt(0)
	v_add_co_u32_e32 v48, vcc, v48, v51
	v_addc_co_u32_e32 v49, vcc, 0, v49, vcc
	v_cmp_lt_u64_e32 vcc, v[8:9], v[48:49]
	s_and_saveexec_b64 s[44:45], vcc
	s_cbranch_execz .LBB6_684
; %bb.676:                              ;   in Loop: Header=BB6_623 Depth=2
	s_mov_b32 s58, 0
	s_mov_b64 s[94:95], 0
                                        ; implicit-def: $sgpr30_sgpr31
                                        ; implicit-def: $sgpr34_sgpr35
	s_branch .LBB6_678
.LBB6_677:                              ;   in Loop: Header=BB6_678 Depth=3
	s_or_b64 exec, exec, s[38:39]
	s_and_b64 vcc, exec, vcc
	s_or_b64 s[94:95], vcc, s[94:95]
	s_andn2_b64 vcc, s[30:31], exec
	s_and_b64 s[30:31], s[34:35], exec
	s_or_b64 s[30:31], vcc, s[30:31]
	s_andn2_b64 exec, exec, s[94:95]
	s_cbranch_execz .LBB6_682
.LBB6_678:                              ;   Parent Loop BB6_47 Depth=1
                                        ;     Parent Loop BB6_623 Depth=2
                                        ; =>    This Inner Loop Header: Depth=3
	s_add_i32 s58, s58, 1
	s_cmpk_lg_i32 s58, 0x2710
	s_cselect_b64 s[36:37], -1, 0
	s_and_b64 vcc, exec, s[36:37]
	s_cbranch_vccz .LBB6_680
; %bb.679:                              ;   in Loop: Header=BB6_678 Depth=3
	s_mov_b64 vcc, -1
	s_or_b64 s[34:35], s[34:35], exec
	s_and_saveexec_b64 s[38:39], s[36:37]
	s_cbranch_execz .LBB6_677
	s_branch .LBB6_681
.LBB6_680:                              ;   in Loop: Header=BB6_678 Depth=3
	s_trap 2
	ds_read_b64 v[8:9], v0
	s_andn2_b64 s[36:37], s[36:37], exec
	s_mov_b32 s58, 0
	s_waitcnt lgkmcnt(0)
	flat_load_dword v0, v[8:9] glc
	s_waitcnt vmcnt(0) lgkmcnt(0)
	buffer_wbinvl1_vol
	v_cmp_eq_u32_e32 vcc, 0, v0
	s_and_b64 vcc, vcc, exec
	s_or_b64 s[36:37], s[36:37], vcc
	s_mov_b64 vcc, -1
	s_or_b64 s[34:35], s[34:35], exec
	s_and_saveexec_b64 s[38:39], s[36:37]
	s_cbranch_execz .LBB6_677
.LBB6_681:                              ;   in Loop: Header=BB6_678 Depth=3
	s_sleep 1
	s_trap 2
	ds_read_b64 v[8:9], v0
	s_waitcnt lgkmcnt(0)
	s_andn2_b64 s[34:35], s[34:35], exec
	v_cmp_ge_u64_e32 vcc, v[8:9], v[48:49]
	s_orn2_b64 vcc, vcc, exec
	s_branch .LBB6_677
.LBB6_682:                              ;   in Loop: Header=BB6_623 Depth=2
	s_or_b64 exec, exec, s[94:95]
	s_and_saveexec_b64 s[94:95], s[30:31]
	s_xor_b64 s[94:95], exec, s[94:95]
	s_cbranch_execz .LBB6_684
; %bb.683:                              ;   in Loop: Header=BB6_623 Depth=2
	ds_write_b32 v0, v60
	s_trap 2
.LBB6_684:                              ;   in Loop: Header=BB6_623 Depth=2
	s_or_b64 exec, exec, s[44:45]
	;;#ASMSTART
	s_wakeup
	;;#ASMEND
.LBB6_685:                              ;   in Loop: Header=BB6_623 Depth=2
	s_or_b64 exec, exec, s[42:43]
.LBB6_686:                              ;   in Loop: Header=BB6_623 Depth=2
	s_andn2_saveexec_b64 s[40:41], s[40:41]
	s_cbranch_execz .LBB6_688
; %bb.687:                              ;   in Loop: Header=BB6_623 Depth=2
	s_waitcnt vmcnt(0) lgkmcnt(0)
	buffer_wbinvl1_vol
	s_barrier
.LBB6_688:                              ;   in Loop: Header=BB6_623 Depth=2
	s_or_b64 exec, exec, s[40:41]
.LBB6_689:                              ;   in Loop: Header=BB6_623 Depth=2
	s_or_b64 exec, exec, s[28:29]
	s_trap 2
	ds_read_b64 v[57:58], v0
	s_waitcnt lgkmcnt(0)
	v_cmp_eq_u64_e32 vcc, 0, v[57:58]
	s_cbranch_vccnz .LBB6_698
; %bb.690:                              ;   in Loop: Header=BB6_623 Depth=2
	s_trap 2
	ds_read_b64 v[8:9], v0
	s_waitcnt lgkmcnt(0)
	buffer_store_dword v8, off, s[0:3], s33 offset:144 ; 4-byte Folded Spill
	s_nop 0
	buffer_store_dword v9, off, s[0:3], s33 offset:148 ; 4-byte Folded Spill
	v_cmp_eq_u64_e32 vcc, 0, v[8:9]
	s_cbranch_vccnz .LBB6_698
; %bb.691:                              ;   in Loop: Header=BB6_623 Depth=2
	s_trap 2
	ds_read_b64 v[28:29], v0
	v_cmp_eq_u32_e32 vcc, 0, v3
	v_cndmask_b32_e32 v35, 0, v46, vcc
	v_lshlrev_b32_e32 v55, 1, v35
	s_waitcnt lgkmcnt(0)
	v_cmp_ne_u64_e32 vcc, 0, v[28:29]
	v_readfirstlane_b32 s48, v28
	s_cbranch_vccz .LBB6_703
; %bb.692:                              ;   in Loop: Header=BB6_623 Depth=2
	s_mov_b64 s[40:41], -1
	s_and_saveexec_b64 s[28:29], s[22:23]
	s_cbranch_execz .LBB6_694
; %bb.693:                              ;   in Loop: Header=BB6_623 Depth=2
	ds_read_b32 v0, v0 offset:720
	s_waitcnt lgkmcnt(0)
	v_and_b32_e32 v0, 15, v0
	v_cmp_eq_u32_e32 vcc, 0, v0
	s_orn2_b64 s[40:41], vcc, exec
.LBB6_694:                              ;   in Loop: Header=BB6_623 Depth=2
	s_or_b64 exec, exec, s[28:29]
	s_and_saveexec_b64 s[28:29], s[22:23]
	s_cbranch_execz .LBB6_696
; %bb.695:                              ;   in Loop: Header=BB6_623 Depth=2
	ds_read_b32 v0, v0 offset:784
	s_waitcnt lgkmcnt(0)
	v_and_b32_e32 v0, 15, v0
	v_cmp_eq_u32_e32 vcc, 0, v0
	s_and_b64 s[42:43], s[40:41], vcc
	s_andn2_b64 s[40:41], s[40:41], exec
	s_and_b64 s[42:43], s[42:43], exec
	s_or_b64 s[40:41], s[40:41], s[42:43]
.LBB6_696:                              ;   in Loop: Header=BB6_623 Depth=2
	s_or_b64 exec, exec, s[28:29]
	s_xor_b64 s[40:41], s[40:41], -1
	v_cndmask_b32_e64 v0, 0, 1, s[40:41]
	s_mov_b64 s[28:29], -1
	v_mov_b32_e32 v14, 0
	v_cmp_ne_u32_e32 vcc, 0, v0
	v_mov_b32_e32 v15, v55
	v_mov_b32_e32 v16, v44
	s_cbranch_vccz .LBB6_705
; %bb.697:                              ;   in Loop: Header=BB6_623 Depth=2
	s_and_saveexec_b64 s[44:45], s[28:29]
	s_cbranch_execnz .LBB6_814
	s_branch .LBB6_860
.LBB6_698:                              ;   in Loop: Header=BB6_623 Depth=2
	s_mov_b64 s[28:29], 0
	s_and_saveexec_b64 s[40:41], s[10:11]
	s_cbranch_execnz .LBB6_1019
.LBB6_699:                              ;   in Loop: Header=BB6_623 Depth=2
	s_or_b64 exec, exec, s[40:41]
                                        ; implicit-def: $vgpr3
	s_and_saveexec_b64 s[40:41], s[24:25]
	s_xor_b64 s[40:41], exec, s[40:41]
	s_cbranch_execz .LBB6_1037
.LBB6_700:                              ;   in Loop: Header=BB6_623 Depth=2
	v_and_b32_e32 v0, 16, v62
	v_cmp_ne_u32_e32 vcc, 0, v0
	v_and_b32_e32 v3, 16, v62
	s_and_b64 s[42:43], vcc, s[28:29]
	s_and_saveexec_b64 s[28:29], s[42:43]
	s_cbranch_execz .LBB6_702
; %bb.701:                              ;   in Loop: Header=BB6_623 Depth=2
	v_mov_b32_e32 v3, 1
	s_waitcnt vmcnt(0) lgkmcnt(0)
	buffer_wbinvl1_vol
.LBB6_702:                              ;   in Loop: Header=BB6_623 Depth=2
	s_or_b64 exec, exec, s[28:29]
	s_andn2_saveexec_b64 s[28:29], s[40:41]
	s_cbranch_execz .LBB6_1056
	s_branch .LBB6_1038
.LBB6_703:                              ;   in Loop: Header=BB6_623 Depth=2
	s_cbranch_execnz .LBB6_861
.LBB6_704:                              ;   in Loop: Header=BB6_623 Depth=2
	v_cmp_lt_i32_e64 s[28:29], 0, v35
	s_and_saveexec_b64 s[40:41], s[10:11]
	s_cbranch_execnz .LBB6_1019
	s_branch .LBB6_699
.LBB6_705:                              ;   in Loop: Header=BB6_623 Depth=2
	v_ashrrev_i32_e32 v0, 31, v55
	v_lshrrev_b32_e32 v0, 21, v0
	v_add_u32_e32 v0, v55, v0
	v_ashrrev_i32_e32 v61, 11, v0
	buffer_load_dword v0, off, s[0:3], s33 offset:108 ; 4-byte Folded Reload
	s_waitcnt vmcnt(0)
	v_sub_u32_e32 v47, v61, v0
	v_cmp_lt_i32_e32 vcc, 0, v47
	s_and_saveexec_b64 s[40:41], vcc
	s_cbranch_execz .LBB6_773
; %bb.706:                              ;   in Loop: Header=BB6_623 Depth=2
	buffer_load_dword v0, off, s[0:3], s33 offset:136 ; 4-byte Folded Reload
	buffer_load_dword v3, off, s[0:3], s33 offset:144 ; 4-byte Folded Reload
	;; [unrolled: 1-line block ×3, first 2 shown]
	s_trap 2
	s_and_b32 s58, s48, 1
	s_cmp_eq_u64 s[58:59], 0
	s_mov_b64 s[42:43], 0
	s_waitcnt vmcnt(1)
	v_add_co_u32_e32 v30, vcc, v3, v0
	s_waitcnt vmcnt(0)
	v_addc_co_u32_e32 v31, vcc, 0, v4, vcc
	ds_read_b64 v[3:4], v0
	v_add_co_u32_e32 v24, vcc, v28, v0
	v_addc_co_u32_e32 v25, vcc, 0, v29, vcc
	v_add_co_u32_e32 v52, vcc, v57, v0
	v_addc_co_u32_e32 v53, vcc, 0, v58, vcc
	s_waitcnt lgkmcnt(0)
	v_add_co_u32_e32 v3, vcc, v3, v0
	v_addc_co_u32_e32 v4, vcc, 0, v4, vcc
	s_cselect_b64 vcc, -1, 0
	s_branch .LBB6_708
.LBB6_707:                              ;   in Loop: Header=BB6_708 Depth=3
	s_or_b64 exec, exec, s[44:45]
	v_lshrrev_b32_e32 v0, 16, v20
	v_and_or_b32 v17, v17, s68, v0
	v_lshrrev_b32_e32 v0, 16, v54
	v_and_or_b32 v16, v16, s68, v0
	;; [unrolled: 2-line block ×4, first 2 shown]
	v_lshrrev_b32_e32 v0, 16, v12
	v_add_co_u32_e64 v52, s[28:29], v52, v59
	v_and_or_b32 v9, v9, s68, v0
	v_lshrrev_b32_e32 v0, 16, v23
	v_addc_co_u32_e64 v53, s[28:29], 0, v53, s[28:29]
	v_and_or_b32 v8, v8, s68, v0
	v_lshrrev_b32_e32 v0, 16, v13
	v_add_co_u32_e64 v3, s[28:29], v3, v59
	v_and_or_b32 v10, v10, s68, v0
	v_lshrrev_b32_e32 v0, 16, v14
	v_addc_co_u32_e64 v4, s[28:29], 0, v4, s[28:29]
	v_and_or_b32 v11, v11, s68, v0
	global_store_dwordx4 v[30:31], v[16:19], off glc slc
	global_store_dwordx4 v[30:31], v[8:11], off offset:1024 glc slc
	global_store_dwordx4 v[24:25], v[16:19], off glc slc
	global_store_dwordx4 v[24:25], v[8:11], off offset:1024 glc slc
	v_add_co_u32_e64 v30, s[28:29], v30, v59
	v_addc_co_u32_e64 v31, s[28:29], 0, v31, s[28:29]
	v_sub_u32_e32 v47, v47, v51
	v_cmp_gt_i32_e64 s[28:29], 1, v47
	s_or_b64 s[42:43], s[28:29], s[42:43]
	v_add_co_u32_e64 v24, s[28:29], v24, v59
	v_addc_co_u32_e64 v25, s[28:29], 0, v25, s[28:29]
	s_andn2_b64 exec, exec, s[42:43]
	s_cbranch_execz .LBB6_772
.LBB6_708:                              ;   Parent Loop BB6_47 Depth=1
                                        ;     Parent Loop BB6_623 Depth=2
                                        ; =>    This Inner Loop Header: Depth=3
	global_load_dwordx4 v[16:19], v[52:53], off glc slc
	global_load_dwordx4 v[20:23], v[3:4], off glc slc
	global_load_dwordx4 v[8:11], v[52:53], off offset:1024 glc slc
	global_load_dwordx4 v[12:15], v[3:4], off offset:1024 glc slc
                                        ; implicit-def: $vgpr54
	s_waitcnt vmcnt(3)
	v_lshlrev_b32_e32 v0, 16, v16
	s_waitcnt vmcnt(2)
	v_lshlrev_b32_e32 v26, 16, v20
	v_max_f32_e32 v26, v26, v26
	v_max_f32_e32 v0, v0, v0
	v_min_f32_e32 v27, v0, v26
	v_max_f32_e32 v0, v0, v26
	v_cndmask_b32_e32 v26, v0, v27, vcc
	v_and_b32_e32 v0, 0x7f800000, v26
	v_cmp_ne_u32_e64 s[28:29], s66, v0
	s_and_saveexec_b64 s[44:45], s[28:29]
	s_xor_b64 s[28:29], exec, s[44:45]
; %bb.709:                              ;   in Loop: Header=BB6_708 Depth=3
	v_bfe_u32 v0, v26, 16, 1
	v_add3_u32 v54, v26, v0, s67
                                        ; implicit-def: $vgpr26
; %bb.710:                              ;   in Loop: Header=BB6_708 Depth=3
	s_andn2_saveexec_b64 s[44:45], s[28:29]
; %bb.711:                              ;   in Loop: Header=BB6_708 Depth=3
	v_or_b32_e32 v0, 0x10000, v26
	v_cmp_eq_u32_sdwa s[28:29], v26, v2 src0_sel:WORD_0 src1_sel:DWORD
	v_cndmask_b32_e64 v54, v0, v26, s[28:29]
; %bb.712:                              ;   in Loop: Header=BB6_708 Depth=3
	s_or_b64 exec, exec, s[44:45]
	v_and_b32_e32 v0, 0xffff0000, v16
	v_and_b32_e32 v16, 0xffff0000, v20
	v_max_f32_e32 v16, v16, v16
	v_max_f32_e32 v0, v0, v0
	v_min_f32_e32 v20, v0, v16
	v_max_f32_e32 v0, v0, v16
	v_cndmask_b32_e32 v20, v0, v20, vcc
	v_and_b32_e32 v0, 0x7f800000, v20
	v_cmp_ne_u32_e64 s[28:29], s66, v0
                                        ; implicit-def: $vgpr16
	s_and_saveexec_b64 s[44:45], s[28:29]
	s_xor_b64 s[28:29], exec, s[44:45]
; %bb.713:                              ;   in Loop: Header=BB6_708 Depth=3
	v_bfe_u32 v0, v20, 16, 1
	v_add3_u32 v16, v20, v0, s67
                                        ; implicit-def: $vgpr20
; %bb.714:                              ;   in Loop: Header=BB6_708 Depth=3
	s_andn2_saveexec_b64 s[44:45], s[28:29]
; %bb.715:                              ;   in Loop: Header=BB6_708 Depth=3
	v_or_b32_e32 v0, 0x10000, v20
	v_cmp_eq_u32_sdwa s[28:29], v20, v2 src0_sel:WORD_0 src1_sel:DWORD
	v_cndmask_b32_e64 v16, v0, v20, s[28:29]
; %bb.716:                              ;   in Loop: Header=BB6_708 Depth=3
	s_or_b64 exec, exec, s[44:45]
	v_lshlrev_b32_e32 v0, 16, v17
	v_lshlrev_b32_e32 v20, 16, v21
	v_max_f32_e32 v20, v20, v20
	v_max_f32_e32 v0, v0, v0
	v_min_f32_e32 v26, v0, v20
	v_max_f32_e32 v0, v0, v20
	v_cndmask_b32_e32 v26, v0, v26, vcc
	v_and_b32_e32 v0, 0x7f800000, v26
	v_cmp_ne_u32_e64 s[28:29], s66, v0
                                        ; implicit-def: $vgpr20
	s_and_saveexec_b64 s[44:45], s[28:29]
	s_xor_b64 s[28:29], exec, s[44:45]
; %bb.717:                              ;   in Loop: Header=BB6_708 Depth=3
	v_bfe_u32 v0, v26, 16, 1
	v_add3_u32 v20, v26, v0, s67
                                        ; implicit-def: $vgpr26
; %bb.718:                              ;   in Loop: Header=BB6_708 Depth=3
	s_andn2_saveexec_b64 s[44:45], s[28:29]
; %bb.719:                              ;   in Loop: Header=BB6_708 Depth=3
	v_or_b32_e32 v0, 0x10000, v26
	v_cmp_eq_u32_sdwa s[28:29], v26, v2 src0_sel:WORD_0 src1_sel:DWORD
	v_cndmask_b32_e64 v20, v0, v26, s[28:29]
; %bb.720:                              ;   in Loop: Header=BB6_708 Depth=3
	s_or_b64 exec, exec, s[44:45]
	v_and_b32_e32 v0, 0xffff0000, v17
	v_and_b32_e32 v17, 0xffff0000, v21
	v_max_f32_e32 v17, v17, v17
	v_max_f32_e32 v0, v0, v0
	v_min_f32_e32 v21, v0, v17
	v_max_f32_e32 v0, v0, v17
	v_cndmask_b32_e32 v21, v0, v21, vcc
	v_and_b32_e32 v0, 0x7f800000, v21
	v_cmp_ne_u32_e64 s[28:29], s66, v0
                                        ; implicit-def: $vgpr17
	s_and_saveexec_b64 s[44:45], s[28:29]
	s_xor_b64 s[28:29], exec, s[44:45]
; %bb.721:                              ;   in Loop: Header=BB6_708 Depth=3
	v_bfe_u32 v0, v21, 16, 1
	v_add3_u32 v17, v21, v0, s67
                                        ; implicit-def: $vgpr21
; %bb.722:                              ;   in Loop: Header=BB6_708 Depth=3
	s_andn2_saveexec_b64 s[44:45], s[28:29]
; %bb.723:                              ;   in Loop: Header=BB6_708 Depth=3
	v_or_b32_e32 v0, 0x10000, v21
	v_cmp_eq_u32_sdwa s[28:29], v21, v2 src0_sel:WORD_0 src1_sel:DWORD
	v_cndmask_b32_e64 v17, v0, v21, s[28:29]
; %bb.724:                              ;   in Loop: Header=BB6_708 Depth=3
	s_or_b64 exec, exec, s[44:45]
	v_lshlrev_b32_e32 v0, 16, v18
	v_lshlrev_b32_e32 v21, 16, v22
	v_max_f32_e32 v21, v21, v21
	v_max_f32_e32 v0, v0, v0
	v_min_f32_e32 v26, v0, v21
	v_max_f32_e32 v0, v0, v21
	v_cndmask_b32_e32 v26, v0, v26, vcc
	v_and_b32_e32 v0, 0x7f800000, v26
	v_cmp_ne_u32_e64 s[28:29], s66, v0
                                        ; implicit-def: $vgpr21
	s_and_saveexec_b64 s[44:45], s[28:29]
	s_xor_b64 s[28:29], exec, s[44:45]
; %bb.725:                              ;   in Loop: Header=BB6_708 Depth=3
	v_bfe_u32 v0, v26, 16, 1
	v_add3_u32 v21, v26, v0, s67
                                        ; implicit-def: $vgpr26
; %bb.726:                              ;   in Loop: Header=BB6_708 Depth=3
	s_andn2_saveexec_b64 s[44:45], s[28:29]
; %bb.727:                              ;   in Loop: Header=BB6_708 Depth=3
	v_or_b32_e32 v0, 0x10000, v26
	v_cmp_eq_u32_sdwa s[28:29], v26, v2 src0_sel:WORD_0 src1_sel:DWORD
	v_cndmask_b32_e64 v21, v0, v26, s[28:29]
; %bb.728:                              ;   in Loop: Header=BB6_708 Depth=3
	s_or_b64 exec, exec, s[44:45]
	v_and_b32_e32 v0, 0xffff0000, v18
	v_and_b32_e32 v18, 0xffff0000, v22
	v_max_f32_e32 v18, v18, v18
	v_max_f32_e32 v0, v0, v0
	v_min_f32_e32 v22, v0, v18
	v_max_f32_e32 v0, v0, v18
	v_cndmask_b32_e32 v22, v0, v22, vcc
	v_and_b32_e32 v0, 0x7f800000, v22
	v_cmp_ne_u32_e64 s[28:29], s66, v0
                                        ; implicit-def: $vgpr18
	s_and_saveexec_b64 s[44:45], s[28:29]
	s_xor_b64 s[28:29], exec, s[44:45]
; %bb.729:                              ;   in Loop: Header=BB6_708 Depth=3
	v_bfe_u32 v0, v22, 16, 1
	v_add3_u32 v18, v22, v0, s67
                                        ; implicit-def: $vgpr22
; %bb.730:                              ;   in Loop: Header=BB6_708 Depth=3
	s_andn2_saveexec_b64 s[44:45], s[28:29]
; %bb.731:                              ;   in Loop: Header=BB6_708 Depth=3
	v_or_b32_e32 v0, 0x10000, v22
	v_cmp_eq_u32_sdwa s[28:29], v22, v2 src0_sel:WORD_0 src1_sel:DWORD
	v_cndmask_b32_e64 v18, v0, v22, s[28:29]
; %bb.732:                              ;   in Loop: Header=BB6_708 Depth=3
	s_or_b64 exec, exec, s[44:45]
	v_lshlrev_b32_e32 v0, 16, v19
	v_lshlrev_b32_e32 v22, 16, v23
	v_max_f32_e32 v22, v22, v22
	v_max_f32_e32 v0, v0, v0
	v_min_f32_e32 v26, v0, v22
	v_max_f32_e32 v0, v0, v22
	v_cndmask_b32_e32 v26, v0, v26, vcc
	v_and_b32_e32 v0, 0x7f800000, v26
	v_cmp_ne_u32_e64 s[28:29], s66, v0
                                        ; implicit-def: $vgpr22
	s_and_saveexec_b64 s[44:45], s[28:29]
	s_xor_b64 s[28:29], exec, s[44:45]
; %bb.733:                              ;   in Loop: Header=BB6_708 Depth=3
	v_bfe_u32 v0, v26, 16, 1
	v_add3_u32 v22, v26, v0, s67
                                        ; implicit-def: $vgpr26
; %bb.734:                              ;   in Loop: Header=BB6_708 Depth=3
	s_andn2_saveexec_b64 s[44:45], s[28:29]
; %bb.735:                              ;   in Loop: Header=BB6_708 Depth=3
	v_or_b32_e32 v0, 0x10000, v26
	v_cmp_eq_u32_sdwa s[28:29], v26, v2 src0_sel:WORD_0 src1_sel:DWORD
	v_cndmask_b32_e64 v22, v0, v26, s[28:29]
; %bb.736:                              ;   in Loop: Header=BB6_708 Depth=3
	s_or_b64 exec, exec, s[44:45]
	v_and_b32_e32 v0, 0xffff0000, v19
	v_and_b32_e32 v19, 0xffff0000, v23
	v_max_f32_e32 v19, v19, v19
	v_max_f32_e32 v0, v0, v0
	v_min_f32_e32 v23, v0, v19
	v_max_f32_e32 v0, v0, v19
	v_cndmask_b32_e32 v23, v0, v23, vcc
	v_and_b32_e32 v0, 0x7f800000, v23
	v_cmp_ne_u32_e64 s[28:29], s66, v0
                                        ; implicit-def: $vgpr19
	s_and_saveexec_b64 s[44:45], s[28:29]
	s_xor_b64 s[28:29], exec, s[44:45]
; %bb.737:                              ;   in Loop: Header=BB6_708 Depth=3
	v_bfe_u32 v0, v23, 16, 1
	v_add3_u32 v19, v23, v0, s67
                                        ; implicit-def: $vgpr23
; %bb.738:                              ;   in Loop: Header=BB6_708 Depth=3
	s_andn2_saveexec_b64 s[44:45], s[28:29]
; %bb.739:                              ;   in Loop: Header=BB6_708 Depth=3
	v_or_b32_e32 v0, 0x10000, v23
	v_cmp_eq_u32_sdwa s[28:29], v23, v2 src0_sel:WORD_0 src1_sel:DWORD
	v_cndmask_b32_e64 v19, v0, v23, s[28:29]
; %bb.740:                              ;   in Loop: Header=BB6_708 Depth=3
	s_or_b64 exec, exec, s[44:45]
	s_waitcnt vmcnt(1)
	v_lshlrev_b32_e32 v0, 16, v8
	s_waitcnt vmcnt(0)
	v_lshlrev_b32_e32 v23, 16, v12
	v_max_f32_e32 v23, v23, v23
	v_max_f32_e32 v0, v0, v0
	v_min_f32_e32 v26, v0, v23
	v_max_f32_e32 v0, v0, v23
	v_cndmask_b32_e32 v26, v0, v26, vcc
	v_and_b32_e32 v0, 0x7f800000, v26
	v_cmp_ne_u32_e64 s[28:29], s66, v0
                                        ; implicit-def: $vgpr23
	s_and_saveexec_b64 s[44:45], s[28:29]
	s_xor_b64 s[28:29], exec, s[44:45]
; %bb.741:                              ;   in Loop: Header=BB6_708 Depth=3
	v_bfe_u32 v0, v26, 16, 1
	v_add3_u32 v23, v26, v0, s67
                                        ; implicit-def: $vgpr26
; %bb.742:                              ;   in Loop: Header=BB6_708 Depth=3
	s_andn2_saveexec_b64 s[44:45], s[28:29]
; %bb.743:                              ;   in Loop: Header=BB6_708 Depth=3
	v_or_b32_e32 v0, 0x10000, v26
	v_cmp_eq_u32_sdwa s[28:29], v26, v2 src0_sel:WORD_0 src1_sel:DWORD
	v_cndmask_b32_e64 v23, v0, v26, s[28:29]
; %bb.744:                              ;   in Loop: Header=BB6_708 Depth=3
	s_or_b64 exec, exec, s[44:45]
	v_and_b32_e32 v0, 0xffff0000, v8
	v_and_b32_e32 v8, 0xffff0000, v12
	v_max_f32_e32 v8, v8, v8
	v_max_f32_e32 v0, v0, v0
	v_min_f32_e32 v12, v0, v8
	v_max_f32_e32 v0, v0, v8
	v_cndmask_b32_e32 v12, v0, v12, vcc
	v_and_b32_e32 v0, 0x7f800000, v12
	v_cmp_ne_u32_e64 s[28:29], s66, v0
                                        ; implicit-def: $vgpr8
	s_and_saveexec_b64 s[44:45], s[28:29]
	s_xor_b64 s[28:29], exec, s[44:45]
; %bb.745:                              ;   in Loop: Header=BB6_708 Depth=3
	v_bfe_u32 v0, v12, 16, 1
	v_add3_u32 v8, v12, v0, s67
                                        ; implicit-def: $vgpr12
; %bb.746:                              ;   in Loop: Header=BB6_708 Depth=3
	s_andn2_saveexec_b64 s[44:45], s[28:29]
; %bb.747:                              ;   in Loop: Header=BB6_708 Depth=3
	v_or_b32_e32 v0, 0x10000, v12
	v_cmp_eq_u32_sdwa s[28:29], v12, v2 src0_sel:WORD_0 src1_sel:DWORD
	v_cndmask_b32_e64 v8, v0, v12, s[28:29]
; %bb.748:                              ;   in Loop: Header=BB6_708 Depth=3
	s_or_b64 exec, exec, s[44:45]
	v_lshlrev_b32_e32 v0, 16, v9
	v_lshlrev_b32_e32 v12, 16, v13
	v_max_f32_e32 v12, v12, v12
	v_max_f32_e32 v0, v0, v0
	v_min_f32_e32 v26, v0, v12
	v_max_f32_e32 v0, v0, v12
	v_cndmask_b32_e32 v26, v0, v26, vcc
	v_and_b32_e32 v0, 0x7f800000, v26
	v_cmp_ne_u32_e64 s[28:29], s66, v0
                                        ; implicit-def: $vgpr12
	s_and_saveexec_b64 s[44:45], s[28:29]
	s_xor_b64 s[28:29], exec, s[44:45]
; %bb.749:                              ;   in Loop: Header=BB6_708 Depth=3
	v_bfe_u32 v0, v26, 16, 1
	v_add3_u32 v12, v26, v0, s67
                                        ; implicit-def: $vgpr26
; %bb.750:                              ;   in Loop: Header=BB6_708 Depth=3
	s_andn2_saveexec_b64 s[44:45], s[28:29]
; %bb.751:                              ;   in Loop: Header=BB6_708 Depth=3
	v_or_b32_e32 v0, 0x10000, v26
	v_cmp_eq_u32_sdwa s[28:29], v26, v2 src0_sel:WORD_0 src1_sel:DWORD
	v_cndmask_b32_e64 v12, v0, v26, s[28:29]
; %bb.752:                              ;   in Loop: Header=BB6_708 Depth=3
	s_or_b64 exec, exec, s[44:45]
	v_and_b32_e32 v0, 0xffff0000, v9
	v_and_b32_e32 v9, 0xffff0000, v13
	v_max_f32_e32 v9, v9, v9
	v_max_f32_e32 v0, v0, v0
	v_min_f32_e32 v13, v0, v9
	v_max_f32_e32 v0, v0, v9
	v_cndmask_b32_e32 v13, v0, v13, vcc
	v_and_b32_e32 v0, 0x7f800000, v13
	v_cmp_ne_u32_e64 s[28:29], s66, v0
                                        ; implicit-def: $vgpr9
	s_and_saveexec_b64 s[44:45], s[28:29]
	s_xor_b64 s[28:29], exec, s[44:45]
; %bb.753:                              ;   in Loop: Header=BB6_708 Depth=3
	v_bfe_u32 v0, v13, 16, 1
	v_add3_u32 v9, v13, v0, s67
                                        ; implicit-def: $vgpr13
; %bb.754:                              ;   in Loop: Header=BB6_708 Depth=3
	s_andn2_saveexec_b64 s[44:45], s[28:29]
; %bb.755:                              ;   in Loop: Header=BB6_708 Depth=3
	v_or_b32_e32 v0, 0x10000, v13
	v_cmp_eq_u32_sdwa s[28:29], v13, v2 src0_sel:WORD_0 src1_sel:DWORD
	v_cndmask_b32_e64 v9, v0, v13, s[28:29]
; %bb.756:                              ;   in Loop: Header=BB6_708 Depth=3
	s_or_b64 exec, exec, s[44:45]
	v_lshlrev_b32_e32 v0, 16, v10
	v_lshlrev_b32_e32 v13, 16, v14
	v_max_f32_e32 v13, v13, v13
	v_max_f32_e32 v0, v0, v0
	v_min_f32_e32 v26, v0, v13
	v_max_f32_e32 v0, v0, v13
	v_cndmask_b32_e32 v26, v0, v26, vcc
	v_and_b32_e32 v0, 0x7f800000, v26
	v_cmp_ne_u32_e64 s[28:29], s66, v0
                                        ; implicit-def: $vgpr13
	s_and_saveexec_b64 s[44:45], s[28:29]
	s_xor_b64 s[28:29], exec, s[44:45]
; %bb.757:                              ;   in Loop: Header=BB6_708 Depth=3
	v_bfe_u32 v0, v26, 16, 1
	v_add3_u32 v13, v26, v0, s67
                                        ; implicit-def: $vgpr26
; %bb.758:                              ;   in Loop: Header=BB6_708 Depth=3
	s_andn2_saveexec_b64 s[44:45], s[28:29]
; %bb.759:                              ;   in Loop: Header=BB6_708 Depth=3
	v_or_b32_e32 v0, 0x10000, v26
	v_cmp_eq_u32_sdwa s[28:29], v26, v2 src0_sel:WORD_0 src1_sel:DWORD
	v_cndmask_b32_e64 v13, v0, v26, s[28:29]
; %bb.760:                              ;   in Loop: Header=BB6_708 Depth=3
	s_or_b64 exec, exec, s[44:45]
	v_and_b32_e32 v0, 0xffff0000, v10
	v_and_b32_e32 v10, 0xffff0000, v14
	v_max_f32_e32 v10, v10, v10
	v_max_f32_e32 v0, v0, v0
	v_min_f32_e32 v14, v0, v10
	v_max_f32_e32 v0, v0, v10
	v_cndmask_b32_e32 v14, v0, v14, vcc
	v_and_b32_e32 v0, 0x7f800000, v14
	v_cmp_ne_u32_e64 s[28:29], s66, v0
                                        ; implicit-def: $vgpr10
	s_and_saveexec_b64 s[44:45], s[28:29]
	s_xor_b64 s[28:29], exec, s[44:45]
; %bb.761:                              ;   in Loop: Header=BB6_708 Depth=3
	v_bfe_u32 v0, v14, 16, 1
	v_add3_u32 v10, v14, v0, s67
                                        ; implicit-def: $vgpr14
; %bb.762:                              ;   in Loop: Header=BB6_708 Depth=3
	s_andn2_saveexec_b64 s[44:45], s[28:29]
; %bb.763:                              ;   in Loop: Header=BB6_708 Depth=3
	v_or_b32_e32 v0, 0x10000, v14
	v_cmp_eq_u32_sdwa s[28:29], v14, v2 src0_sel:WORD_0 src1_sel:DWORD
	v_cndmask_b32_e64 v10, v0, v14, s[28:29]
; %bb.764:                              ;   in Loop: Header=BB6_708 Depth=3
	s_or_b64 exec, exec, s[44:45]
	v_lshlrev_b32_e32 v0, 16, v11
	v_lshlrev_b32_e32 v14, 16, v15
	v_max_f32_e32 v14, v14, v14
	v_max_f32_e32 v0, v0, v0
	v_min_f32_e32 v26, v0, v14
	v_max_f32_e32 v0, v0, v14
	v_cndmask_b32_e32 v26, v0, v26, vcc
	v_and_b32_e32 v0, 0x7f800000, v26
	v_cmp_ne_u32_e64 s[28:29], s66, v0
                                        ; implicit-def: $vgpr14
	s_and_saveexec_b64 s[44:45], s[28:29]
	s_xor_b64 s[28:29], exec, s[44:45]
; %bb.765:                              ;   in Loop: Header=BB6_708 Depth=3
	v_bfe_u32 v0, v26, 16, 1
	v_add3_u32 v14, v26, v0, s67
                                        ; implicit-def: $vgpr26
; %bb.766:                              ;   in Loop: Header=BB6_708 Depth=3
	s_andn2_saveexec_b64 s[44:45], s[28:29]
; %bb.767:                              ;   in Loop: Header=BB6_708 Depth=3
	v_or_b32_e32 v0, 0x10000, v26
	v_cmp_eq_u32_sdwa s[28:29], v26, v2 src0_sel:WORD_0 src1_sel:DWORD
	v_cndmask_b32_e64 v14, v0, v26, s[28:29]
; %bb.768:                              ;   in Loop: Header=BB6_708 Depth=3
	s_or_b64 exec, exec, s[44:45]
	v_and_b32_e32 v0, 0xffff0000, v11
	v_and_b32_e32 v11, 0xffff0000, v15
	v_max_f32_e32 v11, v11, v11
	v_max_f32_e32 v0, v0, v0
	v_min_f32_e32 v15, v0, v11
	v_max_f32_e32 v0, v0, v11
	v_cndmask_b32_e32 v15, v0, v15, vcc
	v_and_b32_e32 v0, 0x7f800000, v15
	v_cmp_ne_u32_e64 s[28:29], s66, v0
                                        ; implicit-def: $vgpr11
	s_and_saveexec_b64 s[44:45], s[28:29]
	s_xor_b64 s[28:29], exec, s[44:45]
; %bb.769:                              ;   in Loop: Header=BB6_708 Depth=3
	v_bfe_u32 v0, v15, 16, 1
	v_add3_u32 v11, v15, v0, s67
                                        ; implicit-def: $vgpr15
; %bb.770:                              ;   in Loop: Header=BB6_708 Depth=3
	s_andn2_saveexec_b64 s[44:45], s[28:29]
	s_cbranch_execz .LBB6_707
; %bb.771:                              ;   in Loop: Header=BB6_708 Depth=3
	v_or_b32_e32 v0, 0x10000, v15
	v_cmp_eq_u32_sdwa s[28:29], v15, v2 src0_sel:WORD_0 src1_sel:DWORD
	v_cndmask_b32_e64 v11, v0, v15, s[28:29]
	s_branch .LBB6_707
.LBB6_772:                              ;   in Loop: Header=BB6_623 Depth=2
	s_or_b64 exec, exec, s[42:43]
.LBB6_773:                              ;   in Loop: Header=BB6_623 Depth=2
	s_or_b64 exec, exec, s[40:41]
	v_lshlrev_b32_e32 v18, 11, v61
	s_mov_b64 s[28:29], 0
	v_mov_b32_e32 v14, 0
	v_cmp_ne_u32_e32 vcc, v55, v18
                                        ; implicit-def: $vgpr15
                                        ; implicit-def: $vgpr16
	s_mov_b64 s[94:95], exec
	s_and_b64 s[40:41], s[94:95], vcc
	v_mov_b32_e32 v61, 0xc8
	s_mov_b64 exec, s[40:41]
	s_cbranch_execz .LBB6_813
; %bb.774:                              ;   in Loop: Header=BB6_623 Depth=2
	buffer_load_dword v4, off, s[0:3], s33 offset:140 ; 4-byte Folded Reload
	v_lshlrev_b32_e32 v0, 6, v47
	v_sub_u32_e32 v3, v55, v18
	s_waitcnt vmcnt(0)
	v_sub_u32_e32 v0, v4, v0
	v_ashrrev_i32_e32 v4, 31, v0
	v_lshrrev_b32_e32 v4, 26, v4
	v_add_u32_e32 v4, v0, v4
	v_ashrrev_i32_e32 v8, 6, v4
	v_and_b32_e32 v4, 0xffffffc0, v4
	v_sub_u32_e32 v19, v0, v4
	v_ashrrev_i32_e32 v4, 31, v3
	v_lshrrev_b32_e32 v4, 22, v4
	v_add_u32_e32 v4, v3, v4
	v_and_b32_e32 v20, 0xfffffc00, v4
	v_lshlrev_b32_e32 v0, 4, v19
	v_sub_u32_e32 v21, v3, v20
	v_lshl_add_u32 v0, v8, 10, v0
	v_ashrrev_i32_e32 v9, 10, v4
	v_cmp_lt_i32_e64 s[28:29], 15, v21
	v_sub_u32_e32 v23, v3, v0
	v_addc_co_u32_e64 v3, vcc, 0, v9, s[28:29]
	v_sub_u32_e32 v22, v3, v8
	v_cmp_lt_i32_e32 vcc, 15, v23
	s_and_saveexec_b64 s[30:31], vcc
	s_cbranch_execz .LBB6_812
; %bb.775:                              ;   in Loop: Header=BB6_623 Depth=2
	buffer_load_dword v3, off, s[0:3], s33 offset:144 ; 4-byte Folded Reload
	buffer_load_dword v4, off, s[0:3], s33 offset:148 ; 4-byte Folded Reload
	v_add_u32_e32 v0, v0, v18
	v_ashrrev_i32_e32 v10, 31, v0
	s_trap 2
	ds_read_b64 v[8:9], v0
	s_and_b32 s58, s48, 1
	s_cmp_eq_u64 s[58:59], 0
	s_mov_b64 s[34:35], 0
	s_cselect_b64 s[40:41], -1, 0
	s_waitcnt vmcnt(1)
	v_add_co_u32_e32 v24, vcc, v0, v3
	s_waitcnt vmcnt(0)
	v_addc_co_u32_e32 v25, vcc, v10, v4, vcc
	v_add_co_u32_e32 v30, vcc, v0, v28
	v_addc_co_u32_e32 v31, vcc, v10, v29, vcc
	v_add_co_u32_e32 v3, vcc, v0, v57
	v_addc_co_u32_e32 v4, vcc, v10, v58, vcc
	s_waitcnt lgkmcnt(0)
	v_add_co_u32_e32 v16, vcc, v8, v0
	v_addc_co_u32_e32 v17, vcc, v9, v10, vcc
.LBB6_776:                              ;   Parent Loop BB6_47 Depth=1
                                        ;     Parent Loop BB6_623 Depth=2
                                        ; =>    This Loop Header: Depth=3
                                        ;         Child Loop BB6_809 Depth 4
	global_load_dwordx4 v[8:11], v[16:17], off glc slc
	global_load_dwordx4 v[12:15], v[3:4], off glc slc
                                        ; implicit-def: $vgpr52
	s_waitcnt vmcnt(1)
	v_lshlrev_b32_e32 v0, 16, v8
	s_waitcnt vmcnt(0)
	v_lshlrev_b32_e32 v26, 16, v12
	v_max_f32_e32 v0, v0, v0
	v_max_f32_e32 v26, v26, v26
	v_min_f32_e32 v27, v26, v0
	v_max_f32_e32 v0, v26, v0
	v_cndmask_b32_e64 v26, v0, v27, s[40:41]
	v_and_b32_e32 v0, 0x7f800000, v26
	v_cmp_ne_u32_e32 vcc, s66, v0
	s_and_saveexec_b64 s[42:43], vcc
	s_xor_b64 s[42:43], exec, s[42:43]
; %bb.777:                              ;   in Loop: Header=BB6_776 Depth=3
	v_bfe_u32 v0, v26, 16, 1
	v_add3_u32 v52, v26, v0, s67
                                        ; implicit-def: $vgpr26
; %bb.778:                              ;   in Loop: Header=BB6_776 Depth=3
	s_andn2_saveexec_b64 s[42:43], s[42:43]
; %bb.779:                              ;   in Loop: Header=BB6_776 Depth=3
	v_or_b32_e32 v0, 0x10000, v26
	v_cmp_eq_u32_sdwa vcc, v26, v2 src0_sel:WORD_0 src1_sel:DWORD
	v_cndmask_b32_e32 v52, v0, v26, vcc
; %bb.780:                              ;   in Loop: Header=BB6_776 Depth=3
	s_or_b64 exec, exec, s[42:43]
	v_and_b32_e32 v0, 0xffff0000, v8
	v_and_b32_e32 v8, 0xffff0000, v12
	v_max_f32_e32 v0, v0, v0
	v_max_f32_e32 v8, v8, v8
	v_min_f32_e32 v12, v8, v0
	v_max_f32_e32 v0, v8, v0
	v_cndmask_b32_e64 v12, v0, v12, s[40:41]
	v_and_b32_e32 v0, 0x7f800000, v12
	v_cmp_ne_u32_e32 vcc, s66, v0
                                        ; implicit-def: $vgpr8
	s_and_saveexec_b64 s[42:43], vcc
	s_xor_b64 s[42:43], exec, s[42:43]
; %bb.781:                              ;   in Loop: Header=BB6_776 Depth=3
	v_bfe_u32 v0, v12, 16, 1
	v_add3_u32 v8, v12, v0, s67
                                        ; implicit-def: $vgpr12
; %bb.782:                              ;   in Loop: Header=BB6_776 Depth=3
	s_andn2_saveexec_b64 s[42:43], s[42:43]
; %bb.783:                              ;   in Loop: Header=BB6_776 Depth=3
	v_or_b32_e32 v0, 0x10000, v12
	v_cmp_eq_u32_sdwa vcc, v12, v2 src0_sel:WORD_0 src1_sel:DWORD
	v_cndmask_b32_e32 v8, v0, v12, vcc
; %bb.784:                              ;   in Loop: Header=BB6_776 Depth=3
	s_or_b64 exec, exec, s[42:43]
	v_lshlrev_b32_e32 v0, 16, v9
	v_lshlrev_b32_e32 v12, 16, v13
	v_max_f32_e32 v0, v0, v0
	v_max_f32_e32 v12, v12, v12
	v_min_f32_e32 v26, v12, v0
	v_max_f32_e32 v0, v12, v0
	v_cndmask_b32_e64 v26, v0, v26, s[40:41]
	v_and_b32_e32 v0, 0x7f800000, v26
	v_cmp_ne_u32_e32 vcc, s66, v0
                                        ; implicit-def: $vgpr12
	s_and_saveexec_b64 s[42:43], vcc
	s_xor_b64 s[42:43], exec, s[42:43]
; %bb.785:                              ;   in Loop: Header=BB6_776 Depth=3
	v_bfe_u32 v0, v26, 16, 1
	v_add3_u32 v12, v26, v0, s67
                                        ; implicit-def: $vgpr26
; %bb.786:                              ;   in Loop: Header=BB6_776 Depth=3
	s_andn2_saveexec_b64 s[42:43], s[42:43]
; %bb.787:                              ;   in Loop: Header=BB6_776 Depth=3
	v_or_b32_e32 v0, 0x10000, v26
	v_cmp_eq_u32_sdwa vcc, v26, v2 src0_sel:WORD_0 src1_sel:DWORD
	v_cndmask_b32_e32 v12, v0, v26, vcc
; %bb.788:                              ;   in Loop: Header=BB6_776 Depth=3
	s_or_b64 exec, exec, s[42:43]
	v_and_b32_e32 v0, 0xffff0000, v13
	v_and_b32_e32 v9, 0xffff0000, v9
	v_max_f32_e32 v9, v9, v9
	v_max_f32_e32 v0, v0, v0
	v_min_f32_e32 v13, v0, v9
	v_max_f32_e32 v0, v0, v9
	v_cndmask_b32_e64 v13, v0, v13, s[40:41]
	v_and_b32_e32 v0, 0x7f800000, v13
	v_cmp_ne_u32_e32 vcc, s66, v0
                                        ; implicit-def: $vgpr9
	s_and_saveexec_b64 s[42:43], vcc
	s_xor_b64 s[42:43], exec, s[42:43]
; %bb.789:                              ;   in Loop: Header=BB6_776 Depth=3
	v_bfe_u32 v0, v13, 16, 1
	v_add3_u32 v9, v13, v0, s67
                                        ; implicit-def: $vgpr13
; %bb.790:                              ;   in Loop: Header=BB6_776 Depth=3
	s_andn2_saveexec_b64 s[42:43], s[42:43]
; %bb.791:                              ;   in Loop: Header=BB6_776 Depth=3
	v_or_b32_e32 v0, 0x10000, v13
	v_cmp_eq_u32_sdwa vcc, v13, v2 src0_sel:WORD_0 src1_sel:DWORD
	v_cndmask_b32_e32 v9, v0, v13, vcc
; %bb.792:                              ;   in Loop: Header=BB6_776 Depth=3
	s_or_b64 exec, exec, s[42:43]
	v_lshlrev_b32_e32 v0, 16, v10
	v_lshlrev_b32_e32 v13, 16, v14
	v_max_f32_e32 v0, v0, v0
	v_max_f32_e32 v13, v13, v13
	v_min_f32_e32 v26, v13, v0
	v_max_f32_e32 v0, v13, v0
	v_cndmask_b32_e64 v26, v0, v26, s[40:41]
	v_and_b32_e32 v0, 0x7f800000, v26
	v_cmp_ne_u32_e32 vcc, s66, v0
                                        ; implicit-def: $vgpr13
	s_and_saveexec_b64 s[42:43], vcc
	s_xor_b64 s[42:43], exec, s[42:43]
; %bb.793:                              ;   in Loop: Header=BB6_776 Depth=3
	v_bfe_u32 v0, v26, 16, 1
	v_add3_u32 v13, v26, v0, s67
                                        ; implicit-def: $vgpr26
; %bb.794:                              ;   in Loop: Header=BB6_776 Depth=3
	s_andn2_saveexec_b64 s[42:43], s[42:43]
; %bb.795:                              ;   in Loop: Header=BB6_776 Depth=3
	v_or_b32_e32 v0, 0x10000, v26
	v_cmp_eq_u32_sdwa vcc, v26, v2 src0_sel:WORD_0 src1_sel:DWORD
	v_cndmask_b32_e32 v13, v0, v26, vcc
; %bb.796:                              ;   in Loop: Header=BB6_776 Depth=3
	s_or_b64 exec, exec, s[42:43]
	v_and_b32_e32 v0, 0xffff0000, v14
	v_and_b32_e32 v10, 0xffff0000, v10
	v_max_f32_e32 v10, v10, v10
	v_max_f32_e32 v0, v0, v0
	v_min_f32_e32 v14, v0, v10
	v_max_f32_e32 v0, v0, v10
	v_cndmask_b32_e64 v14, v0, v14, s[40:41]
	v_and_b32_e32 v0, 0x7f800000, v14
	v_cmp_ne_u32_e32 vcc, s66, v0
                                        ; implicit-def: $vgpr10
	s_and_saveexec_b64 s[42:43], vcc
	s_xor_b64 s[42:43], exec, s[42:43]
; %bb.797:                              ;   in Loop: Header=BB6_776 Depth=3
	v_bfe_u32 v0, v14, 16, 1
	v_add3_u32 v10, v14, v0, s67
                                        ; implicit-def: $vgpr14
; %bb.798:                              ;   in Loop: Header=BB6_776 Depth=3
	s_andn2_saveexec_b64 s[42:43], s[42:43]
; %bb.799:                              ;   in Loop: Header=BB6_776 Depth=3
	v_or_b32_e32 v0, 0x10000, v14
	v_cmp_eq_u32_sdwa vcc, v14, v2 src0_sel:WORD_0 src1_sel:DWORD
	v_cndmask_b32_e32 v10, v0, v14, vcc
; %bb.800:                              ;   in Loop: Header=BB6_776 Depth=3
	s_or_b64 exec, exec, s[42:43]
	v_lshlrev_b32_e32 v0, 16, v11
	v_lshlrev_b32_e32 v14, 16, v15
	v_max_f32_e32 v0, v0, v0
	v_max_f32_e32 v14, v14, v14
	v_min_f32_e32 v26, v14, v0
	v_max_f32_e32 v0, v14, v0
	v_cndmask_b32_e64 v26, v0, v26, s[40:41]
	v_and_b32_e32 v0, 0x7f800000, v26
	v_cmp_ne_u32_e32 vcc, s66, v0
                                        ; implicit-def: $vgpr14
	s_and_saveexec_b64 s[42:43], vcc
	s_xor_b64 s[42:43], exec, s[42:43]
; %bb.801:                              ;   in Loop: Header=BB6_776 Depth=3
	v_bfe_u32 v0, v26, 16, 1
	v_add3_u32 v14, v26, v0, s67
                                        ; implicit-def: $vgpr26
; %bb.802:                              ;   in Loop: Header=BB6_776 Depth=3
	s_andn2_saveexec_b64 s[42:43], s[42:43]
; %bb.803:                              ;   in Loop: Header=BB6_776 Depth=3
	v_or_b32_e32 v0, 0x10000, v26
	v_cmp_eq_u32_sdwa vcc, v26, v2 src0_sel:WORD_0 src1_sel:DWORD
	v_cndmask_b32_e32 v14, v0, v26, vcc
; %bb.804:                              ;   in Loop: Header=BB6_776 Depth=3
	s_or_b64 exec, exec, s[42:43]
	v_and_b32_e32 v0, 0xffff0000, v15
	v_and_b32_e32 v11, 0xffff0000, v11
	v_max_f32_e32 v11, v11, v11
	v_max_f32_e32 v0, v0, v0
	v_min_f32_e32 v15, v0, v11
	v_max_f32_e32 v0, v0, v11
	v_cndmask_b32_e64 v15, v0, v15, s[40:41]
	v_and_b32_e32 v0, 0x7f800000, v15
	v_cmp_ne_u32_e32 vcc, s66, v0
                                        ; implicit-def: $vgpr11
	s_and_saveexec_b64 s[42:43], vcc
	s_xor_b64 s[42:43], exec, s[42:43]
; %bb.805:                              ;   in Loop: Header=BB6_776 Depth=3
	v_bfe_u32 v0, v15, 16, 1
	v_add3_u32 v11, v15, v0, s67
                                        ; implicit-def: $vgpr15
; %bb.806:                              ;   in Loop: Header=BB6_776 Depth=3
	s_andn2_saveexec_b64 s[42:43], s[42:43]
; %bb.807:                              ;   in Loop: Header=BB6_776 Depth=3
	v_or_b32_e32 v0, 0x10000, v15
	v_cmp_eq_u32_sdwa vcc, v15, v2 src0_sel:WORD_0 src1_sel:DWORD
	v_cndmask_b32_e32 v11, v0, v15, vcc
; %bb.808:                              ;   in Loop: Header=BB6_776 Depth=3
	s_or_b64 exec, exec, s[42:43]
	v_lshrrev_b32_e32 v0, 16, v12
	v_and_or_b32 v9, v9, s68, v0
	v_lshrrev_b32_e32 v0, 16, v52
	v_and_or_b32 v8, v8, s68, v0
	;; [unrolled: 2-line block ×4, first 2 shown]
	s_mov_b64 s[38:39], 0
	s_mov_b64 s[36:37], -1
.LBB6_809:                              ;   Parent Loop BB6_47 Depth=1
                                        ;     Parent Loop BB6_623 Depth=2
                                        ;       Parent Loop BB6_776 Depth=3
                                        ; =>      This Inner Loop Header: Depth=4
	s_cmp_eq_u32 s38, 1
	s_cselect_b64 s[42:43], -1, 0
	v_cndmask_b32_e64 v12, v24, v30, s[42:43]
	v_cndmask_b32_e64 v13, v25, v31, s[42:43]
	v_add_co_u32_e32 v0, vcc, 0x400, v12
	s_cmp_eq_u32 s38, 0
	global_store_dwordx4 v[12:13], v[8:11], off glc slc
	v_addc_co_u32_e32 v12, vcc, 0, v13, vcc
	s_cselect_b64 vcc, -1, 0
	s_and_b64 s[44:45], exec, s[36:37]
	s_mov_b64 s[38:39], 1
	v_cndmask_b32_e64 v30, v30, v0, s[42:43]
	s_mov_b64 s[36:37], 0
	v_cndmask_b32_e64 v31, v31, v12, s[42:43]
	v_cndmask_b32_e32 v25, v25, v12, vcc
	v_cndmask_b32_e32 v24, v24, v0, vcc
	s_mov_b64 vcc, s[44:45]
	s_cbranch_vccnz .LBB6_809
; %bb.810:                              ;   in Loop: Header=BB6_776 Depth=3
	buffer_load_dword v0, off, s[0:3], s33 offset:92 ; 4-byte Folded Reload
	buffer_load_dword v8, off, s[0:3], s33 offset:96 ; 4-byte Folded Reload
	v_sub_u32_e32 v23, v23, v43
	v_sub_u32_e32 v22, v22, v51
	s_waitcnt vmcnt(1)
	v_add_co_u32_e32 v3, vcc, v3, v0
	s_waitcnt vmcnt(0)
	v_addc_co_u32_e32 v4, vcc, v4, v8, vcc
	v_add_co_u32_e32 v16, vcc, v16, v0
	v_addc_co_u32_e32 v17, vcc, v17, v8, vcc
	buffer_load_dword v8, off, s[0:3], s33 offset:88 ; 4-byte Folded Reload
	v_add_u32_e32 v0, 0xfffffc00, v43
	v_add_co_u32_e32 v24, vcc, v24, v0
	s_waitcnt vmcnt(0)
	v_addc_co_u32_e32 v25, vcc, v25, v8, vcc
	v_add_co_u32_e32 v30, vcc, v30, v0
	v_addc_co_u32_e32 v31, vcc, v31, v8, vcc
	v_cmp_gt_i32_e32 vcc, 16, v23
	s_or_b64 s[34:35], vcc, s[34:35]
	s_andn2_b64 exec, exec, s[34:35]
	s_cbranch_execnz .LBB6_776
; %bb.811:                              ;   in Loop: Header=BB6_623 Depth=2
	s_or_b64 exec, exec, s[34:35]
.LBB6_812:                              ;   in Loop: Header=BB6_623 Depth=2
	s_or_b64 exec, exec, s[30:31]
	v_and_b32_e32 v0, 14, v55
	v_cmp_lt_i32_e32 vcc, 0, v22
	v_sub_u32_e32 v3, v21, v0
	v_cndmask_b32_e64 v15, v21, v0, s[28:29]
	v_cndmask_b32_e32 v0, 0, v51, vcc
	v_cndmask_b32_e64 v3, 0, v3, s[28:29]
	v_sub_u32_e32 v0, v0, v22
	v_cmp_ne_u32_e32 vcc, 0, v15
	v_add3_u32 v14, v20, v18, v3
	v_lshl_add_u32 v16, v0, 6, v19
	s_and_b64 s[28:29], vcc, exec
.LBB6_813:                              ;   in Loop: Header=BB6_623 Depth=2
	s_or_b64 exec, exec, s[94:95]
	s_and_saveexec_b64 s[44:45], s[28:29]
	s_cbranch_execz .LBB6_860
.LBB6_814:                              ;   in Loop: Header=BB6_623 Depth=2
	v_ashrrev_i32_e32 v0, 31, v16
	v_ashrrev_i32_e32 v3, 31, v15
	v_lshrrev_b32_e32 v0, 26, v0
	v_lshrrev_b32_e32 v3, 22, v3
	v_add_u32_e32 v0, v16, v0
	v_add_u32_e32 v3, v15, v3
	v_ashrrev_i32_e32 v17, 6, v0
	v_ashrrev_i32_e32 v19, 10, v3
	v_sub_u32_e32 v18, v19, v17
	v_cmp_lt_i32_e32 vcc, 0, v18
	s_and_saveexec_b64 s[40:41], vcc
	s_cbranch_execz .LBB6_850
; %bb.815:                              ;   in Loop: Header=BB6_623 Depth=2
	v_and_b32_e32 v0, 0x7fffffc0, v0
	v_sub_u32_e32 v0, v16, v0
	v_lshlrev_b32_e32 v0, 1, v0
	v_lshlrev_b32_e32 v3, 10, v17
	v_add3_u32 v0, v0, v14, v3
	buffer_load_dword v3, off, s[0:3], s33 offset:144 ; 4-byte Folded Reload
	buffer_load_dword v4, off, s[0:3], s33 offset:148 ; 4-byte Folded Reload
	v_ashrrev_i32_e32 v20, 31, v0
	s_trap 2
	ds_read_b64 v[12:13], v0
	s_and_b32 s58, s48, 1
	s_cmp_eq_u64 s[58:59], 0
	s_mov_b64 s[42:43], 0
	s_waitcnt vmcnt(0)
	v_add_co_u32_e32 v3, vcc, v0, v3
	v_addc_co_u32_e32 v4, vcc, v20, v4, vcc
	v_add_co_u32_e32 v8, vcc, v0, v28
	v_addc_co_u32_e32 v9, vcc, v20, v29, vcc
	v_add_co_u32_e32 v10, vcc, v0, v57
	v_addc_co_u32_e32 v11, vcc, v20, v58, vcc
	s_waitcnt lgkmcnt(0)
	v_add_co_u32_e32 v12, vcc, v12, v0
	v_addc_co_u32_e32 v13, vcc, v13, v20, vcc
	s_cselect_b64 vcc, -1, 0
	s_branch .LBB6_817
.LBB6_816:                              ;   in Loop: Header=BB6_817 Depth=3
	s_or_b64 exec, exec, s[94:95]
	v_add_co_u32_e64 v10, s[28:29], v10, v43
	v_addc_co_u32_e64 v11, s[28:29], 0, v11, s[28:29]
	v_add_co_u32_e64 v12, s[28:29], v12, v43
	v_lshrrev_b32_e32 v20, 16, v20
	v_addc_co_u32_e64 v13, s[28:29], 0, v13, s[28:29]
	v_lshrrev_b32_e32 v0, 16, v24
	v_lshrrev_b32_e32 v22, 16, v31
	;; [unrolled: 1-line block ×7, first 2 shown]
	flat_store_short v[3:4], v20 glc slc
	flat_store_short v[3:4], v23 offset:128 glc slc
	flat_store_short v[3:4], v26 offset:256 glc slc
	;; [unrolled: 1-line block ×7, first 2 shown]
	flat_store_short v[8:9], v20 glc slc
	flat_store_short v[8:9], v23 offset:128 glc slc
	flat_store_short v[8:9], v26 offset:256 glc slc
	flat_store_short v[8:9], v25 offset:384 glc slc
	flat_store_short v[8:9], v24 offset:512 glc slc
	flat_store_short v[8:9], v22 offset:640 glc slc
	flat_store_short v[8:9], v0 offset:768 glc slc
	flat_store_short v[8:9], v21 offset:896 glc slc
	v_add_co_u32_e64 v3, s[28:29], v3, v43
	v_addc_co_u32_e64 v4, s[28:29], 0, v4, s[28:29]
	v_sub_u32_e32 v18, v18, v51
	v_cmp_gt_i32_e64 s[28:29], 1, v18
	s_or_b64 s[42:43], s[28:29], s[42:43]
	v_add_co_u32_e64 v8, s[28:29], v8, v43
	v_addc_co_u32_e64 v9, s[28:29], 0, v9, s[28:29]
	s_andn2_b64 exec, exec, s[42:43]
	s_cbranch_execz .LBB6_849
.LBB6_817:                              ;   Parent Loop BB6_47 Depth=1
                                        ;     Parent Loop BB6_623 Depth=2
                                        ; =>    This Inner Loop Header: Depth=3
	flat_load_ushort v0, v[12:13] glc slc
	flat_load_ushort v30, v[10:11] offset:256 glc slc
	flat_load_ushort v53, v[10:11] offset:384 glc slc
	;; [unrolled: 1-line block ×5, first 2 shown]
	flat_load_ushort v20, v[10:11] glc slc
	flat_load_ushort v21, v[10:11] offset:896 glc slc
	flat_load_ushort v23, v[10:11] offset:128 glc slc
	;; [unrolled: 1-line block ×9, first 2 shown]
	s_waitcnt vmcnt(0) lgkmcnt(0)
	v_lshlrev_b32_e32 v0, 16, v0
	v_max_f32_e32 v0, v0, v0
	v_lshlrev_b32_e32 v20, 16, v20
	v_max_f32_e32 v20, v20, v20
	v_min_f32_e32 v27, v20, v0
	v_max_f32_e32 v0, v20, v0
	v_cndmask_b32_e32 v27, v0, v27, vcc
	v_and_b32_e32 v0, 0x7f800000, v27
	v_cmp_ne_u32_e64 s[28:29], s66, v0
                                        ; implicit-def: $vgpr20
	s_and_saveexec_b64 s[94:95], s[28:29]
	s_xor_b64 s[28:29], exec, s[94:95]
; %bb.818:                              ;   in Loop: Header=BB6_817 Depth=3
	v_bfe_u32 v0, v27, 16, 1
	v_add3_u32 v20, v27, v0, s67
                                        ; implicit-def: $vgpr27
; %bb.819:                              ;   in Loop: Header=BB6_817 Depth=3
	s_andn2_saveexec_b64 s[94:95], s[28:29]
; %bb.820:                              ;   in Loop: Header=BB6_817 Depth=3
	v_or_b32_e32 v0, 0x10000, v27
	v_cmp_eq_u32_sdwa s[28:29], v27, v2 src0_sel:WORD_0 src1_sel:DWORD
	v_cndmask_b32_e64 v20, v0, v27, s[28:29]
; %bb.821:                              ;   in Loop: Header=BB6_817 Depth=3
	s_or_b64 exec, exec, s[94:95]
	v_lshlrev_b32_e32 v0, 16, v23
	v_lshlrev_b32_e32 v23, 16, v26
	v_max_f32_e32 v23, v23, v23
	v_max_f32_e32 v0, v0, v0
	v_min_f32_e32 v26, v0, v23
	v_max_f32_e32 v0, v0, v23
	v_cndmask_b32_e32 v26, v0, v26, vcc
	v_and_b32_e32 v0, 0x7f800000, v26
	v_cmp_ne_u32_e64 s[28:29], s66, v0
                                        ; implicit-def: $vgpr23
	s_and_saveexec_b64 s[94:95], s[28:29]
	s_xor_b64 s[28:29], exec, s[94:95]
; %bb.822:                              ;   in Loop: Header=BB6_817 Depth=3
	v_bfe_u32 v0, v26, 16, 1
	v_add3_u32 v23, v26, v0, s67
                                        ; implicit-def: $vgpr26
; %bb.823:                              ;   in Loop: Header=BB6_817 Depth=3
	s_andn2_saveexec_b64 s[94:95], s[28:29]
; %bb.824:                              ;   in Loop: Header=BB6_817 Depth=3
	v_or_b32_e32 v0, 0x10000, v26
	v_cmp_eq_u32_sdwa s[28:29], v26, v2 src0_sel:WORD_0 src1_sel:DWORD
	v_cndmask_b32_e64 v23, v0, v26, s[28:29]
; %bb.825:                              ;   in Loop: Header=BB6_817 Depth=3
	s_or_b64 exec, exec, s[94:95]
	v_lshlrev_b32_e32 v0, 16, v30
	v_lshlrev_b32_e32 v26, 16, v61
	v_max_f32_e32 v26, v26, v26
	v_max_f32_e32 v0, v0, v0
	v_min_f32_e32 v27, v0, v26
	v_max_f32_e32 v0, v0, v26
	v_cndmask_b32_e32 v26, v0, v27, vcc
	v_and_b32_e32 v0, 0x7f800000, v26
	v_cmp_ne_u32_e64 s[28:29], s66, v0
                                        ; implicit-def: $vgpr30
	s_and_saveexec_b64 s[94:95], s[28:29]
	s_xor_b64 s[28:29], exec, s[94:95]
; %bb.826:                              ;   in Loop: Header=BB6_817 Depth=3
	v_bfe_u32 v0, v26, 16, 1
	v_add3_u32 v30, v26, v0, s67
                                        ; implicit-def: $vgpr26
; %bb.827:                              ;   in Loop: Header=BB6_817 Depth=3
	s_andn2_saveexec_b64 s[94:95], s[28:29]
; %bb.828:                              ;   in Loop: Header=BB6_817 Depth=3
	v_or_b32_e32 v0, 0x10000, v26
	v_cmp_eq_u32_sdwa s[28:29], v26, v2 src0_sel:WORD_0 src1_sel:DWORD
	v_cndmask_b32_e64 v30, v0, v26, s[28:29]
; %bb.829:                              ;   in Loop: Header=BB6_817 Depth=3
	s_or_b64 exec, exec, s[94:95]
	v_lshlrev_b32_e32 v0, 16, v53
	v_lshlrev_b32_e32 v26, 16, v47
	v_max_f32_e32 v26, v26, v26
	v_max_f32_e32 v0, v0, v0
	v_min_f32_e32 v27, v0, v26
	v_max_f32_e32 v0, v0, v26
	v_cndmask_b32_e32 v26, v0, v27, vcc
	v_and_b32_e32 v0, 0x7f800000, v26
	v_cmp_ne_u32_e64 s[28:29], s66, v0
                                        ; implicit-def: $vgpr53
	s_and_saveexec_b64 s[94:95], s[28:29]
	s_xor_b64 s[28:29], exec, s[94:95]
; %bb.830:                              ;   in Loop: Header=BB6_817 Depth=3
	v_bfe_u32 v0, v26, 16, 1
	v_add3_u32 v53, v26, v0, s67
                                        ; implicit-def: $vgpr26
; %bb.831:                              ;   in Loop: Header=BB6_817 Depth=3
	s_andn2_saveexec_b64 s[94:95], s[28:29]
; %bb.832:                              ;   in Loop: Header=BB6_817 Depth=3
	v_or_b32_e32 v0, 0x10000, v26
	v_cmp_eq_u32_sdwa s[28:29], v26, v2 src0_sel:WORD_0 src1_sel:DWORD
	v_cndmask_b32_e64 v53, v0, v26, s[28:29]
; %bb.833:                              ;   in Loop: Header=BB6_817 Depth=3
	s_or_b64 exec, exec, s[94:95]
	v_lshlrev_b32_e32 v0, 16, v54
	v_lshlrev_b32_e32 v26, 16, v55
	v_max_f32_e32 v26, v26, v26
	v_max_f32_e32 v0, v0, v0
	v_min_f32_e32 v27, v0, v26
	v_max_f32_e32 v0, v0, v26
	v_cndmask_b32_e32 v26, v0, v27, vcc
	v_and_b32_e32 v0, 0x7f800000, v26
	v_cmp_ne_u32_e64 s[28:29], s66, v0
                                        ; implicit-def: $vgpr54
	s_and_saveexec_b64 s[94:95], s[28:29]
	s_xor_b64 s[28:29], exec, s[94:95]
; %bb.834:                              ;   in Loop: Header=BB6_817 Depth=3
	v_bfe_u32 v0, v26, 16, 1
	v_add3_u32 v54, v26, v0, s67
                                        ; implicit-def: $vgpr26
; %bb.835:                              ;   in Loop: Header=BB6_817 Depth=3
	s_andn2_saveexec_b64 s[94:95], s[28:29]
; %bb.836:                              ;   in Loop: Header=BB6_817 Depth=3
	v_or_b32_e32 v0, 0x10000, v26
	v_cmp_eq_u32_sdwa s[28:29], v26, v2 src0_sel:WORD_0 src1_sel:DWORD
	v_cndmask_b32_e64 v54, v0, v26, s[28:29]
; %bb.837:                              ;   in Loop: Header=BB6_817 Depth=3
	s_or_b64 exec, exec, s[94:95]
	v_lshlrev_b32_e32 v0, 16, v31
	v_lshlrev_b32_e32 v26, 16, v52
	v_max_f32_e32 v26, v26, v26
	v_max_f32_e32 v0, v0, v0
	v_min_f32_e32 v27, v0, v26
	v_max_f32_e32 v0, v0, v26
	v_cndmask_b32_e32 v26, v0, v27, vcc
	v_and_b32_e32 v0, 0x7f800000, v26
	v_cmp_ne_u32_e64 s[28:29], s66, v0
                                        ; implicit-def: $vgpr31
	s_and_saveexec_b64 s[94:95], s[28:29]
	s_xor_b64 s[28:29], exec, s[94:95]
; %bb.838:                              ;   in Loop: Header=BB6_817 Depth=3
	v_bfe_u32 v0, v26, 16, 1
	v_add3_u32 v31, v26, v0, s67
                                        ; implicit-def: $vgpr26
; %bb.839:                              ;   in Loop: Header=BB6_817 Depth=3
	s_andn2_saveexec_b64 s[94:95], s[28:29]
; %bb.840:                              ;   in Loop: Header=BB6_817 Depth=3
	v_or_b32_e32 v0, 0x10000, v26
	v_cmp_eq_u32_sdwa s[28:29], v26, v2 src0_sel:WORD_0 src1_sel:DWORD
	v_cndmask_b32_e64 v31, v0, v26, s[28:29]
; %bb.841:                              ;   in Loop: Header=BB6_817 Depth=3
	s_or_b64 exec, exec, s[94:95]
	v_lshlrev_b32_e32 v0, 16, v24
	v_lshlrev_b32_e32 v24, 16, v25
	v_max_f32_e32 v24, v24, v24
	v_max_f32_e32 v0, v0, v0
	v_min_f32_e32 v25, v0, v24
	v_max_f32_e32 v0, v0, v24
	v_cndmask_b32_e32 v25, v0, v25, vcc
	v_and_b32_e32 v0, 0x7f800000, v25
	v_cmp_ne_u32_e64 s[28:29], s66, v0
                                        ; implicit-def: $vgpr24
	s_and_saveexec_b64 s[94:95], s[28:29]
	s_xor_b64 s[28:29], exec, s[94:95]
; %bb.842:                              ;   in Loop: Header=BB6_817 Depth=3
	v_bfe_u32 v0, v25, 16, 1
	v_add3_u32 v24, v25, v0, s67
                                        ; implicit-def: $vgpr25
; %bb.843:                              ;   in Loop: Header=BB6_817 Depth=3
	s_andn2_saveexec_b64 s[94:95], s[28:29]
; %bb.844:                              ;   in Loop: Header=BB6_817 Depth=3
	v_or_b32_e32 v0, 0x10000, v25
	v_cmp_eq_u32_sdwa s[28:29], v25, v2 src0_sel:WORD_0 src1_sel:DWORD
	v_cndmask_b32_e64 v24, v0, v25, s[28:29]
; %bb.845:                              ;   in Loop: Header=BB6_817 Depth=3
	s_or_b64 exec, exec, s[94:95]
	v_lshlrev_b32_e32 v0, 16, v21
	v_lshlrev_b32_e32 v21, 16, v22
	v_max_f32_e32 v21, v21, v21
	v_max_f32_e32 v0, v0, v0
	v_min_f32_e32 v22, v0, v21
	v_max_f32_e32 v0, v0, v21
	v_cndmask_b32_e32 v22, v0, v22, vcc
	v_and_b32_e32 v0, 0x7f800000, v22
	v_cmp_ne_u32_e64 s[28:29], s66, v0
                                        ; implicit-def: $vgpr21
	s_and_saveexec_b64 s[94:95], s[28:29]
	s_xor_b64 s[28:29], exec, s[94:95]
; %bb.846:                              ;   in Loop: Header=BB6_817 Depth=3
	v_bfe_u32 v0, v22, 16, 1
	v_add3_u32 v21, v22, v0, s67
                                        ; implicit-def: $vgpr22
; %bb.847:                              ;   in Loop: Header=BB6_817 Depth=3
	s_andn2_saveexec_b64 s[94:95], s[28:29]
	s_cbranch_execz .LBB6_816
; %bb.848:                              ;   in Loop: Header=BB6_817 Depth=3
	v_or_b32_e32 v0, 0x10000, v22
	v_cmp_eq_u32_sdwa s[28:29], v22, v2 src0_sel:WORD_0 src1_sel:DWORD
	v_cndmask_b32_e64 v21, v0, v22, s[28:29]
	s_branch .LBB6_816
.LBB6_849:                              ;   in Loop: Header=BB6_623 Depth=2
	s_or_b64 exec, exec, s[42:43]
	v_mov_b32_e32 v61, 0xc8
	v_lshlrev_b32_e32 v55, 1, v35
.LBB6_850:                              ;   in Loop: Header=BB6_623 Depth=2
	s_or_b64 exec, exec, s[40:41]
	v_lshlrev_b32_e32 v0, 10, v19
	v_cmp_ne_u32_e32 vcc, v15, v0
	s_and_b64 exec, exec, vcc
	s_cbranch_execz .LBB6_860
; %bb.851:                              ;   in Loop: Header=BB6_623 Depth=2
	v_lshlrev_b32_e32 v3, 6, v17
	v_sub_u32_e32 v3, v16, v3
	v_lshlrev_b32_e32 v4, 6, v18
	v_sub_u32_e32 v3, v3, v4
	v_ashrrev_i32_e32 v4, 31, v3
	v_lshrrev_b32_e32 v4, 26, v4
	v_add_u32_e32 v4, v3, v4
	v_and_b32_e32 v8, 0x7fffffc0, v4
	v_sub_u32_e32 v3, v3, v8
	v_lshlrev_b32_e32 v4, 1, v4
	v_and_b32_e32 v4, 0xffffff80, v4
	v_lshlrev_b32_e32 v3, 1, v3
	v_add3_u32 v0, v4, v3, v0
	v_sub_u32_e32 v10, v15, v0
	v_cmp_lt_i32_e32 vcc, 1, v10
	s_and_b64 exec, exec, vcc
	s_cbranch_execz .LBB6_860
; %bb.852:                              ;   in Loop: Header=BB6_623 Depth=2
	buffer_load_dword v3, off, s[0:3], s33 offset:144 ; 4-byte Folded Reload
	buffer_load_dword v4, off, s[0:3], s33 offset:148 ; 4-byte Folded Reload
	v_add_u32_e32 v0, v0, v14
	v_ashrrev_i32_e32 v15, 31, v0
	s_trap 2
	ds_read_b64 v[8:9], v0
	s_and_b32 s58, s48, 1
	s_cmp_eq_u64 s[58:59], 0
	s_mov_b64 s[94:95], 0
	s_cselect_b64 s[28:29], -1, 0
	s_waitcnt vmcnt(0)
	v_add_co_u32_e32 v11, vcc, v0, v3
	v_addc_co_u32_e32 v12, vcc, v15, v4, vcc
	v_add_co_u32_e32 v13, vcc, v0, v28
	v_addc_co_u32_e32 v14, vcc, v15, v29, vcc
	;; [unrolled: 2-line block ×3, first 2 shown]
	s_waitcnt lgkmcnt(0)
	v_add_co_u32_e32 v8, vcc, v8, v0
	v_addc_co_u32_e32 v9, vcc, v9, v15, vcc
.LBB6_853:                              ;   Parent Loop BB6_47 Depth=1
                                        ;     Parent Loop BB6_623 Depth=2
                                        ; =>    This Loop Header: Depth=3
                                        ;         Child Loop BB6_858 Depth 4
	flat_load_ushort v0, v[8:9] glc slc
	flat_load_ushort v15, v[3:4] glc slc
	s_waitcnt vmcnt(0) lgkmcnt(0)
	v_lshlrev_b32_e32 v0, 16, v0
	v_lshlrev_b32_e32 v15, 16, v15
	v_max_f32_e32 v0, v0, v0
	v_max_f32_e32 v15, v15, v15
	v_min_f32_e32 v16, v15, v0
	v_max_f32_e32 v0, v15, v0
	v_cndmask_b32_e64 v15, v0, v16, s[28:29]
	v_and_b32_e32 v0, 0x7f800000, v15
	v_cmp_ne_u32_e32 vcc, s66, v0
                                        ; implicit-def: $vgpr0
	s_and_saveexec_b64 s[40:41], vcc
	s_xor_b64 s[40:41], exec, s[40:41]
; %bb.854:                              ;   in Loop: Header=BB6_853 Depth=3
	v_bfe_u32 v0, v15, 16, 1
	v_add3_u32 v0, v15, v0, s67
                                        ; implicit-def: $vgpr15
; %bb.855:                              ;   in Loop: Header=BB6_853 Depth=3
	s_andn2_saveexec_b64 s[40:41], s[40:41]
; %bb.856:                              ;   in Loop: Header=BB6_853 Depth=3
	v_or_b32_e32 v0, 0x10000, v15
	v_cmp_eq_u32_sdwa vcc, v15, v2 src0_sel:WORD_0 src1_sel:DWORD
	v_cndmask_b32_e32 v0, v0, v15, vcc
; %bb.857:                              ;   in Loop: Header=BB6_853 Depth=3
	s_or_b64 exec, exec, s[40:41]
	v_lshrrev_b32_e32 v15, 16, v0
	s_mov_b64 s[34:35], 0
	s_mov_b64 s[30:31], -1
.LBB6_858:                              ;   Parent Loop BB6_47 Depth=1
                                        ;     Parent Loop BB6_623 Depth=2
                                        ;       Parent Loop BB6_853 Depth=3
                                        ; =>      This Inner Loop Header: Depth=4
	s_cmp_eq_u32 s34, 1
	s_cselect_b64 s[40:41], -1, 0
	v_cndmask_b32_e64 v16, v11, v13, s[40:41]
	v_cndmask_b32_e64 v17, v12, v14, s[40:41]
	v_add_co_u32_e32 v0, vcc, 0x80, v16
	s_cmp_eq_u32 s34, 0
	flat_store_short v[16:17], v15 glc slc
	v_addc_co_u32_e32 v16, vcc, 0, v17, vcc
	s_cselect_b64 vcc, -1, 0
	s_and_b64 s[42:43], exec, s[30:31]
	s_mov_b64 s[34:35], 1
	v_cndmask_b32_e64 v13, v13, v0, s[40:41]
	s_mov_b64 s[30:31], 0
	v_cndmask_b32_e64 v14, v14, v16, s[40:41]
	v_cndmask_b32_e32 v12, v12, v16, vcc
	v_cndmask_b32_e32 v11, v11, v0, vcc
	s_mov_b64 vcc, s[42:43]
	s_cbranch_vccnz .LBB6_858
; %bb.859:                              ;   in Loop: Header=BB6_853 Depth=3
	buffer_load_dword v0, off, s[0:3], s33 offset:80 ; 4-byte Folded Reload
	buffer_load_dword v15, off, s[0:3], s33 offset:84 ; 4-byte Folded Reload
	v_sub_u32_e32 v10, v10, v42
	s_waitcnt vmcnt(0)
	v_add_co_u32_e32 v3, vcc, v3, v0
	v_addc_co_u32_e32 v4, vcc, v4, v15, vcc
	v_add_co_u32_e32 v8, vcc, v8, v0
	v_addc_co_u32_e32 v9, vcc, v9, v15, vcc
	buffer_load_dword v15, off, s[0:3], s33 offset:76 ; 4-byte Folded Reload
	v_add_u32_e32 v0, 0xffffff80, v42
	v_add_co_u32_e32 v11, vcc, v11, v0
	s_waitcnt vmcnt(0)
	v_addc_co_u32_e32 v12, vcc, v12, v15, vcc
	v_cmp_gt_i32_e32 vcc, 2, v10
	s_or_b64 s[94:95], vcc, s[94:95]
	v_add_co_u32_e32 v13, vcc, v13, v0
	v_addc_co_u32_e32 v14, vcc, v14, v15, vcc
	s_andn2_b64 exec, exec, s[94:95]
	s_cbranch_execnz .LBB6_853
.LBB6_860:                              ;   in Loop: Header=BB6_623 Depth=2
	s_or_b64 exec, exec, s[44:45]
	s_branch .LBB6_704
.LBB6_861:                              ;   in Loop: Header=BB6_623 Depth=2
	s_mov_b64 s[40:41], -1
	s_and_saveexec_b64 s[28:29], s[22:23]
	s_cbranch_execz .LBB6_863
; %bb.862:                              ;   in Loop: Header=BB6_623 Depth=2
	ds_read_b32 v0, v0 offset:720
	s_waitcnt lgkmcnt(0)
	v_and_b32_e32 v0, 15, v0
	v_cmp_eq_u32_e32 vcc, 0, v0
	s_orn2_b64 s[40:41], vcc, exec
.LBB6_863:                              ;   in Loop: Header=BB6_623 Depth=2
	s_or_b64 exec, exec, s[28:29]
	s_and_saveexec_b64 s[28:29], s[18:19]
	s_cbranch_execz .LBB6_865
; %bb.864:                              ;   in Loop: Header=BB6_623 Depth=2
	ds_read_b32 v0, v0 offset:784
	s_waitcnt lgkmcnt(0)
	v_and_b32_e32 v0, 15, v0
	v_cmp_eq_u32_e32 vcc, 0, v0
	s_and_b64 s[42:43], s[40:41], vcc
	s_andn2_b64 s[40:41], s[40:41], exec
	s_and_b64 s[42:43], s[42:43], exec
	s_or_b64 s[40:41], s[40:41], s[42:43]
.LBB6_865:                              ;   in Loop: Header=BB6_623 Depth=2
	s_or_b64 exec, exec, s[28:29]
	s_xor_b64 s[40:41], s[40:41], -1
	v_cndmask_b32_e64 v0, 0, 1, s[40:41]
	s_mov_b64 s[28:29], -1
	v_mov_b32_e32 v12, 0
	v_cmp_ne_u32_e32 vcc, 0, v0
	s_cbranch_vccz .LBB6_867
; %bb.866:                              ;   in Loop: Header=BB6_623 Depth=2
	v_mov_b32_e32 v13, v44
	s_and_saveexec_b64 s[40:41], s[28:29]
	s_cbranch_execnz .LBB6_974
	s_branch .LBB6_1018
.LBB6_867:                              ;   in Loop: Header=BB6_623 Depth=2
	v_ashrrev_i32_e32 v0, 31, v55
	v_lshrrev_b32_e32 v0, 21, v0
	v_add_u32_e32 v0, v55, v0
	v_ashrrev_i32_e32 v31, 11, v0
	buffer_load_dword v0, off, s[0:3], s33 offset:108 ; 4-byte Folded Reload
	s_waitcnt vmcnt(0)
	v_sub_u32_e32 v30, v31, v0
	v_cmp_lt_i32_e32 vcc, 0, v30
	s_and_saveexec_b64 s[40:41], vcc
	s_cbranch_execz .LBB6_935
; %bb.868:                              ;   in Loop: Header=BB6_623 Depth=2
	s_trap 2
	ds_read_b64 v[8:9], v0
	buffer_load_dword v0, off, s[0:3], s33 offset:136 ; 4-byte Folded Reload
	s_and_b32 s58, s48, 1
	s_cmp_eq_u64 s[58:59], 0
	s_mov_b64 s[42:43], 0
	s_waitcnt vmcnt(0)
	v_add_co_u32_e32 v3, vcc, v57, v0
	v_addc_co_u32_e32 v4, vcc, 0, v58, vcc
	s_waitcnt lgkmcnt(0)
	v_add_co_u32_e32 v24, vcc, v8, v0
	v_addc_co_u32_e32 v25, vcc, 0, v9, vcc
	buffer_load_dword v8, off, s[0:3], s33 offset:144 ; 4-byte Folded Reload
	buffer_load_dword v9, off, s[0:3], s33 offset:148 ; 4-byte Folded Reload
	s_waitcnt vmcnt(1)
	v_add_co_u32_e32 v28, vcc, v8, v0
	s_waitcnt vmcnt(0)
	v_addc_co_u32_e32 v29, vcc, 0, v9, vcc
	s_cselect_b64 vcc, -1, 0
	s_branch .LBB6_870
.LBB6_869:                              ;   in Loop: Header=BB6_870 Depth=3
	s_or_b64 exec, exec, s[44:45]
	v_lshrrev_b32_e32 v0, 16, v20
	v_and_or_b32 v17, v17, s68, v0
	v_lshrrev_b32_e32 v0, 16, v52
	v_and_or_b32 v16, v16, s68, v0
	v_lshrrev_b32_e32 v0, 16, v21
	v_and_or_b32 v18, v18, s68, v0
	v_lshrrev_b32_e32 v0, 16, v22
	v_add_co_u32_e64 v3, s[28:29], v3, v59
	v_and_or_b32 v19, v19, s68, v0
	v_lshrrev_b32_e32 v0, 16, v12
	v_addc_co_u32_e64 v4, s[28:29], 0, v4, s[28:29]
	v_and_or_b32 v9, v9, s68, v0
	v_lshrrev_b32_e32 v0, 16, v23
	v_add_co_u32_e64 v24, s[28:29], v24, v59
	v_and_or_b32 v8, v8, s68, v0
	v_lshrrev_b32_e32 v0, 16, v13
	v_addc_co_u32_e64 v25, s[28:29], 0, v25, s[28:29]
	v_sub_u32_e32 v30, v30, v51
	v_and_or_b32 v10, v10, s68, v0
	v_lshrrev_b32_e32 v0, 16, v14
	v_cmp_gt_i32_e64 s[28:29], 1, v30
	v_and_or_b32 v11, v11, s68, v0
	global_store_dwordx4 v[28:29], v[16:19], off glc slc
	global_store_dwordx4 v[28:29], v[8:11], off offset:1024 glc slc
	s_or_b64 s[42:43], s[28:29], s[42:43]
	v_add_co_u32_e64 v28, s[28:29], v28, v59
	v_addc_co_u32_e64 v29, s[28:29], 0, v29, s[28:29]
	s_andn2_b64 exec, exec, s[42:43]
	s_cbranch_execz .LBB6_934
.LBB6_870:                              ;   Parent Loop BB6_47 Depth=1
                                        ;     Parent Loop BB6_623 Depth=2
                                        ; =>    This Inner Loop Header: Depth=3
	global_load_dwordx4 v[16:19], v[3:4], off glc slc
	global_load_dwordx4 v[20:23], v[24:25], off glc slc
	global_load_dwordx4 v[8:11], v[3:4], off offset:1024 glc slc
	global_load_dwordx4 v[12:15], v[24:25], off offset:1024 glc slc
                                        ; implicit-def: $vgpr52
	s_waitcnt vmcnt(3)
	v_lshlrev_b32_e32 v0, 16, v16
	s_waitcnt vmcnt(2)
	v_lshlrev_b32_e32 v26, 16, v20
	v_max_f32_e32 v26, v26, v26
	v_max_f32_e32 v0, v0, v0
	v_min_f32_e32 v27, v0, v26
	v_max_f32_e32 v0, v0, v26
	v_cndmask_b32_e32 v26, v0, v27, vcc
	v_and_b32_e32 v0, 0x7f800000, v26
	v_cmp_ne_u32_e64 s[28:29], s66, v0
	s_and_saveexec_b64 s[44:45], s[28:29]
	s_xor_b64 s[28:29], exec, s[44:45]
; %bb.871:                              ;   in Loop: Header=BB6_870 Depth=3
	v_bfe_u32 v0, v26, 16, 1
	v_add3_u32 v52, v26, v0, s67
                                        ; implicit-def: $vgpr26
; %bb.872:                              ;   in Loop: Header=BB6_870 Depth=3
	s_andn2_saveexec_b64 s[44:45], s[28:29]
; %bb.873:                              ;   in Loop: Header=BB6_870 Depth=3
	v_or_b32_e32 v0, 0x10000, v26
	v_cmp_eq_u32_sdwa s[28:29], v26, v2 src0_sel:WORD_0 src1_sel:DWORD
	v_cndmask_b32_e64 v52, v0, v26, s[28:29]
; %bb.874:                              ;   in Loop: Header=BB6_870 Depth=3
	s_or_b64 exec, exec, s[44:45]
	v_and_b32_e32 v0, 0xffff0000, v16
	v_and_b32_e32 v16, 0xffff0000, v20
	v_max_f32_e32 v16, v16, v16
	v_max_f32_e32 v0, v0, v0
	v_min_f32_e32 v20, v0, v16
	v_max_f32_e32 v0, v0, v16
	v_cndmask_b32_e32 v20, v0, v20, vcc
	v_and_b32_e32 v0, 0x7f800000, v20
	v_cmp_ne_u32_e64 s[28:29], s66, v0
                                        ; implicit-def: $vgpr16
	s_and_saveexec_b64 s[44:45], s[28:29]
	s_xor_b64 s[28:29], exec, s[44:45]
; %bb.875:                              ;   in Loop: Header=BB6_870 Depth=3
	v_bfe_u32 v0, v20, 16, 1
	v_add3_u32 v16, v20, v0, s67
                                        ; implicit-def: $vgpr20
; %bb.876:                              ;   in Loop: Header=BB6_870 Depth=3
	s_andn2_saveexec_b64 s[44:45], s[28:29]
; %bb.877:                              ;   in Loop: Header=BB6_870 Depth=3
	v_or_b32_e32 v0, 0x10000, v20
	v_cmp_eq_u32_sdwa s[28:29], v20, v2 src0_sel:WORD_0 src1_sel:DWORD
	v_cndmask_b32_e64 v16, v0, v20, s[28:29]
; %bb.878:                              ;   in Loop: Header=BB6_870 Depth=3
	s_or_b64 exec, exec, s[44:45]
	v_lshlrev_b32_e32 v0, 16, v17
	v_lshlrev_b32_e32 v20, 16, v21
	v_max_f32_e32 v20, v20, v20
	v_max_f32_e32 v0, v0, v0
	v_min_f32_e32 v26, v0, v20
	v_max_f32_e32 v0, v0, v20
	v_cndmask_b32_e32 v26, v0, v26, vcc
	v_and_b32_e32 v0, 0x7f800000, v26
	v_cmp_ne_u32_e64 s[28:29], s66, v0
                                        ; implicit-def: $vgpr20
	s_and_saveexec_b64 s[44:45], s[28:29]
	s_xor_b64 s[28:29], exec, s[44:45]
; %bb.879:                              ;   in Loop: Header=BB6_870 Depth=3
	v_bfe_u32 v0, v26, 16, 1
	v_add3_u32 v20, v26, v0, s67
                                        ; implicit-def: $vgpr26
; %bb.880:                              ;   in Loop: Header=BB6_870 Depth=3
	s_andn2_saveexec_b64 s[44:45], s[28:29]
; %bb.881:                              ;   in Loop: Header=BB6_870 Depth=3
	v_or_b32_e32 v0, 0x10000, v26
	v_cmp_eq_u32_sdwa s[28:29], v26, v2 src0_sel:WORD_0 src1_sel:DWORD
	v_cndmask_b32_e64 v20, v0, v26, s[28:29]
; %bb.882:                              ;   in Loop: Header=BB6_870 Depth=3
	s_or_b64 exec, exec, s[44:45]
	v_and_b32_e32 v0, 0xffff0000, v17
	v_and_b32_e32 v17, 0xffff0000, v21
	v_max_f32_e32 v17, v17, v17
	v_max_f32_e32 v0, v0, v0
	v_min_f32_e32 v21, v0, v17
	v_max_f32_e32 v0, v0, v17
	v_cndmask_b32_e32 v21, v0, v21, vcc
	v_and_b32_e32 v0, 0x7f800000, v21
	v_cmp_ne_u32_e64 s[28:29], s66, v0
                                        ; implicit-def: $vgpr17
	s_and_saveexec_b64 s[44:45], s[28:29]
	s_xor_b64 s[28:29], exec, s[44:45]
; %bb.883:                              ;   in Loop: Header=BB6_870 Depth=3
	v_bfe_u32 v0, v21, 16, 1
	v_add3_u32 v17, v21, v0, s67
                                        ; implicit-def: $vgpr21
; %bb.884:                              ;   in Loop: Header=BB6_870 Depth=3
	s_andn2_saveexec_b64 s[44:45], s[28:29]
; %bb.885:                              ;   in Loop: Header=BB6_870 Depth=3
	v_or_b32_e32 v0, 0x10000, v21
	v_cmp_eq_u32_sdwa s[28:29], v21, v2 src0_sel:WORD_0 src1_sel:DWORD
	v_cndmask_b32_e64 v17, v0, v21, s[28:29]
; %bb.886:                              ;   in Loop: Header=BB6_870 Depth=3
	s_or_b64 exec, exec, s[44:45]
	v_lshlrev_b32_e32 v0, 16, v18
	v_lshlrev_b32_e32 v21, 16, v22
	v_max_f32_e32 v21, v21, v21
	v_max_f32_e32 v0, v0, v0
	v_min_f32_e32 v26, v0, v21
	v_max_f32_e32 v0, v0, v21
	v_cndmask_b32_e32 v26, v0, v26, vcc
	v_and_b32_e32 v0, 0x7f800000, v26
	v_cmp_ne_u32_e64 s[28:29], s66, v0
                                        ; implicit-def: $vgpr21
	s_and_saveexec_b64 s[44:45], s[28:29]
	s_xor_b64 s[28:29], exec, s[44:45]
; %bb.887:                              ;   in Loop: Header=BB6_870 Depth=3
	v_bfe_u32 v0, v26, 16, 1
	v_add3_u32 v21, v26, v0, s67
                                        ; implicit-def: $vgpr26
; %bb.888:                              ;   in Loop: Header=BB6_870 Depth=3
	s_andn2_saveexec_b64 s[44:45], s[28:29]
; %bb.889:                              ;   in Loop: Header=BB6_870 Depth=3
	v_or_b32_e32 v0, 0x10000, v26
	v_cmp_eq_u32_sdwa s[28:29], v26, v2 src0_sel:WORD_0 src1_sel:DWORD
	v_cndmask_b32_e64 v21, v0, v26, s[28:29]
; %bb.890:                              ;   in Loop: Header=BB6_870 Depth=3
	s_or_b64 exec, exec, s[44:45]
	v_and_b32_e32 v0, 0xffff0000, v18
	v_and_b32_e32 v18, 0xffff0000, v22
	v_max_f32_e32 v18, v18, v18
	v_max_f32_e32 v0, v0, v0
	v_min_f32_e32 v22, v0, v18
	v_max_f32_e32 v0, v0, v18
	v_cndmask_b32_e32 v22, v0, v22, vcc
	v_and_b32_e32 v0, 0x7f800000, v22
	v_cmp_ne_u32_e64 s[28:29], s66, v0
                                        ; implicit-def: $vgpr18
	s_and_saveexec_b64 s[44:45], s[28:29]
	s_xor_b64 s[28:29], exec, s[44:45]
; %bb.891:                              ;   in Loop: Header=BB6_870 Depth=3
	v_bfe_u32 v0, v22, 16, 1
	v_add3_u32 v18, v22, v0, s67
                                        ; implicit-def: $vgpr22
; %bb.892:                              ;   in Loop: Header=BB6_870 Depth=3
	s_andn2_saveexec_b64 s[44:45], s[28:29]
; %bb.893:                              ;   in Loop: Header=BB6_870 Depth=3
	v_or_b32_e32 v0, 0x10000, v22
	v_cmp_eq_u32_sdwa s[28:29], v22, v2 src0_sel:WORD_0 src1_sel:DWORD
	v_cndmask_b32_e64 v18, v0, v22, s[28:29]
; %bb.894:                              ;   in Loop: Header=BB6_870 Depth=3
	s_or_b64 exec, exec, s[44:45]
	v_lshlrev_b32_e32 v0, 16, v19
	v_lshlrev_b32_e32 v22, 16, v23
	v_max_f32_e32 v22, v22, v22
	v_max_f32_e32 v0, v0, v0
	v_min_f32_e32 v26, v0, v22
	v_max_f32_e32 v0, v0, v22
	v_cndmask_b32_e32 v26, v0, v26, vcc
	v_and_b32_e32 v0, 0x7f800000, v26
	v_cmp_ne_u32_e64 s[28:29], s66, v0
                                        ; implicit-def: $vgpr22
	s_and_saveexec_b64 s[44:45], s[28:29]
	s_xor_b64 s[28:29], exec, s[44:45]
; %bb.895:                              ;   in Loop: Header=BB6_870 Depth=3
	v_bfe_u32 v0, v26, 16, 1
	v_add3_u32 v22, v26, v0, s67
                                        ; implicit-def: $vgpr26
; %bb.896:                              ;   in Loop: Header=BB6_870 Depth=3
	s_andn2_saveexec_b64 s[44:45], s[28:29]
; %bb.897:                              ;   in Loop: Header=BB6_870 Depth=3
	v_or_b32_e32 v0, 0x10000, v26
	v_cmp_eq_u32_sdwa s[28:29], v26, v2 src0_sel:WORD_0 src1_sel:DWORD
	v_cndmask_b32_e64 v22, v0, v26, s[28:29]
; %bb.898:                              ;   in Loop: Header=BB6_870 Depth=3
	s_or_b64 exec, exec, s[44:45]
	v_and_b32_e32 v0, 0xffff0000, v19
	v_and_b32_e32 v19, 0xffff0000, v23
	v_max_f32_e32 v19, v19, v19
	v_max_f32_e32 v0, v0, v0
	v_min_f32_e32 v23, v0, v19
	v_max_f32_e32 v0, v0, v19
	v_cndmask_b32_e32 v23, v0, v23, vcc
	v_and_b32_e32 v0, 0x7f800000, v23
	v_cmp_ne_u32_e64 s[28:29], s66, v0
                                        ; implicit-def: $vgpr19
	s_and_saveexec_b64 s[44:45], s[28:29]
	s_xor_b64 s[28:29], exec, s[44:45]
; %bb.899:                              ;   in Loop: Header=BB6_870 Depth=3
	v_bfe_u32 v0, v23, 16, 1
	v_add3_u32 v19, v23, v0, s67
                                        ; implicit-def: $vgpr23
; %bb.900:                              ;   in Loop: Header=BB6_870 Depth=3
	s_andn2_saveexec_b64 s[44:45], s[28:29]
; %bb.901:                              ;   in Loop: Header=BB6_870 Depth=3
	v_or_b32_e32 v0, 0x10000, v23
	v_cmp_eq_u32_sdwa s[28:29], v23, v2 src0_sel:WORD_0 src1_sel:DWORD
	v_cndmask_b32_e64 v19, v0, v23, s[28:29]
; %bb.902:                              ;   in Loop: Header=BB6_870 Depth=3
	s_or_b64 exec, exec, s[44:45]
	s_waitcnt vmcnt(1)
	v_lshlrev_b32_e32 v0, 16, v8
	s_waitcnt vmcnt(0)
	v_lshlrev_b32_e32 v23, 16, v12
	v_max_f32_e32 v23, v23, v23
	v_max_f32_e32 v0, v0, v0
	v_min_f32_e32 v26, v0, v23
	v_max_f32_e32 v0, v0, v23
	v_cndmask_b32_e32 v26, v0, v26, vcc
	v_and_b32_e32 v0, 0x7f800000, v26
	v_cmp_ne_u32_e64 s[28:29], s66, v0
                                        ; implicit-def: $vgpr23
	s_and_saveexec_b64 s[44:45], s[28:29]
	s_xor_b64 s[28:29], exec, s[44:45]
; %bb.903:                              ;   in Loop: Header=BB6_870 Depth=3
	v_bfe_u32 v0, v26, 16, 1
	v_add3_u32 v23, v26, v0, s67
                                        ; implicit-def: $vgpr26
; %bb.904:                              ;   in Loop: Header=BB6_870 Depth=3
	s_andn2_saveexec_b64 s[44:45], s[28:29]
; %bb.905:                              ;   in Loop: Header=BB6_870 Depth=3
	v_or_b32_e32 v0, 0x10000, v26
	v_cmp_eq_u32_sdwa s[28:29], v26, v2 src0_sel:WORD_0 src1_sel:DWORD
	v_cndmask_b32_e64 v23, v0, v26, s[28:29]
; %bb.906:                              ;   in Loop: Header=BB6_870 Depth=3
	s_or_b64 exec, exec, s[44:45]
	v_and_b32_e32 v0, 0xffff0000, v8
	v_and_b32_e32 v8, 0xffff0000, v12
	v_max_f32_e32 v8, v8, v8
	v_max_f32_e32 v0, v0, v0
	v_min_f32_e32 v12, v0, v8
	v_max_f32_e32 v0, v0, v8
	v_cndmask_b32_e32 v12, v0, v12, vcc
	v_and_b32_e32 v0, 0x7f800000, v12
	v_cmp_ne_u32_e64 s[28:29], s66, v0
                                        ; implicit-def: $vgpr8
	s_and_saveexec_b64 s[44:45], s[28:29]
	s_xor_b64 s[28:29], exec, s[44:45]
; %bb.907:                              ;   in Loop: Header=BB6_870 Depth=3
	v_bfe_u32 v0, v12, 16, 1
	v_add3_u32 v8, v12, v0, s67
                                        ; implicit-def: $vgpr12
; %bb.908:                              ;   in Loop: Header=BB6_870 Depth=3
	s_andn2_saveexec_b64 s[44:45], s[28:29]
; %bb.909:                              ;   in Loop: Header=BB6_870 Depth=3
	v_or_b32_e32 v0, 0x10000, v12
	v_cmp_eq_u32_sdwa s[28:29], v12, v2 src0_sel:WORD_0 src1_sel:DWORD
	v_cndmask_b32_e64 v8, v0, v12, s[28:29]
; %bb.910:                              ;   in Loop: Header=BB6_870 Depth=3
	s_or_b64 exec, exec, s[44:45]
	v_lshlrev_b32_e32 v0, 16, v9
	v_lshlrev_b32_e32 v12, 16, v13
	v_max_f32_e32 v12, v12, v12
	v_max_f32_e32 v0, v0, v0
	v_min_f32_e32 v26, v0, v12
	v_max_f32_e32 v0, v0, v12
	v_cndmask_b32_e32 v26, v0, v26, vcc
	v_and_b32_e32 v0, 0x7f800000, v26
	v_cmp_ne_u32_e64 s[28:29], s66, v0
                                        ; implicit-def: $vgpr12
	s_and_saveexec_b64 s[44:45], s[28:29]
	s_xor_b64 s[28:29], exec, s[44:45]
; %bb.911:                              ;   in Loop: Header=BB6_870 Depth=3
	v_bfe_u32 v0, v26, 16, 1
	v_add3_u32 v12, v26, v0, s67
                                        ; implicit-def: $vgpr26
; %bb.912:                              ;   in Loop: Header=BB6_870 Depth=3
	s_andn2_saveexec_b64 s[44:45], s[28:29]
; %bb.913:                              ;   in Loop: Header=BB6_870 Depth=3
	v_or_b32_e32 v0, 0x10000, v26
	v_cmp_eq_u32_sdwa s[28:29], v26, v2 src0_sel:WORD_0 src1_sel:DWORD
	v_cndmask_b32_e64 v12, v0, v26, s[28:29]
; %bb.914:                              ;   in Loop: Header=BB6_870 Depth=3
	s_or_b64 exec, exec, s[44:45]
	v_and_b32_e32 v0, 0xffff0000, v9
	v_and_b32_e32 v9, 0xffff0000, v13
	v_max_f32_e32 v9, v9, v9
	v_max_f32_e32 v0, v0, v0
	v_min_f32_e32 v13, v0, v9
	v_max_f32_e32 v0, v0, v9
	v_cndmask_b32_e32 v13, v0, v13, vcc
	v_and_b32_e32 v0, 0x7f800000, v13
	v_cmp_ne_u32_e64 s[28:29], s66, v0
                                        ; implicit-def: $vgpr9
	s_and_saveexec_b64 s[44:45], s[28:29]
	s_xor_b64 s[28:29], exec, s[44:45]
; %bb.915:                              ;   in Loop: Header=BB6_870 Depth=3
	v_bfe_u32 v0, v13, 16, 1
	v_add3_u32 v9, v13, v0, s67
                                        ; implicit-def: $vgpr13
; %bb.916:                              ;   in Loop: Header=BB6_870 Depth=3
	s_andn2_saveexec_b64 s[44:45], s[28:29]
; %bb.917:                              ;   in Loop: Header=BB6_870 Depth=3
	v_or_b32_e32 v0, 0x10000, v13
	v_cmp_eq_u32_sdwa s[28:29], v13, v2 src0_sel:WORD_0 src1_sel:DWORD
	v_cndmask_b32_e64 v9, v0, v13, s[28:29]
; %bb.918:                              ;   in Loop: Header=BB6_870 Depth=3
	s_or_b64 exec, exec, s[44:45]
	v_lshlrev_b32_e32 v0, 16, v10
	v_lshlrev_b32_e32 v13, 16, v14
	v_max_f32_e32 v13, v13, v13
	v_max_f32_e32 v0, v0, v0
	v_min_f32_e32 v26, v0, v13
	v_max_f32_e32 v0, v0, v13
	v_cndmask_b32_e32 v26, v0, v26, vcc
	v_and_b32_e32 v0, 0x7f800000, v26
	v_cmp_ne_u32_e64 s[28:29], s66, v0
                                        ; implicit-def: $vgpr13
	s_and_saveexec_b64 s[44:45], s[28:29]
	s_xor_b64 s[28:29], exec, s[44:45]
; %bb.919:                              ;   in Loop: Header=BB6_870 Depth=3
	v_bfe_u32 v0, v26, 16, 1
	v_add3_u32 v13, v26, v0, s67
                                        ; implicit-def: $vgpr26
; %bb.920:                              ;   in Loop: Header=BB6_870 Depth=3
	s_andn2_saveexec_b64 s[44:45], s[28:29]
; %bb.921:                              ;   in Loop: Header=BB6_870 Depth=3
	v_or_b32_e32 v0, 0x10000, v26
	v_cmp_eq_u32_sdwa s[28:29], v26, v2 src0_sel:WORD_0 src1_sel:DWORD
	v_cndmask_b32_e64 v13, v0, v26, s[28:29]
; %bb.922:                              ;   in Loop: Header=BB6_870 Depth=3
	s_or_b64 exec, exec, s[44:45]
	v_and_b32_e32 v0, 0xffff0000, v10
	v_and_b32_e32 v10, 0xffff0000, v14
	v_max_f32_e32 v10, v10, v10
	v_max_f32_e32 v0, v0, v0
	v_min_f32_e32 v14, v0, v10
	v_max_f32_e32 v0, v0, v10
	v_cndmask_b32_e32 v14, v0, v14, vcc
	v_and_b32_e32 v0, 0x7f800000, v14
	v_cmp_ne_u32_e64 s[28:29], s66, v0
                                        ; implicit-def: $vgpr10
	s_and_saveexec_b64 s[44:45], s[28:29]
	s_xor_b64 s[28:29], exec, s[44:45]
; %bb.923:                              ;   in Loop: Header=BB6_870 Depth=3
	v_bfe_u32 v0, v14, 16, 1
	v_add3_u32 v10, v14, v0, s67
                                        ; implicit-def: $vgpr14
; %bb.924:                              ;   in Loop: Header=BB6_870 Depth=3
	s_andn2_saveexec_b64 s[44:45], s[28:29]
; %bb.925:                              ;   in Loop: Header=BB6_870 Depth=3
	v_or_b32_e32 v0, 0x10000, v14
	v_cmp_eq_u32_sdwa s[28:29], v14, v2 src0_sel:WORD_0 src1_sel:DWORD
	v_cndmask_b32_e64 v10, v0, v14, s[28:29]
; %bb.926:                              ;   in Loop: Header=BB6_870 Depth=3
	s_or_b64 exec, exec, s[44:45]
	v_lshlrev_b32_e32 v0, 16, v11
	v_lshlrev_b32_e32 v14, 16, v15
	v_max_f32_e32 v14, v14, v14
	v_max_f32_e32 v0, v0, v0
	v_min_f32_e32 v26, v0, v14
	v_max_f32_e32 v0, v0, v14
	v_cndmask_b32_e32 v26, v0, v26, vcc
	v_and_b32_e32 v0, 0x7f800000, v26
	v_cmp_ne_u32_e64 s[28:29], s66, v0
                                        ; implicit-def: $vgpr14
	s_and_saveexec_b64 s[44:45], s[28:29]
	s_xor_b64 s[28:29], exec, s[44:45]
; %bb.927:                              ;   in Loop: Header=BB6_870 Depth=3
	v_bfe_u32 v0, v26, 16, 1
	v_add3_u32 v14, v26, v0, s67
                                        ; implicit-def: $vgpr26
; %bb.928:                              ;   in Loop: Header=BB6_870 Depth=3
	s_andn2_saveexec_b64 s[44:45], s[28:29]
; %bb.929:                              ;   in Loop: Header=BB6_870 Depth=3
	v_or_b32_e32 v0, 0x10000, v26
	v_cmp_eq_u32_sdwa s[28:29], v26, v2 src0_sel:WORD_0 src1_sel:DWORD
	v_cndmask_b32_e64 v14, v0, v26, s[28:29]
; %bb.930:                              ;   in Loop: Header=BB6_870 Depth=3
	s_or_b64 exec, exec, s[44:45]
	v_and_b32_e32 v0, 0xffff0000, v11
	v_and_b32_e32 v11, 0xffff0000, v15
	v_max_f32_e32 v11, v11, v11
	v_max_f32_e32 v0, v0, v0
	v_min_f32_e32 v15, v0, v11
	v_max_f32_e32 v0, v0, v11
	v_cndmask_b32_e32 v15, v0, v15, vcc
	v_and_b32_e32 v0, 0x7f800000, v15
	v_cmp_ne_u32_e64 s[28:29], s66, v0
                                        ; implicit-def: $vgpr11
	s_and_saveexec_b64 s[44:45], s[28:29]
	s_xor_b64 s[28:29], exec, s[44:45]
; %bb.931:                              ;   in Loop: Header=BB6_870 Depth=3
	v_bfe_u32 v0, v15, 16, 1
	v_add3_u32 v11, v15, v0, s67
                                        ; implicit-def: $vgpr15
; %bb.932:                              ;   in Loop: Header=BB6_870 Depth=3
	s_andn2_saveexec_b64 s[44:45], s[28:29]
	s_cbranch_execz .LBB6_869
; %bb.933:                              ;   in Loop: Header=BB6_870 Depth=3
	v_or_b32_e32 v0, 0x10000, v15
	v_cmp_eq_u32_sdwa s[28:29], v15, v2 src0_sel:WORD_0 src1_sel:DWORD
	v_cndmask_b32_e64 v11, v0, v15, s[28:29]
	s_branch .LBB6_869
.LBB6_934:                              ;   in Loop: Header=BB6_623 Depth=2
	s_or_b64 exec, exec, s[42:43]
.LBB6_935:                              ;   in Loop: Header=BB6_623 Depth=2
	s_or_b64 exec, exec, s[40:41]
	v_lshlrev_b32_e32 v20, 11, v31
	v_cmp_ne_u32_e32 vcc, v55, v20
	s_mov_b64 s[28:29], 0
	v_mov_b32_e32 v12, 0
                                        ; implicit-def: $vgpr13
	s_and_saveexec_b64 s[42:43], vcc
	s_cbranch_execz .LBB6_973
; %bb.936:                              ;   in Loop: Header=BB6_623 Depth=2
	buffer_load_dword v4, off, s[0:3], s33 offset:140 ; 4-byte Folded Reload
	v_lshlrev_b32_e32 v0, 6, v30
	v_sub_u32_e32 v3, v55, v20
	s_waitcnt vmcnt(0)
	v_sub_u32_e32 v0, v4, v0
	v_ashrrev_i32_e32 v4, 31, v0
	v_lshrrev_b32_e32 v4, 26, v4
	v_add_u32_e32 v4, v0, v4
	v_ashrrev_i32_e32 v8, 6, v4
	v_and_b32_e32 v4, 0xffffffc0, v4
	v_sub_u32_e32 v21, v0, v4
	v_ashrrev_i32_e32 v4, 31, v3
	v_lshrrev_b32_e32 v4, 22, v4
	v_add_u32_e32 v4, v3, v4
	v_and_b32_e32 v22, 0xfffffc00, v4
	v_lshlrev_b32_e32 v0, 4, v21
	v_sub_u32_e32 v23, v3, v22
	v_lshl_add_u32 v0, v8, 10, v0
	v_ashrrev_i32_e32 v9, 10, v4
	v_cmp_lt_i32_e32 vcc, 15, v23
	v_sub_u32_e32 v25, v3, v0
	v_addc_co_u32_e64 v3, s[28:29], 0, v9, vcc
	v_sub_u32_e32 v24, v3, v8
	v_cmp_lt_i32_e64 s[28:29], 15, v25
	s_and_saveexec_b64 s[44:45], s[28:29]
	s_cbranch_execz .LBB6_972
; %bb.937:                              ;   in Loop: Header=BB6_623 Depth=2
	v_add_u32_e32 v0, v0, v20
	s_trap 2
	ds_read_b64 v[8:9], v0
	v_ashrrev_i32_e32 v10, 31, v0
	v_add_co_u32_e64 v3, s[28:29], v0, v57
	v_addc_co_u32_e64 v4, s[28:29], v10, v58, s[28:29]
	s_waitcnt lgkmcnt(0)
	v_add_co_u32_e64 v16, s[28:29], v8, v0
	v_addc_co_u32_e64 v17, s[28:29], v9, v10, s[28:29]
	buffer_load_dword v8, off, s[0:3], s33 offset:144 ; 4-byte Folded Reload
	buffer_load_dword v9, off, s[0:3], s33 offset:148 ; 4-byte Folded Reload
	s_and_b32 s58, s48, 1
	s_cmp_eq_u64 s[58:59], 0
	s_mov_b64 s[94:95], 0
	s_waitcnt vmcnt(1)
	v_add_co_u32_e64 v18, s[28:29], v0, v8
	s_waitcnt vmcnt(0)
	v_addc_co_u32_e64 v19, s[28:29], v10, v9, s[28:29]
	s_cselect_b64 s[28:29], -1, 0
	s_branch .LBB6_939
.LBB6_938:                              ;   in Loop: Header=BB6_939 Depth=3
	s_or_b64 exec, exec, s[30:31]
	v_lshrrev_b32_e32 v0, 16, v12
	v_and_or_b32 v9, v9, s68, v0
	v_lshrrev_b32_e32 v0, 16, v28
	v_add_co_u32_e64 v3, s[40:41], v3, v43
	v_and_or_b32 v8, v8, s68, v0
	v_lshrrev_b32_e32 v0, 16, v13
	v_addc_co_u32_e64 v4, s[40:41], 0, v4, s[40:41]
	v_and_or_b32 v10, v10, s68, v0
	v_lshrrev_b32_e32 v0, 16, v14
	v_add_co_u32_e64 v16, s[40:41], v16, v43
	v_and_or_b32 v11, v11, s68, v0
	v_addc_co_u32_e64 v17, s[40:41], 0, v17, s[40:41]
	global_store_dwordx4 v[18:19], v[8:11], off glc slc
	v_add_co_u32_e64 v18, s[40:41], v18, v43
	v_addc_co_u32_e64 v19, s[40:41], 0, v19, s[40:41]
	v_sub_u32_e32 v25, v25, v43
	v_cmp_gt_i32_e64 s[40:41], 16, v25
	s_or_b64 s[94:95], s[40:41], s[94:95]
	v_sub_u32_e32 v24, v24, v51
	s_andn2_b64 exec, exec, s[94:95]
	s_cbranch_execz .LBB6_971
.LBB6_939:                              ;   Parent Loop BB6_47 Depth=1
                                        ;     Parent Loop BB6_623 Depth=2
                                        ; =>    This Inner Loop Header: Depth=3
	global_load_dwordx4 v[8:11], v[16:17], off glc slc
	global_load_dwordx4 v[12:15], v[3:4], off glc slc
                                        ; implicit-def: $vgpr28
	s_waitcnt vmcnt(1)
	v_lshlrev_b32_e32 v0, 16, v8
	s_waitcnt vmcnt(0)
	v_lshlrev_b32_e32 v26, 16, v12
	v_max_f32_e32 v0, v0, v0
	v_max_f32_e32 v26, v26, v26
	v_min_f32_e32 v27, v26, v0
	v_max_f32_e32 v0, v26, v0
	v_cndmask_b32_e64 v26, v0, v27, s[28:29]
	v_and_b32_e32 v0, 0x7f800000, v26
	v_cmp_ne_u32_e64 s[40:41], s66, v0
	s_and_saveexec_b64 s[30:31], s[40:41]
	s_xor_b64 s[40:41], exec, s[30:31]
; %bb.940:                              ;   in Loop: Header=BB6_939 Depth=3
	v_bfe_u32 v0, v26, 16, 1
	v_add3_u32 v28, v26, v0, s67
                                        ; implicit-def: $vgpr26
; %bb.941:                              ;   in Loop: Header=BB6_939 Depth=3
	s_andn2_saveexec_b64 s[30:31], s[40:41]
; %bb.942:                              ;   in Loop: Header=BB6_939 Depth=3
	v_or_b32_e32 v0, 0x10000, v26
	v_cmp_eq_u32_sdwa s[40:41], v26, v2 src0_sel:WORD_0 src1_sel:DWORD
	v_cndmask_b32_e64 v28, v0, v26, s[40:41]
; %bb.943:                              ;   in Loop: Header=BB6_939 Depth=3
	s_or_b64 exec, exec, s[30:31]
	v_and_b32_e32 v0, 0xffff0000, v8
	v_and_b32_e32 v8, 0xffff0000, v12
	v_max_f32_e32 v0, v0, v0
	v_max_f32_e32 v8, v8, v8
	v_min_f32_e32 v12, v8, v0
	v_max_f32_e32 v0, v8, v0
	v_cndmask_b32_e64 v12, v0, v12, s[28:29]
	v_and_b32_e32 v0, 0x7f800000, v12
	v_cmp_ne_u32_e64 s[40:41], s66, v0
                                        ; implicit-def: $vgpr8
	s_and_saveexec_b64 s[30:31], s[40:41]
	s_xor_b64 s[40:41], exec, s[30:31]
; %bb.944:                              ;   in Loop: Header=BB6_939 Depth=3
	v_bfe_u32 v0, v12, 16, 1
	v_add3_u32 v8, v12, v0, s67
                                        ; implicit-def: $vgpr12
; %bb.945:                              ;   in Loop: Header=BB6_939 Depth=3
	s_andn2_saveexec_b64 s[30:31], s[40:41]
; %bb.946:                              ;   in Loop: Header=BB6_939 Depth=3
	v_or_b32_e32 v0, 0x10000, v12
	v_cmp_eq_u32_sdwa s[40:41], v12, v2 src0_sel:WORD_0 src1_sel:DWORD
	v_cndmask_b32_e64 v8, v0, v12, s[40:41]
; %bb.947:                              ;   in Loop: Header=BB6_939 Depth=3
	s_or_b64 exec, exec, s[30:31]
	v_lshlrev_b32_e32 v0, 16, v9
	v_lshlrev_b32_e32 v12, 16, v13
	v_max_f32_e32 v0, v0, v0
	v_max_f32_e32 v12, v12, v12
	v_min_f32_e32 v26, v12, v0
	v_max_f32_e32 v0, v12, v0
	v_cndmask_b32_e64 v26, v0, v26, s[28:29]
	v_and_b32_e32 v0, 0x7f800000, v26
	v_cmp_ne_u32_e64 s[40:41], s66, v0
                                        ; implicit-def: $vgpr12
	s_and_saveexec_b64 s[30:31], s[40:41]
	s_xor_b64 s[40:41], exec, s[30:31]
; %bb.948:                              ;   in Loop: Header=BB6_939 Depth=3
	v_bfe_u32 v0, v26, 16, 1
	v_add3_u32 v12, v26, v0, s67
                                        ; implicit-def: $vgpr26
; %bb.949:                              ;   in Loop: Header=BB6_939 Depth=3
	s_andn2_saveexec_b64 s[30:31], s[40:41]
; %bb.950:                              ;   in Loop: Header=BB6_939 Depth=3
	v_or_b32_e32 v0, 0x10000, v26
	v_cmp_eq_u32_sdwa s[40:41], v26, v2 src0_sel:WORD_0 src1_sel:DWORD
	v_cndmask_b32_e64 v12, v0, v26, s[40:41]
; %bb.951:                              ;   in Loop: Header=BB6_939 Depth=3
	s_or_b64 exec, exec, s[30:31]
	v_and_b32_e32 v0, 0xffff0000, v13
	v_and_b32_e32 v9, 0xffff0000, v9
	v_max_f32_e32 v9, v9, v9
	v_max_f32_e32 v0, v0, v0
	v_min_f32_e32 v13, v0, v9
	v_max_f32_e32 v0, v0, v9
	v_cndmask_b32_e64 v13, v0, v13, s[28:29]
	v_and_b32_e32 v0, 0x7f800000, v13
	v_cmp_ne_u32_e64 s[40:41], s66, v0
                                        ; implicit-def: $vgpr9
	s_and_saveexec_b64 s[30:31], s[40:41]
	s_xor_b64 s[40:41], exec, s[30:31]
; %bb.952:                              ;   in Loop: Header=BB6_939 Depth=3
	v_bfe_u32 v0, v13, 16, 1
	v_add3_u32 v9, v13, v0, s67
                                        ; implicit-def: $vgpr13
; %bb.953:                              ;   in Loop: Header=BB6_939 Depth=3
	s_andn2_saveexec_b64 s[30:31], s[40:41]
; %bb.954:                              ;   in Loop: Header=BB6_939 Depth=3
	v_or_b32_e32 v0, 0x10000, v13
	v_cmp_eq_u32_sdwa s[40:41], v13, v2 src0_sel:WORD_0 src1_sel:DWORD
	v_cndmask_b32_e64 v9, v0, v13, s[40:41]
; %bb.955:                              ;   in Loop: Header=BB6_939 Depth=3
	s_or_b64 exec, exec, s[30:31]
	v_lshlrev_b32_e32 v0, 16, v10
	v_lshlrev_b32_e32 v13, 16, v14
	v_max_f32_e32 v0, v0, v0
	v_max_f32_e32 v13, v13, v13
	v_min_f32_e32 v26, v13, v0
	v_max_f32_e32 v0, v13, v0
	v_cndmask_b32_e64 v26, v0, v26, s[28:29]
	v_and_b32_e32 v0, 0x7f800000, v26
	v_cmp_ne_u32_e64 s[40:41], s66, v0
                                        ; implicit-def: $vgpr13
	s_and_saveexec_b64 s[30:31], s[40:41]
	s_xor_b64 s[40:41], exec, s[30:31]
; %bb.956:                              ;   in Loop: Header=BB6_939 Depth=3
	v_bfe_u32 v0, v26, 16, 1
	v_add3_u32 v13, v26, v0, s67
                                        ; implicit-def: $vgpr26
; %bb.957:                              ;   in Loop: Header=BB6_939 Depth=3
	s_andn2_saveexec_b64 s[30:31], s[40:41]
; %bb.958:                              ;   in Loop: Header=BB6_939 Depth=3
	v_or_b32_e32 v0, 0x10000, v26
	v_cmp_eq_u32_sdwa s[40:41], v26, v2 src0_sel:WORD_0 src1_sel:DWORD
	v_cndmask_b32_e64 v13, v0, v26, s[40:41]
; %bb.959:                              ;   in Loop: Header=BB6_939 Depth=3
	s_or_b64 exec, exec, s[30:31]
	v_and_b32_e32 v0, 0xffff0000, v14
	v_and_b32_e32 v10, 0xffff0000, v10
	v_max_f32_e32 v10, v10, v10
	v_max_f32_e32 v0, v0, v0
	v_min_f32_e32 v14, v0, v10
	v_max_f32_e32 v0, v0, v10
	v_cndmask_b32_e64 v14, v0, v14, s[28:29]
	v_and_b32_e32 v0, 0x7f800000, v14
	v_cmp_ne_u32_e64 s[40:41], s66, v0
                                        ; implicit-def: $vgpr10
	s_and_saveexec_b64 s[30:31], s[40:41]
	s_xor_b64 s[40:41], exec, s[30:31]
; %bb.960:                              ;   in Loop: Header=BB6_939 Depth=3
	v_bfe_u32 v0, v14, 16, 1
	v_add3_u32 v10, v14, v0, s67
                                        ; implicit-def: $vgpr14
; %bb.961:                              ;   in Loop: Header=BB6_939 Depth=3
	s_andn2_saveexec_b64 s[30:31], s[40:41]
; %bb.962:                              ;   in Loop: Header=BB6_939 Depth=3
	v_or_b32_e32 v0, 0x10000, v14
	v_cmp_eq_u32_sdwa s[40:41], v14, v2 src0_sel:WORD_0 src1_sel:DWORD
	v_cndmask_b32_e64 v10, v0, v14, s[40:41]
; %bb.963:                              ;   in Loop: Header=BB6_939 Depth=3
	s_or_b64 exec, exec, s[30:31]
	v_lshlrev_b32_e32 v0, 16, v11
	v_lshlrev_b32_e32 v14, 16, v15
	v_max_f32_e32 v0, v0, v0
	v_max_f32_e32 v14, v14, v14
	v_min_f32_e32 v26, v14, v0
	v_max_f32_e32 v0, v14, v0
	v_cndmask_b32_e64 v26, v0, v26, s[28:29]
	v_and_b32_e32 v0, 0x7f800000, v26
	v_cmp_ne_u32_e64 s[40:41], s66, v0
                                        ; implicit-def: $vgpr14
	s_and_saveexec_b64 s[30:31], s[40:41]
	s_xor_b64 s[40:41], exec, s[30:31]
; %bb.964:                              ;   in Loop: Header=BB6_939 Depth=3
	v_bfe_u32 v0, v26, 16, 1
	v_add3_u32 v14, v26, v0, s67
                                        ; implicit-def: $vgpr26
; %bb.965:                              ;   in Loop: Header=BB6_939 Depth=3
	s_andn2_saveexec_b64 s[30:31], s[40:41]
; %bb.966:                              ;   in Loop: Header=BB6_939 Depth=3
	v_or_b32_e32 v0, 0x10000, v26
	v_cmp_eq_u32_sdwa s[40:41], v26, v2 src0_sel:WORD_0 src1_sel:DWORD
	v_cndmask_b32_e64 v14, v0, v26, s[40:41]
; %bb.967:                              ;   in Loop: Header=BB6_939 Depth=3
	s_or_b64 exec, exec, s[30:31]
	v_and_b32_e32 v0, 0xffff0000, v15
	v_and_b32_e32 v11, 0xffff0000, v11
	v_max_f32_e32 v11, v11, v11
	v_max_f32_e32 v0, v0, v0
	v_min_f32_e32 v15, v0, v11
	v_max_f32_e32 v0, v0, v11
	v_cndmask_b32_e64 v15, v0, v15, s[28:29]
	v_and_b32_e32 v0, 0x7f800000, v15
	v_cmp_ne_u32_e64 s[40:41], s66, v0
                                        ; implicit-def: $vgpr11
	s_and_saveexec_b64 s[30:31], s[40:41]
	s_xor_b64 s[40:41], exec, s[30:31]
; %bb.968:                              ;   in Loop: Header=BB6_939 Depth=3
	v_bfe_u32 v0, v15, 16, 1
	v_add3_u32 v11, v15, v0, s67
                                        ; implicit-def: $vgpr15
; %bb.969:                              ;   in Loop: Header=BB6_939 Depth=3
	s_andn2_saveexec_b64 s[30:31], s[40:41]
	s_cbranch_execz .LBB6_938
; %bb.970:                              ;   in Loop: Header=BB6_939 Depth=3
	v_or_b32_e32 v0, 0x10000, v15
	v_cmp_eq_u32_sdwa s[40:41], v15, v2 src0_sel:WORD_0 src1_sel:DWORD
	v_cndmask_b32_e64 v11, v0, v15, s[40:41]
	s_branch .LBB6_938
.LBB6_971:                              ;   in Loop: Header=BB6_623 Depth=2
	s_or_b64 exec, exec, s[94:95]
.LBB6_972:                              ;   in Loop: Header=BB6_623 Depth=2
	s_or_b64 exec, exec, s[44:45]
	v_and_b32_e32 v0, 14, v55
	v_sub_u32_e32 v3, v23, v0
	v_cndmask_b32_e32 v3, 0, v3, vcc
	v_cndmask_b32_e32 v55, v23, v0, vcc
	v_cmp_lt_i32_e32 vcc, 0, v24
	v_cndmask_b32_e32 v0, 0, v51, vcc
	v_sub_u32_e32 v0, v0, v24
	v_cmp_ne_u32_e32 vcc, 0, v55
	v_add3_u32 v12, v22, v20, v3
	v_lshl_add_u32 v13, v0, 6, v21
	s_and_b64 s[28:29], vcc, exec
.LBB6_973:                              ;   in Loop: Header=BB6_623 Depth=2
	s_or_b64 exec, exec, s[42:43]
	s_and_saveexec_b64 s[40:41], s[28:29]
	s_cbranch_execz .LBB6_1018
.LBB6_974:                              ;   in Loop: Header=BB6_623 Depth=2
	v_ashrrev_i32_e32 v0, 31, v13
	v_ashrrev_i32_e32 v3, 31, v55
	v_lshrrev_b32_e32 v0, 26, v0
	v_lshrrev_b32_e32 v3, 22, v3
	v_add_u32_e32 v0, v13, v0
	v_add_u32_e32 v3, v55, v3
	v_ashrrev_i32_e32 v14, 6, v0
	v_ashrrev_i32_e32 v16, 10, v3
	v_sub_u32_e32 v15, v16, v14
	v_cmp_lt_i32_e32 vcc, 0, v15
	s_and_saveexec_b64 s[42:43], vcc
	s_cbranch_execz .LBB6_1010
; %bb.975:                              ;   in Loop: Header=BB6_623 Depth=2
	v_and_b32_e32 v0, 0x7fffffc0, v0
	v_sub_u32_e32 v0, v13, v0
	v_lshlrev_b32_e32 v0, 1, v0
	v_lshlrev_b32_e32 v3, 10, v14
	v_add3_u32 v0, v0, v12, v3
	s_trap 2
	ds_read_b64 v[8:9], v0
	buffer_load_dword v17, off, s[0:3], s33 offset:144 ; 4-byte Folded Reload
	buffer_load_dword v18, off, s[0:3], s33 offset:148 ; 4-byte Folded Reload
	v_ashrrev_i32_e32 v11, 31, v0
	v_add_co_u32_e32 v3, vcc, v0, v57
	v_addc_co_u32_e32 v4, vcc, v11, v58, vcc
	s_waitcnt lgkmcnt(0)
	v_add_co_u32_e32 v8, vcc, v8, v0
	v_addc_co_u32_e32 v9, vcc, v9, v11, vcc
	s_and_b32 s58, s48, 1
	s_cmp_eq_u64 s[58:59], 0
	s_mov_b64 s[44:45], 0
	s_cselect_b64 s[28:29], -1, 0
	s_waitcnt vmcnt(0)
	v_add_co_u32_e32 v10, vcc, 0x380, v17
	v_addc_co_u32_e32 v17, vcc, 0, v18, vcc
	v_add_co_u32_e32 v10, vcc, v10, v0
	v_addc_co_u32_e32 v11, vcc, v17, v11, vcc
	s_branch .LBB6_977
.LBB6_976:                              ;   in Loop: Header=BB6_977 Depth=3
	s_or_b64 exec, exec, s[94:95]
	v_add_co_u32_e32 v26, vcc, 0xfffffc80, v10
	v_addc_co_u32_e32 v27, vcc, -1, v11, vcc
	flat_store_short_d16_hi v[26:27], v17 glc slc
	v_add_co_u32_e32 v26, vcc, 0xfffffd00, v10
	v_addc_co_u32_e32 v27, vcc, -1, v11, vcc
	v_add_co_u32_e32 v19, vcc, 0xfffffd80, v10
	flat_store_short_d16_hi v[26:27], v20 glc slc
	v_addc_co_u32_e32 v20, vcc, -1, v11, vcc
	flat_store_short_d16_hi v[19:20], v22 glc slc
	v_add_co_u32_e32 v19, vcc, 0xfffffe00, v10
	v_addc_co_u32_e32 v20, vcc, -1, v11, vcc
	flat_store_short_d16_hi v[19:20], v25 glc slc
	v_add_co_u32_e32 v19, vcc, 0xfffffe80, v10
	;; [unrolled: 3-line block ×4, first 2 shown]
	v_addc_co_u32_e32 v20, vcc, -1, v11, vcc
	v_add_co_u32_e32 v3, vcc, v3, v43
	v_addc_co_u32_e32 v4, vcc, 0, v4, vcc
	v_add_co_u32_e32 v8, vcc, v8, v43
	v_addc_co_u32_e32 v9, vcc, 0, v9, vcc
	v_sub_u32_e32 v15, v15, v51
	v_cmp_gt_i32_e32 vcc, 1, v15
	flat_store_short_d16_hi v[19:20], v21 glc slc
	flat_store_short_d16_hi v[10:11], v18 glc slc
	s_or_b64 s[44:45], vcc, s[44:45]
	v_add_co_u32_e32 v10, vcc, v10, v43
	v_addc_co_u32_e32 v11, vcc, 0, v11, vcc
	s_andn2_b64 exec, exec, s[44:45]
	s_cbranch_execz .LBB6_1009
.LBB6_977:                              ;   Parent Loop BB6_47 Depth=1
                                        ;     Parent Loop BB6_623 Depth=2
                                        ; =>    This Inner Loop Header: Depth=3
	flat_load_ushort v0, v[8:9] glc slc
	flat_load_ushort v22, v[3:4] offset:256 glc slc
	flat_load_ushort v25, v[3:4] offset:384 glc slc
	;; [unrolled: 1-line block ×5, first 2 shown]
	flat_load_ushort v17, v[3:4] glc slc
	flat_load_ushort v18, v[3:4] offset:896 glc slc
	flat_load_ushort v20, v[3:4] offset:128 glc slc
	;; [unrolled: 1-line block ×9, first 2 shown]
	s_waitcnt vmcnt(0) lgkmcnt(0)
	v_lshlrev_b32_e32 v0, 16, v0
	v_max_f32_e32 v0, v0, v0
	v_lshlrev_b32_e32 v17, 16, v17
	v_max_f32_e32 v17, v17, v17
	v_min_f32_e32 v26, v17, v0
	v_max_f32_e32 v0, v17, v0
	v_cndmask_b32_e64 v26, v0, v26, s[28:29]
	v_and_b32_e32 v0, 0x7f800000, v26
	v_cmp_ne_u32_e32 vcc, s66, v0
                                        ; implicit-def: $vgpr17
	s_and_saveexec_b64 s[94:95], vcc
	s_xor_b64 s[94:95], exec, s[94:95]
; %bb.978:                              ;   in Loop: Header=BB6_977 Depth=3
	v_bfe_u32 v0, v26, 16, 1
	v_add3_u32 v17, v26, v0, s67
                                        ; implicit-def: $vgpr26
; %bb.979:                              ;   in Loop: Header=BB6_977 Depth=3
	s_andn2_saveexec_b64 s[94:95], s[94:95]
; %bb.980:                              ;   in Loop: Header=BB6_977 Depth=3
	v_or_b32_e32 v0, 0x10000, v26
	v_cmp_eq_u32_sdwa vcc, v26, v2 src0_sel:WORD_0 src1_sel:DWORD
	v_cndmask_b32_e32 v17, v0, v26, vcc
; %bb.981:                              ;   in Loop: Header=BB6_977 Depth=3
	s_or_b64 exec, exec, s[94:95]
	v_lshlrev_b32_e32 v0, 16, v20
	v_lshlrev_b32_e32 v20, 16, v53
	v_max_f32_e32 v20, v20, v20
	v_max_f32_e32 v0, v0, v0
	v_min_f32_e32 v26, v0, v20
	v_max_f32_e32 v0, v0, v20
	v_cndmask_b32_e64 v26, v0, v26, s[28:29]
	v_and_b32_e32 v0, 0x7f800000, v26
	v_cmp_ne_u32_e32 vcc, s66, v0
                                        ; implicit-def: $vgpr20
	s_and_saveexec_b64 s[94:95], vcc
	s_xor_b64 s[94:95], exec, s[94:95]
; %bb.982:                              ;   in Loop: Header=BB6_977 Depth=3
	v_bfe_u32 v0, v26, 16, 1
	v_add3_u32 v20, v26, v0, s67
                                        ; implicit-def: $vgpr26
; %bb.983:                              ;   in Loop: Header=BB6_977 Depth=3
	s_andn2_saveexec_b64 s[94:95], s[94:95]
; %bb.984:                              ;   in Loop: Header=BB6_977 Depth=3
	v_or_b32_e32 v0, 0x10000, v26
	v_cmp_eq_u32_sdwa vcc, v26, v2 src0_sel:WORD_0 src1_sel:DWORD
	v_cndmask_b32_e32 v20, v0, v26, vcc
; %bb.985:                              ;   in Loop: Header=BB6_977 Depth=3
	s_or_b64 exec, exec, s[94:95]
	v_lshlrev_b32_e32 v0, 16, v22
	v_lshlrev_b32_e32 v22, 16, v52
	v_max_f32_e32 v22, v22, v22
	v_max_f32_e32 v0, v0, v0
	v_min_f32_e32 v26, v0, v22
	v_max_f32_e32 v0, v0, v22
	v_cndmask_b32_e64 v26, v0, v26, s[28:29]
	v_and_b32_e32 v0, 0x7f800000, v26
	v_cmp_ne_u32_e32 vcc, s66, v0
                                        ; implicit-def: $vgpr22
	s_and_saveexec_b64 s[94:95], vcc
	s_xor_b64 s[94:95], exec, s[94:95]
; %bb.986:                              ;   in Loop: Header=BB6_977 Depth=3
	v_bfe_u32 v0, v26, 16, 1
	v_add3_u32 v22, v26, v0, s67
                                        ; implicit-def: $vgpr26
; %bb.987:                              ;   in Loop: Header=BB6_977 Depth=3
	s_andn2_saveexec_b64 s[94:95], s[94:95]
; %bb.988:                              ;   in Loop: Header=BB6_977 Depth=3
	v_or_b32_e32 v0, 0x10000, v26
	v_cmp_eq_u32_sdwa vcc, v26, v2 src0_sel:WORD_0 src1_sel:DWORD
	v_cndmask_b32_e32 v22, v0, v26, vcc
; %bb.989:                              ;   in Loop: Header=BB6_977 Depth=3
	s_or_b64 exec, exec, s[94:95]
	v_lshlrev_b32_e32 v0, 16, v25
	v_lshlrev_b32_e32 v25, 16, v31
	v_max_f32_e32 v25, v25, v25
	v_max_f32_e32 v0, v0, v0
	v_min_f32_e32 v26, v0, v25
	v_max_f32_e32 v0, v0, v25
	v_cndmask_b32_e64 v26, v0, v26, s[28:29]
	v_and_b32_e32 v0, 0x7f800000, v26
	v_cmp_ne_u32_e32 vcc, s66, v0
                                        ; implicit-def: $vgpr25
	s_and_saveexec_b64 s[94:95], vcc
	s_xor_b64 s[94:95], exec, s[94:95]
; %bb.990:                              ;   in Loop: Header=BB6_977 Depth=3
	v_bfe_u32 v0, v26, 16, 1
	v_add3_u32 v25, v26, v0, s67
                                        ; implicit-def: $vgpr26
; %bb.991:                              ;   in Loop: Header=BB6_977 Depth=3
	s_andn2_saveexec_b64 s[94:95], s[94:95]
; %bb.992:                              ;   in Loop: Header=BB6_977 Depth=3
	v_or_b32_e32 v0, 0x10000, v26
	v_cmp_eq_u32_sdwa vcc, v26, v2 src0_sel:WORD_0 src1_sel:DWORD
	v_cndmask_b32_e32 v25, v0, v26, vcc
; %bb.993:                              ;   in Loop: Header=BB6_977 Depth=3
	s_or_b64 exec, exec, s[94:95]
	v_lshlrev_b32_e32 v0, 16, v29
	v_lshlrev_b32_e32 v26, 16, v30
	v_max_f32_e32 v26, v26, v26
	v_max_f32_e32 v0, v0, v0
	v_min_f32_e32 v27, v0, v26
	v_max_f32_e32 v0, v0, v26
	v_cndmask_b32_e64 v26, v0, v27, s[28:29]
	v_and_b32_e32 v0, 0x7f800000, v26
	v_cmp_ne_u32_e32 vcc, s66, v0
                                        ; implicit-def: $vgpr29
	s_and_saveexec_b64 s[94:95], vcc
	s_xor_b64 s[94:95], exec, s[94:95]
; %bb.994:                              ;   in Loop: Header=BB6_977 Depth=3
	v_bfe_u32 v0, v26, 16, 1
	v_add3_u32 v29, v26, v0, s67
                                        ; implicit-def: $vgpr26
; %bb.995:                              ;   in Loop: Header=BB6_977 Depth=3
	s_andn2_saveexec_b64 s[94:95], s[94:95]
; %bb.996:                              ;   in Loop: Header=BB6_977 Depth=3
	v_or_b32_e32 v0, 0x10000, v26
	v_cmp_eq_u32_sdwa vcc, v26, v2 src0_sel:WORD_0 src1_sel:DWORD
	v_cndmask_b32_e32 v29, v0, v26, vcc
; %bb.997:                              ;   in Loop: Header=BB6_977 Depth=3
	s_or_b64 exec, exec, s[94:95]
	v_lshlrev_b32_e32 v0, 16, v24
	v_lshlrev_b32_e32 v24, 16, v28
	v_max_f32_e32 v24, v24, v24
	v_max_f32_e32 v0, v0, v0
	v_min_f32_e32 v26, v0, v24
	v_max_f32_e32 v0, v0, v24
	v_cndmask_b32_e64 v26, v0, v26, s[28:29]
	v_and_b32_e32 v0, 0x7f800000, v26
	v_cmp_ne_u32_e32 vcc, s66, v0
                                        ; implicit-def: $vgpr24
	s_and_saveexec_b64 s[94:95], vcc
	s_xor_b64 s[94:95], exec, s[94:95]
; %bb.998:                              ;   in Loop: Header=BB6_977 Depth=3
	v_bfe_u32 v0, v26, 16, 1
	v_add3_u32 v24, v26, v0, s67
                                        ; implicit-def: $vgpr26
; %bb.999:                              ;   in Loop: Header=BB6_977 Depth=3
	s_andn2_saveexec_b64 s[94:95], s[94:95]
; %bb.1000:                             ;   in Loop: Header=BB6_977 Depth=3
	v_or_b32_e32 v0, 0x10000, v26
	v_cmp_eq_u32_sdwa vcc, v26, v2 src0_sel:WORD_0 src1_sel:DWORD
	v_cndmask_b32_e32 v24, v0, v26, vcc
; %bb.1001:                             ;   in Loop: Header=BB6_977 Depth=3
	s_or_b64 exec, exec, s[94:95]
	v_lshlrev_b32_e32 v0, 16, v21
	v_lshlrev_b32_e32 v21, 16, v23
	v_max_f32_e32 v21, v21, v21
	v_max_f32_e32 v0, v0, v0
	v_min_f32_e32 v23, v0, v21
	v_max_f32_e32 v0, v0, v21
	v_cndmask_b32_e64 v23, v0, v23, s[28:29]
	v_and_b32_e32 v0, 0x7f800000, v23
	v_cmp_ne_u32_e32 vcc, s66, v0
                                        ; implicit-def: $vgpr21
	s_and_saveexec_b64 s[94:95], vcc
	s_xor_b64 s[94:95], exec, s[94:95]
; %bb.1002:                             ;   in Loop: Header=BB6_977 Depth=3
	v_bfe_u32 v0, v23, 16, 1
	v_add3_u32 v21, v23, v0, s67
                                        ; implicit-def: $vgpr23
; %bb.1003:                             ;   in Loop: Header=BB6_977 Depth=3
	s_andn2_saveexec_b64 s[94:95], s[94:95]
; %bb.1004:                             ;   in Loop: Header=BB6_977 Depth=3
	v_or_b32_e32 v0, 0x10000, v23
	v_cmp_eq_u32_sdwa vcc, v23, v2 src0_sel:WORD_0 src1_sel:DWORD
	v_cndmask_b32_e32 v21, v0, v23, vcc
; %bb.1005:                             ;   in Loop: Header=BB6_977 Depth=3
	s_or_b64 exec, exec, s[94:95]
	v_lshlrev_b32_e32 v0, 16, v18
	v_lshlrev_b32_e32 v18, 16, v19
	v_max_f32_e32 v18, v18, v18
	v_max_f32_e32 v0, v0, v0
	v_min_f32_e32 v19, v0, v18
	v_max_f32_e32 v0, v0, v18
	v_cndmask_b32_e64 v19, v0, v19, s[28:29]
	v_and_b32_e32 v0, 0x7f800000, v19
	v_cmp_ne_u32_e32 vcc, s66, v0
                                        ; implicit-def: $vgpr18
	s_and_saveexec_b64 s[94:95], vcc
	s_xor_b64 s[94:95], exec, s[94:95]
; %bb.1006:                             ;   in Loop: Header=BB6_977 Depth=3
	v_bfe_u32 v0, v19, 16, 1
	v_add3_u32 v18, v19, v0, s67
                                        ; implicit-def: $vgpr19
; %bb.1007:                             ;   in Loop: Header=BB6_977 Depth=3
	s_andn2_saveexec_b64 s[94:95], s[94:95]
	s_cbranch_execz .LBB6_976
; %bb.1008:                             ;   in Loop: Header=BB6_977 Depth=3
	v_or_b32_e32 v0, 0x10000, v19
	v_cmp_eq_u32_sdwa vcc, v19, v2 src0_sel:WORD_0 src1_sel:DWORD
	v_cndmask_b32_e32 v18, v0, v19, vcc
	s_branch .LBB6_976
.LBB6_1009:                             ;   in Loop: Header=BB6_623 Depth=2
	s_or_b64 exec, exec, s[44:45]
.LBB6_1010:                             ;   in Loop: Header=BB6_623 Depth=2
	s_or_b64 exec, exec, s[42:43]
	v_lshlrev_b32_e32 v0, 10, v16
	v_cmp_ne_u32_e32 vcc, v55, v0
	s_and_b64 exec, exec, vcc
	s_cbranch_execz .LBB6_1018
; %bb.1011:                             ;   in Loop: Header=BB6_623 Depth=2
	v_lshlrev_b32_e32 v3, 6, v14
	v_sub_u32_e32 v3, v13, v3
	v_lshlrev_b32_e32 v4, 6, v15
	v_sub_u32_e32 v3, v3, v4
	v_ashrrev_i32_e32 v4, 31, v3
	v_lshrrev_b32_e32 v4, 26, v4
	v_add_u32_e32 v4, v3, v4
	v_and_b32_e32 v8, 0x7fffffc0, v4
	v_sub_u32_e32 v3, v3, v8
	v_lshlrev_b32_e32 v4, 1, v4
	v_and_b32_e32 v4, 0xffffff80, v4
	v_lshlrev_b32_e32 v3, 1, v3
	v_add3_u32 v0, v4, v3, v0
	v_sub_u32_e32 v13, v55, v0
	v_cmp_lt_i32_e32 vcc, 1, v13
	s_and_b64 exec, exec, vcc
	s_cbranch_execz .LBB6_1018
; %bb.1012:                             ;   in Loop: Header=BB6_623 Depth=2
	v_add_u32_e32 v0, v0, v12
	s_trap 2
	ds_read_b64 v[8:9], v0
	buffer_load_dword v14, off, s[0:3], s33 offset:144 ; 4-byte Folded Reload
	buffer_load_dword v15, off, s[0:3], s33 offset:148 ; 4-byte Folded Reload
	v_ashrrev_i32_e32 v11, 31, v0
	v_add_co_u32_e32 v3, vcc, v0, v57
	v_addc_co_u32_e32 v4, vcc, v11, v58, vcc
	s_waitcnt lgkmcnt(0)
	v_add_co_u32_e32 v8, vcc, v8, v0
	v_addc_co_u32_e32 v9, vcc, v9, v11, vcc
	s_and_b32 s58, s48, 1
	s_cmp_eq_u64 s[58:59], 0
	s_mov_b64 s[42:43], 0
	s_waitcnt vmcnt(0)
	v_add_co_u32_e32 v10, vcc, v0, v14
	v_addc_co_u32_e32 v11, vcc, v11, v15, vcc
	s_cselect_b64 vcc, -1, 0
	s_branch .LBB6_1014
.LBB6_1013:                             ;   in Loop: Header=BB6_1014 Depth=3
	s_or_b64 exec, exec, s[44:45]
	v_add_co_u32_e64 v3, s[28:29], v3, v42
	v_addc_co_u32_e64 v4, s[28:29], 0, v4, s[28:29]
	v_add_co_u32_e64 v8, s[28:29], v8, v42
	v_addc_co_u32_e64 v9, s[28:29], 0, v9, s[28:29]
	v_sub_u32_e32 v13, v13, v42
	v_cmp_gt_i32_e64 s[28:29], 2, v13
	flat_store_short_d16_hi v[10:11], v0 glc slc
	s_or_b64 s[42:43], s[28:29], s[42:43]
	v_add_co_u32_e64 v10, s[28:29], v10, v42
	v_addc_co_u32_e64 v11, s[28:29], 0, v11, s[28:29]
	s_andn2_b64 exec, exec, s[42:43]
	s_cbranch_execz .LBB6_1018
.LBB6_1014:                             ;   Parent Loop BB6_47 Depth=1
                                        ;     Parent Loop BB6_623 Depth=2
                                        ; =>    This Inner Loop Header: Depth=3
	flat_load_ushort v0, v[8:9] glc slc
	flat_load_ushort v12, v[3:4] glc slc
	s_waitcnt vmcnt(0) lgkmcnt(0)
	v_lshlrev_b32_e32 v0, 16, v0
	v_lshlrev_b32_e32 v12, 16, v12
	v_max_f32_e32 v0, v0, v0
	v_max_f32_e32 v12, v12, v12
	v_min_f32_e32 v14, v12, v0
	v_max_f32_e32 v0, v12, v0
	v_cndmask_b32_e32 v12, v0, v14, vcc
	v_and_b32_e32 v0, 0x7f800000, v12
	v_cmp_ne_u32_e64 s[28:29], s66, v0
                                        ; implicit-def: $vgpr0
	s_and_saveexec_b64 s[44:45], s[28:29]
	s_xor_b64 s[28:29], exec, s[44:45]
; %bb.1015:                             ;   in Loop: Header=BB6_1014 Depth=3
	v_bfe_u32 v0, v12, 16, 1
	v_add3_u32 v0, v12, v0, s67
                                        ; implicit-def: $vgpr12
; %bb.1016:                             ;   in Loop: Header=BB6_1014 Depth=3
	s_andn2_saveexec_b64 s[44:45], s[28:29]
	s_cbranch_execz .LBB6_1013
; %bb.1017:                             ;   in Loop: Header=BB6_1014 Depth=3
	v_or_b32_e32 v0, 0x10000, v12
	v_cmp_eq_u32_sdwa s[28:29], v12, v2 src0_sel:WORD_0 src1_sel:DWORD
	v_cndmask_b32_e64 v0, v0, v12, s[28:29]
	s_branch .LBB6_1013
.LBB6_1018:                             ;   in Loop: Header=BB6_623 Depth=2
	s_or_b64 exec, exec, s[40:41]
	v_cmp_lt_i32_e64 s[28:29], 0, v35
	s_and_saveexec_b64 s[40:41], s[10:11]
	s_cbranch_execz .LBB6_699
.LBB6_1019:                             ;   in Loop: Header=BB6_623 Depth=2
	s_and_saveexec_b64 s[42:43], s[60:61]
	s_xor_b64 s[42:43], exec, s[42:43]
	s_cbranch_execz .LBB6_1034
; %bb.1020:                             ;   in Loop: Header=BB6_623 Depth=2
	s_and_saveexec_b64 s[44:45], s[16:17]
	s_cbranch_execz .LBB6_1033
; %bb.1021:                             ;   in Loop: Header=BB6_623 Depth=2
	s_mov_b64 s[30:31], exec
	v_mbcnt_lo_u32_b32 v0, s30, 0
	v_mbcnt_hi_u32_b32 v0, s31, v0
	v_cmp_eq_u32_e32 vcc, 0, v0
	s_waitcnt vmcnt(0) lgkmcnt(0)
	buffer_wbinvl1_vol
	s_and_saveexec_b64 s[94:95], vcc
	s_cbranch_execz .LBB6_1023
; %bb.1022:                             ;   in Loop: Header=BB6_623 Depth=2
	s_bcnt1_i32_b64 s58, s[30:31]
	v_mov_b32_e32 v3, s58
	v_mov_b32_e32 v4, v2
	ds_add_u64 v0, v[3:4]
	s_trap 2
.LBB6_1023:                             ;   in Loop: Header=BB6_623 Depth=2
	s_or_b64 exec, exec, s[94:95]
	s_trap 2
	ds_read_b64 v[3:4], v0
	s_waitcnt lgkmcnt(0)
	v_add_co_u32_e32 v48, vcc, v48, v51
	v_addc_co_u32_e32 v49, vcc, 0, v49, vcc
	v_cmp_lt_u64_e32 vcc, v[3:4], v[48:49]
	s_and_saveexec_b64 s[94:95], vcc
	s_cbranch_execz .LBB6_1032
; %bb.1024:                             ;   in Loop: Header=BB6_623 Depth=2
	s_mov_b32 s58, 0
	s_mov_b64 s[30:31], 0
                                        ; implicit-def: $sgpr34_sgpr35
                                        ; implicit-def: $sgpr36_sgpr37
	s_branch .LBB6_1026
.LBB6_1025:                             ;   in Loop: Header=BB6_1026 Depth=3
	s_or_b64 exec, exec, s[48:49]
	s_and_b64 vcc, exec, vcc
	s_or_b64 s[30:31], vcc, s[30:31]
	s_andn2_b64 vcc, s[34:35], exec
	s_and_b64 s[34:35], s[36:37], exec
	s_or_b64 s[34:35], vcc, s[34:35]
	s_andn2_b64 exec, exec, s[30:31]
	s_cbranch_execz .LBB6_1030
.LBB6_1026:                             ;   Parent Loop BB6_47 Depth=1
                                        ;     Parent Loop BB6_623 Depth=2
                                        ; =>    This Inner Loop Header: Depth=3
	s_add_i32 s58, s58, 1
	s_cmpk_lg_i32 s58, 0x2710
	s_cselect_b64 s[38:39], -1, 0
	s_and_b64 vcc, exec, s[38:39]
	s_cbranch_vccz .LBB6_1028
; %bb.1027:                             ;   in Loop: Header=BB6_1026 Depth=3
	s_mov_b64 vcc, -1
	s_or_b64 s[36:37], s[36:37], exec
	s_and_saveexec_b64 s[48:49], s[38:39]
	s_cbranch_execz .LBB6_1025
	s_branch .LBB6_1029
.LBB6_1028:                             ;   in Loop: Header=BB6_1026 Depth=3
	s_trap 2
	ds_read_b64 v[3:4], v0
	s_andn2_b64 s[38:39], s[38:39], exec
	s_mov_b32 s58, 0
	s_waitcnt lgkmcnt(0)
	flat_load_dword v0, v[3:4] glc
	s_waitcnt vmcnt(0) lgkmcnt(0)
	buffer_wbinvl1_vol
	v_cmp_eq_u32_e32 vcc, 0, v0
	s_and_b64 vcc, vcc, exec
	s_or_b64 s[38:39], s[38:39], vcc
	s_mov_b64 vcc, -1
	s_or_b64 s[36:37], s[36:37], exec
	s_and_saveexec_b64 s[48:49], s[38:39]
	s_cbranch_execz .LBB6_1025
.LBB6_1029:                             ;   in Loop: Header=BB6_1026 Depth=3
	s_sleep 1
	s_trap 2
	ds_read_b64 v[3:4], v0
	s_waitcnt lgkmcnt(0)
	s_andn2_b64 s[36:37], s[36:37], exec
	v_cmp_ge_u64_e32 vcc, v[3:4], v[48:49]
	s_orn2_b64 vcc, vcc, exec
	s_branch .LBB6_1025
.LBB6_1030:                             ;   in Loop: Header=BB6_623 Depth=2
	s_or_b64 exec, exec, s[30:31]
	s_and_saveexec_b64 vcc, s[34:35]
	s_xor_b64 vcc, exec, vcc
	s_cbranch_execz .LBB6_1032
; %bb.1031:                             ;   in Loop: Header=BB6_623 Depth=2
	ds_write_b32 v0, v60
	s_trap 2
.LBB6_1032:                             ;   in Loop: Header=BB6_623 Depth=2
	s_or_b64 exec, exec, s[94:95]
	;;#ASMSTART
	s_wakeup
	;;#ASMEND
.LBB6_1033:                             ;   in Loop: Header=BB6_623 Depth=2
	s_or_b64 exec, exec, s[44:45]
.LBB6_1034:                             ;   in Loop: Header=BB6_623 Depth=2
	s_andn2_saveexec_b64 s[42:43], s[42:43]
	s_cbranch_execz .LBB6_1036
; %bb.1035:                             ;   in Loop: Header=BB6_623 Depth=2
	s_waitcnt vmcnt(0) lgkmcnt(0)
	buffer_wbinvl1_vol
	s_barrier
.LBB6_1036:                             ;   in Loop: Header=BB6_623 Depth=2
	s_or_b64 exec, exec, s[42:43]
	s_or_b64 exec, exec, s[40:41]
                                        ; implicit-def: $vgpr3
	s_and_saveexec_b64 s[40:41], s[24:25]
	s_xor_b64 s[40:41], exec, s[40:41]
	s_cbranch_execnz .LBB6_700
.LBB6_1037:                             ;   in Loop: Header=BB6_623 Depth=2
	s_andn2_saveexec_b64 s[28:29], s[40:41]
	s_cbranch_execz .LBB6_1056
.LBB6_1038:                             ;   in Loop: Header=BB6_623 Depth=2
	s_and_saveexec_b64 s[40:41], s[60:61]
	s_xor_b64 s[40:41], exec, s[40:41]
	s_cbranch_execz .LBB6_1053
; %bb.1039:                             ;   in Loop: Header=BB6_623 Depth=2
	s_and_saveexec_b64 s[42:43], s[16:17]
	s_cbranch_execz .LBB6_1052
; %bb.1040:                             ;   in Loop: Header=BB6_623 Depth=2
	s_mov_b64 s[94:95], exec
	v_mbcnt_lo_u32_b32 v0, s94, 0
	v_mbcnt_hi_u32_b32 v0, s95, v0
	v_cmp_eq_u32_e32 vcc, 0, v0
	;;#ASMSTART
	s_waitcnt lgkmcnt(0) vmcnt(0)
	;;#ASMEND
	s_and_saveexec_b64 s[44:45], vcc
	s_cbranch_execz .LBB6_1042
; %bb.1041:                             ;   in Loop: Header=BB6_623 Depth=2
	s_bcnt1_i32_b64 s58, s[94:95]
	v_mov_b32_e32 v3, s58
	v_mov_b32_e32 v4, v2
	s_waitcnt lgkmcnt(0)
	ds_add_u64 v0, v[3:4]
	s_trap 2
.LBB6_1042:                             ;   in Loop: Header=BB6_623 Depth=2
	s_or_b64 exec, exec, s[44:45]
	s_trap 2
	ds_read_b64 v[3:4], v0
	s_waitcnt lgkmcnt(0)
	v_add_co_u32_e32 v48, vcc, v48, v51
	v_addc_co_u32_e32 v49, vcc, 0, v49, vcc
	v_cmp_lt_u64_e32 vcc, v[3:4], v[48:49]
	s_and_saveexec_b64 s[44:45], vcc
	s_cbranch_execz .LBB6_1051
; %bb.1043:                             ;   in Loop: Header=BB6_623 Depth=2
	s_mov_b32 s58, 0
	s_mov_b64 s[94:95], 0
                                        ; implicit-def: $sgpr30_sgpr31
                                        ; implicit-def: $sgpr34_sgpr35
	s_branch .LBB6_1045
.LBB6_1044:                             ;   in Loop: Header=BB6_1045 Depth=3
	s_or_b64 exec, exec, s[38:39]
	s_and_b64 vcc, exec, vcc
	s_or_b64 s[94:95], vcc, s[94:95]
	s_andn2_b64 vcc, s[30:31], exec
	s_and_b64 s[30:31], s[34:35], exec
	s_or_b64 s[30:31], vcc, s[30:31]
	s_andn2_b64 exec, exec, s[94:95]
	s_cbranch_execz .LBB6_1049
.LBB6_1045:                             ;   Parent Loop BB6_47 Depth=1
                                        ;     Parent Loop BB6_623 Depth=2
                                        ; =>    This Inner Loop Header: Depth=3
	s_add_i32 s58, s58, 1
	s_cmpk_lg_i32 s58, 0x2710
	s_cselect_b64 s[36:37], -1, 0
	s_and_b64 vcc, exec, s[36:37]
	s_cbranch_vccz .LBB6_1047
; %bb.1046:                             ;   in Loop: Header=BB6_1045 Depth=3
	s_mov_b64 vcc, -1
	s_or_b64 s[34:35], s[34:35], exec
	s_and_saveexec_b64 s[38:39], s[36:37]
	s_cbranch_execz .LBB6_1044
	s_branch .LBB6_1048
.LBB6_1047:                             ;   in Loop: Header=BB6_1045 Depth=3
	s_trap 2
	ds_read_b64 v[3:4], v0
	s_andn2_b64 s[36:37], s[36:37], exec
	s_mov_b32 s58, 0
	s_waitcnt vmcnt(0) lgkmcnt(0)
	flat_load_dword v0, v[3:4] glc
	s_waitcnt vmcnt(0) lgkmcnt(0)
	buffer_wbinvl1_vol
	v_cmp_eq_u32_e32 vcc, 0, v0
	s_and_b64 vcc, vcc, exec
	s_or_b64 s[36:37], s[36:37], vcc
	s_mov_b64 vcc, -1
	s_or_b64 s[34:35], s[34:35], exec
	s_and_saveexec_b64 s[38:39], s[36:37]
	s_cbranch_execz .LBB6_1044
.LBB6_1048:                             ;   in Loop: Header=BB6_1045 Depth=3
	s_sleep 1
	s_trap 2
	ds_read_b64 v[3:4], v0
	s_waitcnt lgkmcnt(0)
	s_andn2_b64 s[34:35], s[34:35], exec
	v_cmp_ge_u64_e32 vcc, v[3:4], v[48:49]
	s_orn2_b64 vcc, vcc, exec
	s_branch .LBB6_1044
.LBB6_1049:                             ;   in Loop: Header=BB6_623 Depth=2
	s_or_b64 exec, exec, s[94:95]
	s_and_saveexec_b64 s[94:95], s[30:31]
	s_xor_b64 s[94:95], exec, s[94:95]
	s_cbranch_execz .LBB6_1051
; %bb.1050:                             ;   in Loop: Header=BB6_623 Depth=2
	ds_write_b32 v0, v60
	s_trap 2
.LBB6_1051:                             ;   in Loop: Header=BB6_623 Depth=2
	s_or_b64 exec, exec, s[44:45]
	;;#ASMSTART
	s_wakeup
	;;#ASMEND
.LBB6_1052:                             ;   in Loop: Header=BB6_623 Depth=2
	s_or_b64 exec, exec, s[42:43]
.LBB6_1053:                             ;   in Loop: Header=BB6_623 Depth=2
	s_andn2_saveexec_b64 s[40:41], s[40:41]
	s_cbranch_execz .LBB6_1055
; %bb.1054:                             ;   in Loop: Header=BB6_623 Depth=2
	;;#ASMSTART
	s_waitcnt lgkmcnt(0) vmcnt(0)
	;;#ASMEND
	s_waitcnt vmcnt(0) lgkmcnt(0)
	s_barrier
.LBB6_1055:                             ;   in Loop: Header=BB6_623 Depth=2
	s_or_b64 exec, exec, s[40:41]
	v_and_b32_e32 v3, 16, v62
.LBB6_1056:                             ;   in Loop: Header=BB6_623 Depth=2
	s_or_b64 exec, exec, s[28:29]
	v_cmp_ne_u32_e32 vcc, 0, v3
	s_xor_b64 s[28:29], s[12:13], -1
	s_and_b64 s[40:41], vcc, s[28:29]
	s_and_saveexec_b64 s[28:29], s[40:41]
	s_cbranch_execz .LBB6_1058
; %bb.1057:                             ;   in Loop: Header=BB6_623 Depth=2
	flat_store_dword v[36:37], v60
.LBB6_1058:                             ;   in Loop: Header=BB6_623 Depth=2
	s_or_b64 exec, exec, s[28:29]
	v_and_b32_e32 v0, 48, v62
	v_cmp_ne_u32_e32 vcc, 0, v0
	s_and_saveexec_b64 s[28:29], vcc
	s_cbranch_execz .LBB6_622
; %bb.1059:                             ;   in Loop: Header=BB6_623 Depth=2
	v_add_co_u32_e32 v40, vcc, 2, v40
	v_addc_co_u32_e32 v41, vcc, 0, v41, vcc
	flat_store_dwordx2 v[32:33], v[40:41]
	s_branch .LBB6_622
.LBB6_1060:                             ;   in Loop: Header=BB6_47 Depth=1
	s_or_b64 exec, exec, s[90:91]
.LBB6_1061:                             ;   in Loop: Header=BB6_47 Depth=1
	s_or_b64 exec, exec, s[88:89]
	v_cmp_gt_i32_e32 vcc, 2, v8
	s_and_saveexec_b64 s[40:41], vcc
	s_cbranch_execz .LBB6_1137
; %bb.1062:                             ;   in Loop: Header=BB6_47 Depth=1
	v_cmp_eq_u32_e64 s[44:45], 0, v8
	s_mov_b64 s[42:43], 0
	s_branch .LBB6_1064
.LBB6_1063:                             ;   in Loop: Header=BB6_1064 Depth=2
	s_or_b64 exec, exec, s[28:29]
	v_add_u32_e32 v56, v46, v56
	s_mov_b64 s[44:45], 0
	s_andn2_b64 exec, exec, s[42:43]
	s_cbranch_execz .LBB6_1136
.LBB6_1064:                             ;   Parent Loop BB6_47 Depth=1
                                        ; =>  This Loop Header: Depth=2
                                        ;       Child Loop BB6_1070 Depth 3
                                        ;       Child Loop BB6_1098 Depth 3
                                        ;       Child Loop BB6_1121 Depth 3
	v_sub_u32_e32 v0, v34, v56
	v_min_i32_e32 v46, v46, v0
	v_and_b32_e32 v0, 12, v62
	v_cmp_ne_u32_e32 vcc, 0, v0
	s_and_saveexec_b64 s[88:89], vcc
	s_cbranch_execz .LBB6_1090
; %bb.1065:                             ;   in Loop: Header=BB6_1064 Depth=2
	v_and_b32_e32 v14, 8, v62
	s_waitcnt vmcnt(0) lgkmcnt(0)
	v_add_co_u32_e32 v8, vcc, v38, v14
	v_addc_co_u32_e32 v9, vcc, 0, v39, vcc
	v_add_co_u32_e32 v3, vcc, 2, v40
	v_addc_co_u32_e32 v4, vcc, 0, v41, vcc
	v_cmp_lt_u64_e32 vcc, v[8:9], v[3:4]
	s_and_saveexec_b64 s[90:91], vcc
	s_cbranch_execz .LBB6_1077
; %bb.1066:                             ;   in Loop: Header=BB6_1064 Depth=2
	v_and_b32_e32 v0, 64, v62
	s_mov_b32 s58, 0
	v_cmp_eq_u32_e32 vcc, 0, v0
	s_mov_b64 s[92:93], 0
                                        ; implicit-def: $sgpr94_sgpr95
                                        ; implicit-def: $sgpr30_sgpr31
                                        ; implicit-def: $sgpr34_sgpr35
	s_branch .LBB6_1070
.LBB6_1067:                             ;   in Loop: Header=BB6_1070 Depth=3
	s_waitcnt vmcnt(0) lgkmcnt(0)
	v_add_co_u32_e64 v9, s[28:29], v38, v14
	v_addc_co_u32_e64 v10, s[28:29], 0, v39, s[28:29]
	v_cmp_ge_u64_e64 s[28:29], v[9:10], v[3:4]
	s_or_b64 s[48:49], s[48:49], exec
	s_orn2_b64 s[38:39], s[28:29], exec
.LBB6_1068:                             ;   in Loop: Header=BB6_1070 Depth=3
	s_or_b64 exec, exec, s[52:53]
	s_andn2_b64 s[28:29], s[34:35], exec
	s_and_b64 s[34:35], s[48:49], exec
	s_or_b64 s[34:35], s[28:29], s[34:35]
	s_andn2_b64 s[28:29], s[30:31], exec
	s_and_b64 s[30:31], s[38:39], exec
	s_or_b64 s[30:31], s[28:29], s[30:31]
.LBB6_1069:                             ;   in Loop: Header=BB6_1070 Depth=3
	s_or_b64 exec, exec, s[36:37]
	s_and_b64 s[28:29], exec, s[30:31]
	s_or_b64 s[92:93], s[28:29], s[92:93]
	s_andn2_b64 s[28:29], s[94:95], exec
	s_and_b64 s[94:95], s[34:35], exec
	s_or_b64 s[94:95], s[28:29], s[94:95]
	s_andn2_b64 exec, exec, s[92:93]
	s_cbranch_execz .LBB6_1074
.LBB6_1070:                             ;   Parent Loop BB6_47 Depth=1
                                        ;     Parent Loop BB6_1064 Depth=2
                                        ; =>    This Inner Loop Header: Depth=3
	s_sleep 1
	s_waitcnt vmcnt(0) lgkmcnt(0)
	flat_load_dwordx2 v[38:39], v[32:33] glc
	s_or_b64 s[34:35], s[34:35], exec
	s_or_b64 s[30:31], s[30:31], exec
                                        ; implicit-def: $vgpr8
	s_and_saveexec_b64 s[36:37], vcc
	s_cbranch_execz .LBB6_1069
; %bb.1071:                             ;   in Loop: Header=BB6_1070 Depth=3
	s_cmpk_lt_i32 s58, 0x270f
	s_cselect_b64 s[50:51], -1, 0
	s_cmpk_gt_i32 s58, 0x270e
	s_mov_b64 s[38:39], -1
	s_cbranch_scc0 .LBB6_1073
; %bb.1072:                             ;   in Loop: Header=BB6_1070 Depth=3
	s_trap 2
	ds_read_b64 v[8:9], v0
	s_andn2_b64 s[50:51], s[50:51], exec
	s_mov_b32 s58, 0
	s_mov_b64 s[48:49], 0
	s_waitcnt vmcnt(0) lgkmcnt(0)
	flat_load_dword v8, v[8:9] glc
	s_waitcnt vmcnt(0) lgkmcnt(0)
	buffer_wbinvl1_vol
	v_cmp_eq_u32_e64 s[28:29], 0, v8
	s_and_b64 s[28:29], s[28:29], exec
	s_or_b64 s[50:51], s[50:51], s[28:29]
	s_and_saveexec_b64 s[52:53], s[50:51]
	s_cbranch_execz .LBB6_1068
	s_branch .LBB6_1067
.LBB6_1073:                             ;   in Loop: Header=BB6_1070 Depth=3
	s_add_i32 s58, s58, 1
	s_mov_b64 s[48:49], -1
                                        ; implicit-def: $vgpr8
	s_and_saveexec_b64 s[52:53], s[50:51]
	s_cbranch_execz .LBB6_1068
	s_branch .LBB6_1067
.LBB6_1074:                             ;   in Loop: Header=BB6_1064 Depth=2
	s_or_b64 exec, exec, s[92:93]
	s_xor_b64 s[28:29], s[94:95], -1
	s_and_saveexec_b64 s[92:93], s[28:29]
	s_xor_b64 s[28:29], exec, s[92:93]
	s_cbranch_execz .LBB6_1076
; %bb.1075:                             ;   in Loop: Header=BB6_1064 Depth=2
	v_or_b32_e32 v62, 64, v62
	s_waitcnt lgkmcnt(0)
	ds_write_b32 v0, v8
	s_trap 2
.LBB6_1076:                             ;   in Loop: Header=BB6_1064 Depth=2
	s_or_b64 exec, exec, s[28:29]
.LBB6_1077:                             ;   in Loop: Header=BB6_1064 Depth=2
	s_or_b64 exec, exec, s[90:91]
	v_and_b32_e32 v0, 0x108, v62
	v_cmp_ne_u32_e32 vcc, s65, v0
	;;#ASMSTART
	s_wakeup
	;;#ASMEND
                                        ; implicit-def: $vgpr8_vgpr9
	s_and_saveexec_b64 s[28:29], vcc
	s_xor_b64 s[28:29], exec, s[28:29]
; %bb.1078:                             ;   in Loop: Header=BB6_1064 Depth=2
	v_and_b32_e32 v8, 7, v40
	v_mov_b32_e32 v9, v2
                                        ; implicit-def: $vgpr40_vgpr41
; %bb.1079:                             ;   in Loop: Header=BB6_1064 Depth=2
	s_andn2_saveexec_b64 s[28:29], s[28:29]
	s_cbranch_execz .LBB6_1081
; %bb.1080:                             ;   in Loop: Header=BB6_1064 Depth=2
	buffer_load_dword v9, off, s[0:3], s33 offset:60 ; 4-byte Folded Reload
	buffer_load_dword v10, off, s[0:3], s33 offset:64 ; 4-byte Folded Reload
	;; [unrolled: 1-line block ×4, first 2 shown]
	v_and_b32_e32 v8, 7, v40
	v_ashrrev_i32_e32 v47, 31, v46
	s_waitcnt vmcnt(0)
	v_lshlrev_b64 v[12:13], 1, v[46:47]
	v_mad_u64_u32 v[10:11], s[90:91], v8, 24, v[9:10]
	v_mov_b32_e32 v9, v2
	flat_store_dwordx2 v[10:11], v[12:13] offset:8
.LBB6_1081:                             ;   in Loop: Header=BB6_1064 Depth=2
	s_or_b64 exec, exec, s[28:29]
	v_and_b32_e32 v0, 0x100, v62
	v_cmp_ne_u32_e32 vcc, 0, v0
	s_mov_b64 s[28:29], -1
                                        ; implicit-def: $vgpr10_vgpr11
	s_and_saveexec_b64 s[90:91], vcc
	s_cbranch_execz .LBB6_1085
; %bb.1082:                             ;   in Loop: Header=BB6_1064 Depth=2
	buffer_load_dword v10, off, s[0:3], s33 offset:60 ; 4-byte Folded Reload
	buffer_load_dword v11, off, s[0:3], s33 offset:64 ; 4-byte Folded Reload
	;; [unrolled: 1-line block ×4, first 2 shown]
	s_waitcnt vmcnt(0)
	v_mad_u64_u32 v[12:13], s[28:29], v8, 24, v[10:11]
	v_mov_b32_e32 v0, v13
	v_mad_u64_u32 v[10:11], s[28:29], v9, 24, v[0:1]
	v_mov_b32_e32 v13, v10
	flat_load_dword v0, v[12:13]
                                        ; implicit-def: $vgpr10_vgpr11
	s_waitcnt vmcnt(0) lgkmcnt(0)
	v_cmp_ne_u32_e32 vcc, 1, v0
	v_cmp_eq_u32_e64 s[28:29], 1, v0
	s_and_saveexec_b64 s[92:93], s[28:29]
	s_cbranch_execz .LBB6_1084
; %bb.1083:                             ;   in Loop: Header=BB6_1064 Depth=2
	flat_load_dword v10, v[12:13] offset:4 glc
	s_waitcnt vmcnt(0) lgkmcnt(0)
	v_ashrrev_i32_e32 v11, 31, v10
	v_lshrrev_b64 v[10:11], 1, v[10:11]
.LBB6_1084:                             ;   in Loop: Header=BB6_1064 Depth=2
	s_or_b64 exec, exec, s[92:93]
	s_orn2_b64 s[28:29], vcc, exec
.LBB6_1085:                             ;   in Loop: Header=BB6_1064 Depth=2
	s_or_b64 exec, exec, s[90:91]
	s_and_saveexec_b64 s[90:91], s[28:29]
	s_cbranch_execz .LBB6_1087
; %bb.1086:                             ;   in Loop: Header=BB6_1064 Depth=2
	v_mul_lo_u32 v0, v9, v50
	v_mul_lo_u32 v9, v8, v45
	v_mad_u64_u32 v[10:11], s[28:29], v8, v50, 0
	v_add3_u32 v11, v11, v9, v0
.LBB6_1087:                             ;   in Loop: Header=BB6_1064 Depth=2
	s_or_b64 exec, exec, s[90:91]
	v_cmp_eq_u32_e32 vcc, 0, v14
	v_mov_b32_e32 v0, 0x90
	v_mov_b32_e32 v8, 0xd0
	v_cndmask_b32_e32 v0, v8, v0, vcc
	v_lshlrev_b64 v[8:9], 1, v[10:11]
	v_add_u32_e32 v0, v0, v0
	v_add_co_u32_e32 v8, vcc, v5, v8
	v_addc_co_u32_e32 v9, vcc, v6, v9, vcc
	ds_write_b64 v0, v[8:9] offset:584
	v_and_b32_e32 v0, 0x2000, v62
	v_cmp_ne_u32_e32 vcc, 0, v0
	s_and_saveexec_b64 s[28:29], vcc
	s_cbranch_execz .LBB6_1089
; %bb.1088:                             ;   in Loop: Header=BB6_1064 Depth=2
	ds_read_b64 v[8:9], v0 offset:872
	s_waitcnt lgkmcnt(0)
	v_add_co_u32_e32 v8, vcc, 1, v8
	v_addc_co_u32_e32 v9, vcc, 0, v9, vcc
	ds_write_b64 v0, v[8:9] offset:872
.LBB6_1089:                             ;   in Loop: Header=BB6_1064 Depth=2
	s_or_b64 exec, exec, s[28:29]
	v_mov_b32_e32 v41, v4
	v_mov_b32_e32 v40, v3
.LBB6_1090:                             ;   in Loop: Header=BB6_1064 Depth=2
	s_or_b64 exec, exec, s[88:89]
	s_xor_b64 s[28:29], s[44:45], -1
	s_and_b64 s[28:29], exec, s[28:29]
	s_or_b64 s[42:43], s[28:29], s[42:43]
	s_and_saveexec_b64 s[28:29], s[10:11]
	s_cbranch_execz .LBB6_1109
; %bb.1091:                             ;   in Loop: Header=BB6_1064 Depth=2
	s_and_saveexec_b64 s[44:45], s[60:61]
	s_xor_b64 s[44:45], exec, s[44:45]
	s_cbranch_execz .LBB6_1106
; %bb.1092:                             ;   in Loop: Header=BB6_1064 Depth=2
	s_and_saveexec_b64 s[88:89], s[16:17]
	s_cbranch_execz .LBB6_1105
; %bb.1093:                             ;   in Loop: Header=BB6_1064 Depth=2
	s_mov_b64 s[92:93], exec
	v_mbcnt_lo_u32_b32 v0, s92, 0
	v_mbcnt_hi_u32_b32 v0, s93, v0
	v_cmp_eq_u32_e32 vcc, 0, v0
	s_waitcnt vmcnt(0) lgkmcnt(0)
	buffer_wbinvl1_vol
	s_and_saveexec_b64 s[90:91], vcc
	s_cbranch_execz .LBB6_1095
; %bb.1094:                             ;   in Loop: Header=BB6_1064 Depth=2
	s_bcnt1_i32_b64 s58, s[92:93]
	v_mov_b32_e32 v3, s58
	v_mov_b32_e32 v4, v2
	ds_add_u64 v0, v[3:4]
	s_trap 2
.LBB6_1095:                             ;   in Loop: Header=BB6_1064 Depth=2
	s_or_b64 exec, exec, s[90:91]
	s_trap 2
	ds_read_b64 v[3:4], v0
	s_waitcnt lgkmcnt(0)
	v_add_co_u32_e32 v48, vcc, v48, v51
	v_addc_co_u32_e32 v49, vcc, 0, v49, vcc
	v_cmp_lt_u64_e32 vcc, v[3:4], v[48:49]
	s_and_saveexec_b64 s[90:91], vcc
	s_cbranch_execz .LBB6_1104
; %bb.1096:                             ;   in Loop: Header=BB6_1064 Depth=2
	s_mov_b32 s58, 0
	s_mov_b64 s[92:93], 0
                                        ; implicit-def: $sgpr94_sgpr95
                                        ; implicit-def: $sgpr30_sgpr31
	s_branch .LBB6_1098
.LBB6_1097:                             ;   in Loop: Header=BB6_1098 Depth=3
	s_or_b64 exec, exec, s[36:37]
	s_and_b64 vcc, exec, vcc
	s_or_b64 s[92:93], vcc, s[92:93]
	s_andn2_b64 s[94:95], s[94:95], exec
	s_and_b64 vcc, s[30:31], exec
	s_or_b64 s[94:95], s[94:95], vcc
	s_andn2_b64 exec, exec, s[92:93]
	s_cbranch_execz .LBB6_1102
.LBB6_1098:                             ;   Parent Loop BB6_47 Depth=1
                                        ;     Parent Loop BB6_1064 Depth=2
                                        ; =>    This Inner Loop Header: Depth=3
	s_add_i32 s58, s58, 1
	s_cmpk_lg_i32 s58, 0x2710
	s_cselect_b64 s[34:35], -1, 0
	s_and_b64 vcc, exec, s[34:35]
	s_cbranch_vccz .LBB6_1100
; %bb.1099:                             ;   in Loop: Header=BB6_1098 Depth=3
	s_mov_b64 vcc, -1
	s_or_b64 s[30:31], s[30:31], exec
	s_and_saveexec_b64 s[36:37], s[34:35]
	s_cbranch_execz .LBB6_1097
	s_branch .LBB6_1101
.LBB6_1100:                             ;   in Loop: Header=BB6_1098 Depth=3
	s_trap 2
	ds_read_b64 v[3:4], v0
	s_andn2_b64 s[34:35], s[34:35], exec
	s_mov_b32 s58, 0
	s_waitcnt lgkmcnt(0)
	flat_load_dword v0, v[3:4] glc
	s_waitcnt vmcnt(0) lgkmcnt(0)
	buffer_wbinvl1_vol
	v_cmp_eq_u32_e32 vcc, 0, v0
	s_and_b64 vcc, vcc, exec
	s_or_b64 s[34:35], s[34:35], vcc
	s_mov_b64 vcc, -1
	s_or_b64 s[30:31], s[30:31], exec
	s_and_saveexec_b64 s[36:37], s[34:35]
	s_cbranch_execz .LBB6_1097
.LBB6_1101:                             ;   in Loop: Header=BB6_1098 Depth=3
	s_sleep 1
	s_trap 2
	ds_read_b64 v[3:4], v0
	s_waitcnt lgkmcnt(0)
	s_andn2_b64 s[30:31], s[30:31], exec
	v_cmp_ge_u64_e32 vcc, v[3:4], v[48:49]
	s_orn2_b64 vcc, vcc, exec
	s_branch .LBB6_1097
.LBB6_1102:                             ;   in Loop: Header=BB6_1064 Depth=2
	s_or_b64 exec, exec, s[92:93]
	s_and_saveexec_b64 s[92:93], s[94:95]
	s_xor_b64 s[92:93], exec, s[92:93]
	s_cbranch_execz .LBB6_1104
; %bb.1103:                             ;   in Loop: Header=BB6_1064 Depth=2
	ds_write_b32 v0, v60
	s_trap 2
.LBB6_1104:                             ;   in Loop: Header=BB6_1064 Depth=2
	s_or_b64 exec, exec, s[90:91]
	;;#ASMSTART
	s_wakeup
	;;#ASMEND
.LBB6_1105:                             ;   in Loop: Header=BB6_1064 Depth=2
	s_or_b64 exec, exec, s[88:89]
.LBB6_1106:                             ;   in Loop: Header=BB6_1064 Depth=2
	s_andn2_saveexec_b64 s[44:45], s[44:45]
	s_cbranch_execz .LBB6_1108
; %bb.1107:                             ;   in Loop: Header=BB6_1064 Depth=2
	s_waitcnt vmcnt(0) lgkmcnt(0)
	buffer_wbinvl1_vol
	s_barrier
.LBB6_1108:                             ;   in Loop: Header=BB6_1064 Depth=2
	s_or_b64 exec, exec, s[44:45]
.LBB6_1109:                             ;   in Loop: Header=BB6_1064 Depth=2
	s_or_b64 exec, exec, s[28:29]
                                        ; implicit-def: $vgpr3
	s_and_saveexec_b64 s[28:29], s[24:25]
	s_xor_b64 s[28:29], exec, s[28:29]
	s_cbranch_execz .LBB6_1113
; %bb.1110:                             ;   in Loop: Header=BB6_1064 Depth=2
	s_trap 2
	ds_read_b32 v0, v0
	v_cmp_lt_i32_e32 vcc, 0, v46
	v_and_b32_e32 v3, 16, v62
	s_waitcnt lgkmcnt(0)
	v_readfirstlane_b32 s44, v0
	s_cmp_eq_u32 s44, 0
	s_cselect_b64 s[44:45], -1, 0
	v_and_b32_e32 v0, 16, v62
	s_and_b64 s[44:45], vcc, s[44:45]
	v_cmp_ne_u32_e32 vcc, 0, v0
	s_and_b64 s[88:89], vcc, s[44:45]
	s_and_saveexec_b64 s[44:45], s[88:89]
	s_cbranch_execz .LBB6_1112
; %bb.1111:                             ;   in Loop: Header=BB6_1064 Depth=2
	v_mov_b32_e32 v3, 1
	s_waitcnt vmcnt(0)
	buffer_wbinvl1_vol
.LBB6_1112:                             ;   in Loop: Header=BB6_1064 Depth=2
	s_or_b64 exec, exec, s[44:45]
	s_andn2_saveexec_b64 s[28:29], s[28:29]
	s_cbranch_execz .LBB6_1132
	s_branch .LBB6_1114
.LBB6_1113:                             ;   in Loop: Header=BB6_1064 Depth=2
	s_andn2_saveexec_b64 s[28:29], s[28:29]
	s_cbranch_execz .LBB6_1132
.LBB6_1114:                             ;   in Loop: Header=BB6_1064 Depth=2
	s_and_saveexec_b64 s[44:45], s[60:61]
	s_xor_b64 s[44:45], exec, s[44:45]
	s_cbranch_execz .LBB6_1129
; %bb.1115:                             ;   in Loop: Header=BB6_1064 Depth=2
	s_and_saveexec_b64 s[88:89], s[16:17]
	s_cbranch_execz .LBB6_1128
; %bb.1116:                             ;   in Loop: Header=BB6_1064 Depth=2
	s_mov_b64 s[92:93], exec
	v_mbcnt_lo_u32_b32 v0, s92, 0
	v_mbcnt_hi_u32_b32 v0, s93, v0
	v_cmp_eq_u32_e32 vcc, 0, v0
	;;#ASMSTART
	s_waitcnt lgkmcnt(0) vmcnt(0)
	;;#ASMEND
	s_and_saveexec_b64 s[90:91], vcc
	s_cbranch_execz .LBB6_1118
; %bb.1117:                             ;   in Loop: Header=BB6_1064 Depth=2
	s_bcnt1_i32_b64 s58, s[92:93]
	v_mov_b32_e32 v3, s58
	v_mov_b32_e32 v4, v2
	s_waitcnt lgkmcnt(0)
	ds_add_u64 v0, v[3:4]
	s_trap 2
.LBB6_1118:                             ;   in Loop: Header=BB6_1064 Depth=2
	s_or_b64 exec, exec, s[90:91]
	s_trap 2
	ds_read_b64 v[3:4], v0
	s_waitcnt lgkmcnt(0)
	v_add_co_u32_e32 v48, vcc, v48, v51
	v_addc_co_u32_e32 v49, vcc, 0, v49, vcc
	v_cmp_lt_u64_e32 vcc, v[3:4], v[48:49]
	s_and_saveexec_b64 s[90:91], vcc
	s_cbranch_execz .LBB6_1127
; %bb.1119:                             ;   in Loop: Header=BB6_1064 Depth=2
	s_mov_b32 s58, 0
	s_mov_b64 s[92:93], 0
                                        ; implicit-def: $sgpr94_sgpr95
                                        ; implicit-def: $sgpr30_sgpr31
	s_branch .LBB6_1121
.LBB6_1120:                             ;   in Loop: Header=BB6_1121 Depth=3
	s_or_b64 exec, exec, s[36:37]
	s_and_b64 vcc, exec, vcc
	s_or_b64 s[92:93], vcc, s[92:93]
	s_andn2_b64 s[94:95], s[94:95], exec
	s_and_b64 vcc, s[30:31], exec
	s_or_b64 s[94:95], s[94:95], vcc
	s_andn2_b64 exec, exec, s[92:93]
	s_cbranch_execz .LBB6_1125
.LBB6_1121:                             ;   Parent Loop BB6_47 Depth=1
                                        ;     Parent Loop BB6_1064 Depth=2
                                        ; =>    This Inner Loop Header: Depth=3
	s_add_i32 s58, s58, 1
	s_cmpk_lg_i32 s58, 0x2710
	s_cselect_b64 s[34:35], -1, 0
	s_and_b64 vcc, exec, s[34:35]
	s_cbranch_vccz .LBB6_1123
; %bb.1122:                             ;   in Loop: Header=BB6_1121 Depth=3
	s_mov_b64 vcc, -1
	s_or_b64 s[30:31], s[30:31], exec
	s_and_saveexec_b64 s[36:37], s[34:35]
	s_cbranch_execz .LBB6_1120
	s_branch .LBB6_1124
.LBB6_1123:                             ;   in Loop: Header=BB6_1121 Depth=3
	s_trap 2
	ds_read_b64 v[3:4], v0
	s_andn2_b64 s[34:35], s[34:35], exec
	s_mov_b32 s58, 0
	s_waitcnt vmcnt(0) lgkmcnt(0)
	flat_load_dword v0, v[3:4] glc
	s_waitcnt vmcnt(0) lgkmcnt(0)
	buffer_wbinvl1_vol
	v_cmp_eq_u32_e32 vcc, 0, v0
	s_and_b64 vcc, vcc, exec
	s_or_b64 s[34:35], s[34:35], vcc
	s_mov_b64 vcc, -1
	s_or_b64 s[30:31], s[30:31], exec
	s_and_saveexec_b64 s[36:37], s[34:35]
	s_cbranch_execz .LBB6_1120
.LBB6_1124:                             ;   in Loop: Header=BB6_1121 Depth=3
	s_sleep 1
	s_trap 2
	ds_read_b64 v[3:4], v0
	s_waitcnt lgkmcnt(0)
	s_andn2_b64 s[30:31], s[30:31], exec
	v_cmp_ge_u64_e32 vcc, v[3:4], v[48:49]
	s_orn2_b64 vcc, vcc, exec
	s_branch .LBB6_1120
.LBB6_1125:                             ;   in Loop: Header=BB6_1064 Depth=2
	s_or_b64 exec, exec, s[92:93]
	s_and_saveexec_b64 s[92:93], s[94:95]
	s_xor_b64 s[92:93], exec, s[92:93]
	s_cbranch_execz .LBB6_1127
; %bb.1126:                             ;   in Loop: Header=BB6_1064 Depth=2
	ds_write_b32 v0, v60
	s_trap 2
.LBB6_1127:                             ;   in Loop: Header=BB6_1064 Depth=2
	s_or_b64 exec, exec, s[90:91]
	;;#ASMSTART
	s_wakeup
	;;#ASMEND
.LBB6_1128:                             ;   in Loop: Header=BB6_1064 Depth=2
	s_or_b64 exec, exec, s[88:89]
.LBB6_1129:                             ;   in Loop: Header=BB6_1064 Depth=2
	s_andn2_saveexec_b64 s[44:45], s[44:45]
	s_cbranch_execz .LBB6_1131
; %bb.1130:                             ;   in Loop: Header=BB6_1064 Depth=2
	;;#ASMSTART
	s_waitcnt lgkmcnt(0) vmcnt(0)
	;;#ASMEND
	s_waitcnt vmcnt(0) lgkmcnt(0)
	s_barrier
.LBB6_1131:                             ;   in Loop: Header=BB6_1064 Depth=2
	s_or_b64 exec, exec, s[44:45]
	v_and_b32_e32 v3, 16, v62
.LBB6_1132:                             ;   in Loop: Header=BB6_1064 Depth=2
	s_or_b64 exec, exec, s[28:29]
	v_cmp_ne_u32_e32 vcc, 0, v3
	s_xor_b64 s[28:29], s[12:13], -1
	s_and_b64 s[44:45], vcc, s[28:29]
	s_and_saveexec_b64 s[28:29], s[44:45]
	s_cbranch_execz .LBB6_1134
; %bb.1133:                             ;   in Loop: Header=BB6_1064 Depth=2
	flat_store_dword v[36:37], v60
.LBB6_1134:                             ;   in Loop: Header=BB6_1064 Depth=2
	s_or_b64 exec, exec, s[28:29]
	v_and_b32_e32 v0, 48, v62
	v_cmp_ne_u32_e32 vcc, 0, v0
	s_and_saveexec_b64 s[28:29], vcc
	s_cbranch_execz .LBB6_1063
; %bb.1135:                             ;   in Loop: Header=BB6_1064 Depth=2
	v_add_co_u32_e32 v40, vcc, 2, v40
	v_addc_co_u32_e32 v41, vcc, 0, v41, vcc
	flat_store_dwordx2 v[32:33], v[40:41]
	s_branch .LBB6_1063
.LBB6_1136:                             ;   in Loop: Header=BB6_47 Depth=1
	s_or_b64 exec, exec, s[42:43]
.LBB6_1137:                             ;   in Loop: Header=BB6_47 Depth=1
	s_or_b64 exec, exec, s[40:41]
	buffer_load_dword v56, off, s[0:3], s33 offset:140 ; 4-byte Folded Reload
	s_and_b64 vcc, exec, s[26:27]
	v_mov_b32_e32 v46, 0xd0
	s_cbranch_vccnz .LBB6_1394
; %bb.1138:                             ;   in Loop: Header=BB6_47 Depth=1
	s_mov_b32 s58, 1
.LBB6_1139:                             ;   Parent Loop BB6_47 Depth=1
                                        ; =>  This Loop Header: Depth=2
                                        ;       Child Loop BB6_1142 Depth 3
                                        ;         Child Loop BB6_1150 Depth 4
                                        ;         Child Loop BB6_1178 Depth 4
	;; [unrolled: 1-line block ×9, first 2 shown]
                                        ;           Child Loop BB6_1232 Depth 5
                                        ;         Child Loop BB6_1239 Depth 4
                                        ;         Child Loop BB6_1244 Depth 4
                                        ;           Child Loop BB6_1245 Depth 5
                                        ;         Child Loop BB6_1281 Depth 4
                                        ;         Child Loop BB6_1300 Depth 4
                                        ;       Child Loop BB6_1318 Depth 3
                                        ;         Child Loop BB6_1324 Depth 4
                                        ;         Child Loop BB6_1352 Depth 4
                                        ;         Child Loop BB6_1375 Depth 4
	buffer_load_dword v10, off, s[0:3], s33 offset:128 ; 4-byte Folded Reload
	buffer_load_dword v11, off, s[0:3], s33 offset:132 ; 4-byte Folded Reload
	s_sub_i32 s26, s71, s58
	s_cmp_ge_i32 s26, s54
	s_cselect_b32 s27, s54, 0
	s_sub_i32 s26, s26, s27
	s_ashr_i32 s28, s26, 31
	v_mov_b32_e32 v14, 0
	s_waitcnt vmcnt(0)
	v_mul_lo_u32 v8, v10, s28
	v_mul_lo_u32 v0, v11, s26
	v_mad_u64_u32 v[3:4], s[26:27], v10, s26, 0
	v_add3_u32 v4, v4, v8, v0
	buffer_load_dword v8, off, s[0:3], s33 offset:120 ; 4-byte Folded Reload
	buffer_load_dword v9, off, s[0:3], s33 offset:124 ; 4-byte Folded Reload
	s_waitcnt vmcnt(0)
	v_sub_co_u32_e32 v8, vcc, v8, v3
	v_subb_co_u32_e32 v9, vcc, v9, v4, vcc
	v_cmp_lt_i64_e32 vcc, v[10:11], v[8:9]
	v_cndmask_b32_e32 v0, v8, v10, vcc
	v_max_i32_e32 v24, 0, v0
	v_add_u32_e32 v8, 31, v24
	v_lshrrev_b32_e32 v8, 1, v8
	v_and_b32_e32 v8, 0x3ffffff0, v8
	v_cmp_lt_i32_e32 vcc, 0, v0
	v_max_i32_e32 v12, s82, v8
	s_and_b64 s[26:27], s[76:77], vcc
	v_mov_b32_e32 v8, 0
	s_and_saveexec_b64 s[42:43], s[26:27]
	s_cbranch_execz .LBB6_1315
; %bb.1140:                             ;   in Loop: Header=BB6_1139 Depth=2
	buffer_load_dword v8, off, s[0:3], s33 offset:100 ; 4-byte Folded Reload
	buffer_load_dword v9, off, s[0:3], s33 offset:104 ; 4-byte Folded Reload
	s_mov_b32 s79, 1
	s_mov_b64 s[88:89], -1
	v_mov_b32_e32 v14, 0
	s_mov_b64 s[44:45], 0
	s_waitcnt vmcnt(0)
	v_add_co_u32_e32 v3, vcc, v3, v8
	v_addc_co_u32_e32 v4, vcc, v4, v9, vcc
	v_lshlrev_b64 v[16:17], 1, v[3:4]
	s_branch .LBB6_1142
.LBB6_1141:                             ;   in Loop: Header=BB6_1142 Depth=3
	s_or_b64 exec, exec, s[26:27]
	v_add_u32_e32 v14, v12, v14
	v_cmp_ge_i32_e32 vcc, v14, v24
	s_xor_b64 s[26:27], s[88:89], -1
	s_or_b64 s[26:27], s[26:27], vcc
	s_and_b64 s[26:27], exec, s[26:27]
	s_or_b64 s[44:45], s[26:27], s[44:45]
	s_mov_b64 s[88:89], 0
	v_mov_b32_e32 v8, s79
	s_mov_b32 s79, 2
	s_andn2_b64 exec, exec, s[44:45]
	s_cbranch_execz .LBB6_1390
.LBB6_1142:                             ;   Parent Loop BB6_47 Depth=1
                                        ;     Parent Loop BB6_1139 Depth=2
                                        ; =>    This Loop Header: Depth=3
                                        ;         Child Loop BB6_1150 Depth 4
                                        ;         Child Loop BB6_1178 Depth 4
	;; [unrolled: 1-line block ×9, first 2 shown]
                                        ;           Child Loop BB6_1232 Depth 5
                                        ;         Child Loop BB6_1239 Depth 4
                                        ;         Child Loop BB6_1244 Depth 4
                                        ;           Child Loop BB6_1245 Depth 5
                                        ;         Child Loop BB6_1281 Depth 4
                                        ;         Child Loop BB6_1300 Depth 4
	s_and_saveexec_b64 s[26:27], s[4:5]
	s_cbranch_execz .LBB6_1144
; %bb.1143:                             ;   in Loop: Header=BB6_1142 Depth=3
	s_trap 2
	ds_read_b128 v[8:11], v0
	v_ashrrev_i32_e32 v15, 31, v14
	v_lshlrev_b64 v[3:4], 1, v[14:15]
	s_waitcnt lgkmcnt(0)
	v_add_co_u32_e32 v0, vcc, v8, v16
	v_addc_co_u32_e32 v9, vcc, v9, v17, vcc
	v_add_co_u32_e32 v8, vcc, v0, v3
	v_addc_co_u32_e32 v9, vcc, v9, v4, vcc
	ds_write_b64 v0, v[8:9]
	v_add_co_u32_e32 v0, vcc, v10, v16
	v_addc_co_u32_e32 v8, vcc, v11, v17, vcc
	v_add_co_u32_e32 v0, vcc, v0, v3
	v_addc_co_u32_e32 v3, vcc, v8, v4, vcc
	v_cmp_ne_u64_e32 vcc, 0, v[10:11]
	v_cndmask_b32_e32 v4, 0, v3, vcc
	v_cndmask_b32_e32 v3, 0, v0, vcc
	ds_write_b64 v0, v[3:4]
.LBB6_1144:                             ;   in Loop: Header=BB6_1142 Depth=3
	s_or_b64 exec, exec, s[26:27]
	v_sub_u32_e32 v0, v24, v14
	v_min_i32_e32 v12, v12, v0
	v_and_b32_e32 v0, 12, v62
	v_cmp_ne_u32_e32 vcc, 0, v0
	s_and_saveexec_b64 s[28:29], vcc
	s_cbranch_execz .LBB6_1170
; %bb.1145:                             ;   in Loop: Header=BB6_1142 Depth=3
	v_and_b32_e32 v15, 8, v62
	s_waitcnt vmcnt(0) lgkmcnt(0)
	v_add_co_u32_e32 v8, vcc, v38, v15
	v_addc_co_u32_e32 v9, vcc, 0, v39, vcc
	v_add_co_u32_e32 v3, vcc, 2, v40
	v_addc_co_u32_e32 v4, vcc, 0, v41, vcc
	v_cmp_lt_u64_e32 vcc, v[8:9], v[3:4]
	s_and_saveexec_b64 s[40:41], vcc
	s_cbranch_execz .LBB6_1157
; %bb.1146:                             ;   in Loop: Header=BB6_1142 Depth=3
	v_and_b32_e32 v0, 64, v62
	s_mov_b32 s52, 0
	v_cmp_eq_u32_e32 vcc, 0, v0
	s_mov_b64 s[90:91], 0
                                        ; implicit-def: $sgpr92_sgpr93
                                        ; implicit-def: $sgpr94_sgpr95
                                        ; implicit-def: $sgpr30_sgpr31
	s_branch .LBB6_1150
.LBB6_1147:                             ;   in Loop: Header=BB6_1150 Depth=4
	s_waitcnt vmcnt(0) lgkmcnt(0)
	v_add_co_u32_e64 v9, s[26:27], v38, v15
	v_addc_co_u32_e64 v10, s[26:27], 0, v39, s[26:27]
	v_cmp_ge_u64_e64 s[26:27], v[9:10], v[3:4]
	s_or_b64 s[38:39], s[38:39], exec
	s_orn2_b64 s[36:37], s[26:27], exec
.LBB6_1148:                             ;   in Loop: Header=BB6_1150 Depth=4
	s_or_b64 exec, exec, s[50:51]
	s_andn2_b64 s[26:27], s[30:31], exec
	s_and_b64 s[30:31], s[38:39], exec
	s_or_b64 s[30:31], s[26:27], s[30:31]
	s_andn2_b64 s[26:27], s[94:95], exec
	s_and_b64 s[94:95], s[36:37], exec
	s_or_b64 s[94:95], s[26:27], s[94:95]
.LBB6_1149:                             ;   in Loop: Header=BB6_1150 Depth=4
	s_or_b64 exec, exec, s[34:35]
	s_and_b64 s[26:27], exec, s[94:95]
	s_or_b64 s[90:91], s[26:27], s[90:91]
	s_andn2_b64 s[26:27], s[92:93], exec
	s_and_b64 s[92:93], s[30:31], exec
	s_or_b64 s[92:93], s[26:27], s[92:93]
	s_andn2_b64 exec, exec, s[90:91]
	s_cbranch_execz .LBB6_1154
.LBB6_1150:                             ;   Parent Loop BB6_47 Depth=1
                                        ;     Parent Loop BB6_1139 Depth=2
                                        ;       Parent Loop BB6_1142 Depth=3
                                        ; =>      This Inner Loop Header: Depth=4
	s_sleep 1
	s_waitcnt vmcnt(0) lgkmcnt(0)
	flat_load_dwordx2 v[38:39], v[32:33] glc
	s_or_b64 s[30:31], s[30:31], exec
	s_or_b64 s[94:95], s[94:95], exec
                                        ; implicit-def: $vgpr8
	s_and_saveexec_b64 s[34:35], vcc
	s_cbranch_execz .LBB6_1149
; %bb.1151:                             ;   in Loop: Header=BB6_1150 Depth=4
	s_cmpk_lt_i32 s52, 0x270f
	s_cselect_b64 s[48:49], -1, 0
	s_cmpk_gt_i32 s52, 0x270e
	s_mov_b64 s[36:37], -1
	s_cbranch_scc0 .LBB6_1153
; %bb.1152:                             ;   in Loop: Header=BB6_1150 Depth=4
	s_trap 2
	ds_read_b64 v[8:9], v0
	s_andn2_b64 s[48:49], s[48:49], exec
	s_mov_b32 s52, 0
	s_mov_b64 s[38:39], 0
	s_waitcnt vmcnt(0) lgkmcnt(0)
	flat_load_dword v8, v[8:9] glc
	s_waitcnt vmcnt(0) lgkmcnt(0)
	buffer_wbinvl1_vol
	v_cmp_eq_u32_e64 s[26:27], 0, v8
	s_and_b64 s[26:27], s[26:27], exec
	s_or_b64 s[48:49], s[48:49], s[26:27]
	s_and_saveexec_b64 s[50:51], s[48:49]
	s_cbranch_execz .LBB6_1148
	s_branch .LBB6_1147
.LBB6_1153:                             ;   in Loop: Header=BB6_1150 Depth=4
	s_add_i32 s52, s52, 1
	s_mov_b64 s[38:39], -1
                                        ; implicit-def: $vgpr8
	s_and_saveexec_b64 s[50:51], s[48:49]
	s_cbranch_execz .LBB6_1148
	s_branch .LBB6_1147
.LBB6_1154:                             ;   in Loop: Header=BB6_1142 Depth=3
	s_or_b64 exec, exec, s[90:91]
	s_xor_b64 s[26:27], s[92:93], -1
	s_and_saveexec_b64 s[90:91], s[26:27]
	s_xor_b64 s[26:27], exec, s[90:91]
	s_cbranch_execz .LBB6_1156
; %bb.1155:                             ;   in Loop: Header=BB6_1142 Depth=3
	v_or_b32_e32 v62, 64, v62
	s_waitcnt lgkmcnt(0)
	ds_write_b32 v0, v8
	s_trap 2
.LBB6_1156:                             ;   in Loop: Header=BB6_1142 Depth=3
	s_or_b64 exec, exec, s[26:27]
.LBB6_1157:                             ;   in Loop: Header=BB6_1142 Depth=3
	s_or_b64 exec, exec, s[40:41]
	v_and_b32_e32 v0, 0x108, v62
	v_cmp_ne_u32_e32 vcc, s65, v0
	;;#ASMSTART
	s_wakeup
	;;#ASMEND
                                        ; implicit-def: $vgpr8_vgpr9
	s_and_saveexec_b64 s[26:27], vcc
	s_xor_b64 s[26:27], exec, s[26:27]
; %bb.1158:                             ;   in Loop: Header=BB6_1142 Depth=3
	v_and_b32_e32 v8, 7, v40
	v_mov_b32_e32 v9, v2
                                        ; implicit-def: $vgpr40_vgpr41
; %bb.1159:                             ;   in Loop: Header=BB6_1142 Depth=3
	s_andn2_saveexec_b64 s[26:27], s[26:27]
	s_cbranch_execz .LBB6_1161
; %bb.1160:                             ;   in Loop: Header=BB6_1142 Depth=3
	buffer_load_dword v18, off, s[0:3], s33 offset:60 ; 4-byte Folded Reload
	buffer_load_dword v19, off, s[0:3], s33 offset:64 ; 4-byte Folded Reload
	;; [unrolled: 1-line block ×4, first 2 shown]
	v_and_b32_e32 v8, 7, v40
	v_ashrrev_i32_e32 v13, 31, v12
	v_mov_b32_e32 v9, v2
	s_waitcnt vmcnt(0)
	v_mad_u64_u32 v[10:11], s[40:41], v8, 24, v[18:19]
	v_lshlrev_b64 v[18:19], 1, v[12:13]
	flat_store_dwordx2 v[10:11], v[18:19] offset:8
.LBB6_1161:                             ;   in Loop: Header=BB6_1142 Depth=3
	s_or_b64 exec, exec, s[26:27]
	v_and_b32_e32 v0, 0x100, v62
	v_cmp_ne_u32_e32 vcc, 0, v0
	s_mov_b64 s[26:27], -1
                                        ; implicit-def: $vgpr10_vgpr11
	s_and_saveexec_b64 s[40:41], vcc
	s_cbranch_execz .LBB6_1165
; %bb.1162:                             ;   in Loop: Header=BB6_1142 Depth=3
	buffer_load_dword v18, off, s[0:3], s33 offset:60 ; 4-byte Folded Reload
	buffer_load_dword v19, off, s[0:3], s33 offset:64 ; 4-byte Folded Reload
	;; [unrolled: 1-line block ×4, first 2 shown]
	s_waitcnt vmcnt(0)
	v_mad_u64_u32 v[18:19], s[26:27], v8, 24, v[18:19]
	v_mov_b32_e32 v0, v19
	v_mad_u64_u32 v[10:11], s[26:27], v9, 24, v[0:1]
	v_mov_b32_e32 v19, v10
	flat_load_dword v0, v[18:19]
                                        ; implicit-def: $vgpr10_vgpr11
	s_waitcnt vmcnt(0) lgkmcnt(0)
	v_cmp_ne_u32_e32 vcc, 1, v0
	v_cmp_eq_u32_e64 s[26:27], 1, v0
	s_and_saveexec_b64 s[90:91], s[26:27]
	s_cbranch_execz .LBB6_1164
; %bb.1163:                             ;   in Loop: Header=BB6_1142 Depth=3
	flat_load_dword v10, v[18:19] offset:4 glc
	s_waitcnt vmcnt(0) lgkmcnt(0)
	v_ashrrev_i32_e32 v11, 31, v10
	v_lshrrev_b64 v[10:11], 1, v[10:11]
.LBB6_1164:                             ;   in Loop: Header=BB6_1142 Depth=3
	s_or_b64 exec, exec, s[90:91]
	s_orn2_b64 s[26:27], vcc, exec
.LBB6_1165:                             ;   in Loop: Header=BB6_1142 Depth=3
	s_or_b64 exec, exec, s[40:41]
	s_and_saveexec_b64 s[40:41], s[26:27]
	s_cbranch_execz .LBB6_1167
; %bb.1166:                             ;   in Loop: Header=BB6_1142 Depth=3
	v_mul_lo_u32 v0, v9, v50
	v_mul_lo_u32 v9, v8, v45
	v_mad_u64_u32 v[10:11], s[26:27], v8, v50, 0
	v_add3_u32 v11, v11, v9, v0
.LBB6_1167:                             ;   in Loop: Header=BB6_1142 Depth=3
	s_or_b64 exec, exec, s[40:41]
	v_lshlrev_b64 v[8:9], 1, v[10:11]
	v_cmp_eq_u32_e32 vcc, 0, v15
	v_mov_b32_e32 v0, 0x88
	v_cndmask_b32_e32 v0, v46, v0, vcc
	v_add_co_u32_e32 v8, vcc, v5, v8
	v_addc_co_u32_e32 v9, vcc, v6, v9, vcc
	v_add_u32_e32 v0, v0, v0
	ds_write_b64 v0, v[8:9] offset:584
	v_and_b32_e32 v0, 0x2000, v62
	v_cmp_ne_u32_e32 vcc, 0, v0
	s_and_saveexec_b64 s[26:27], vcc
	s_cbranch_execz .LBB6_1169
; %bb.1168:                             ;   in Loop: Header=BB6_1142 Depth=3
	ds_read_b64 v[8:9], v0 offset:872
	s_waitcnt lgkmcnt(0)
	v_add_co_u32_e32 v8, vcc, 1, v8
	v_addc_co_u32_e32 v9, vcc, 0, v9, vcc
	ds_write_b64 v0, v[8:9] offset:872
.LBB6_1169:                             ;   in Loop: Header=BB6_1142 Depth=3
	s_or_b64 exec, exec, s[26:27]
	v_mov_b32_e32 v41, v4
	v_mov_b32_e32 v40, v3
.LBB6_1170:                             ;   in Loop: Header=BB6_1142 Depth=3
	s_or_b64 exec, exec, s[28:29]
	s_and_saveexec_b64 s[26:27], s[10:11]
	s_cbranch_execz .LBB6_1189
; %bb.1171:                             ;   in Loop: Header=BB6_1142 Depth=3
	s_and_saveexec_b64 s[28:29], s[60:61]
	s_xor_b64 s[28:29], exec, s[28:29]
	s_cbranch_execz .LBB6_1186
; %bb.1172:                             ;   in Loop: Header=BB6_1142 Depth=3
	s_and_saveexec_b64 s[40:41], s[16:17]
	s_cbranch_execz .LBB6_1185
; %bb.1173:                             ;   in Loop: Header=BB6_1142 Depth=3
	s_mov_b64 s[92:93], exec
	v_mbcnt_lo_u32_b32 v0, s92, 0
	v_mbcnt_hi_u32_b32 v0, s93, v0
	v_cmp_eq_u32_e32 vcc, 0, v0
	s_waitcnt vmcnt(0) lgkmcnt(0)
	buffer_wbinvl1_vol
	s_and_saveexec_b64 s[90:91], vcc
	s_cbranch_execz .LBB6_1175
; %bb.1174:                             ;   in Loop: Header=BB6_1142 Depth=3
	s_bcnt1_i32_b64 s92, s[92:93]
	v_mov_b32_e32 v3, s92
	v_mov_b32_e32 v4, v2
	ds_add_u64 v0, v[3:4]
	s_trap 2
.LBB6_1175:                             ;   in Loop: Header=BB6_1142 Depth=3
	s_or_b64 exec, exec, s[90:91]
	s_trap 2
	ds_read_b64 v[3:4], v0
	s_waitcnt lgkmcnt(0)
	v_add_co_u32_e32 v48, vcc, v48, v51
	v_addc_co_u32_e32 v49, vcc, 0, v49, vcc
	v_cmp_lt_u64_e32 vcc, v[3:4], v[48:49]
	s_and_saveexec_b64 s[90:91], vcc
	s_cbranch_execz .LBB6_1184
; %bb.1176:                             ;   in Loop: Header=BB6_1142 Depth=3
	s_mov_b32 s38, 0
	s_mov_b64 s[92:93], 0
                                        ; implicit-def: $sgpr94_sgpr95
                                        ; implicit-def: $sgpr30_sgpr31
	s_branch .LBB6_1178
.LBB6_1177:                             ;   in Loop: Header=BB6_1178 Depth=4
	s_or_b64 exec, exec, s[36:37]
	s_and_b64 vcc, exec, vcc
	s_or_b64 s[92:93], vcc, s[92:93]
	s_andn2_b64 s[94:95], s[94:95], exec
	s_and_b64 vcc, s[30:31], exec
	s_or_b64 s[94:95], s[94:95], vcc
	s_andn2_b64 exec, exec, s[92:93]
	s_cbranch_execz .LBB6_1182
.LBB6_1178:                             ;   Parent Loop BB6_47 Depth=1
                                        ;     Parent Loop BB6_1139 Depth=2
                                        ;       Parent Loop BB6_1142 Depth=3
                                        ; =>      This Inner Loop Header: Depth=4
	s_add_i32 s38, s38, 1
	s_cmpk_lg_i32 s38, 0x2710
	s_cselect_b64 s[34:35], -1, 0
	s_and_b64 vcc, exec, s[34:35]
	s_cbranch_vccz .LBB6_1180
; %bb.1179:                             ;   in Loop: Header=BB6_1178 Depth=4
	s_mov_b64 vcc, -1
	s_or_b64 s[30:31], s[30:31], exec
	s_and_saveexec_b64 s[36:37], s[34:35]
	s_cbranch_execz .LBB6_1177
	s_branch .LBB6_1181
.LBB6_1180:                             ;   in Loop: Header=BB6_1178 Depth=4
	s_trap 2
	ds_read_b64 v[3:4], v0
	s_andn2_b64 s[34:35], s[34:35], exec
	s_mov_b32 s38, 0
	s_waitcnt lgkmcnt(0)
	flat_load_dword v0, v[3:4] glc
	s_waitcnt vmcnt(0) lgkmcnt(0)
	buffer_wbinvl1_vol
	v_cmp_eq_u32_e32 vcc, 0, v0
	s_and_b64 vcc, vcc, exec
	s_or_b64 s[34:35], s[34:35], vcc
	s_mov_b64 vcc, -1
	s_or_b64 s[30:31], s[30:31], exec
	s_and_saveexec_b64 s[36:37], s[34:35]
	s_cbranch_execz .LBB6_1177
.LBB6_1181:                             ;   in Loop: Header=BB6_1178 Depth=4
	s_sleep 1
	s_trap 2
	ds_read_b64 v[3:4], v0
	s_waitcnt lgkmcnt(0)
	s_andn2_b64 s[30:31], s[30:31], exec
	v_cmp_ge_u64_e32 vcc, v[3:4], v[48:49]
	s_orn2_b64 vcc, vcc, exec
	s_branch .LBB6_1177
.LBB6_1182:                             ;   in Loop: Header=BB6_1142 Depth=3
	s_or_b64 exec, exec, s[92:93]
	s_and_saveexec_b64 s[92:93], s[94:95]
	s_xor_b64 s[92:93], exec, s[92:93]
	s_cbranch_execz .LBB6_1184
; %bb.1183:                             ;   in Loop: Header=BB6_1142 Depth=3
	ds_write_b32 v0, v60
	s_trap 2
.LBB6_1184:                             ;   in Loop: Header=BB6_1142 Depth=3
	s_or_b64 exec, exec, s[90:91]
	;;#ASMSTART
	s_wakeup
	;;#ASMEND
.LBB6_1185:                             ;   in Loop: Header=BB6_1142 Depth=3
	s_or_b64 exec, exec, s[40:41]
.LBB6_1186:                             ;   in Loop: Header=BB6_1142 Depth=3
	s_andn2_saveexec_b64 s[28:29], s[28:29]
	s_cbranch_execz .LBB6_1188
; %bb.1187:                             ;   in Loop: Header=BB6_1142 Depth=3
	s_waitcnt vmcnt(0) lgkmcnt(0)
	buffer_wbinvl1_vol
	s_barrier
.LBB6_1188:                             ;   in Loop: Header=BB6_1142 Depth=3
	s_or_b64 exec, exec, s[28:29]
.LBB6_1189:                             ;   in Loop: Header=BB6_1142 Depth=3
	s_or_b64 exec, exec, s[26:27]
	s_trap 2
	ds_read_b32 v3, v0
	v_and_b32_e32 v0, 0x4000, v62
	v_cmp_ne_u32_e32 vcc, 0, v0
	s_xor_b64 s[26:27], s[6:7], -1
	s_and_b64 s[28:29], s[26:27], vcc
	s_and_saveexec_b64 s[26:27], s[28:29]
	s_cbranch_execz .LBB6_1208
; %bb.1190:                             ;   in Loop: Header=BB6_1142 Depth=3
	s_and_saveexec_b64 s[28:29], s[60:61]
	s_xor_b64 s[28:29], exec, s[28:29]
	s_cbranch_execz .LBB6_1205
; %bb.1191:                             ;   in Loop: Header=BB6_1142 Depth=3
	s_and_saveexec_b64 s[40:41], s[16:17]
	s_cbranch_execz .LBB6_1204
; %bb.1192:                             ;   in Loop: Header=BB6_1142 Depth=3
	s_mov_b64 s[92:93], exec
	v_mbcnt_lo_u32_b32 v0, s92, 0
	v_mbcnt_hi_u32_b32 v0, s93, v0
	v_cmp_eq_u32_e32 vcc, 0, v0
	s_waitcnt vmcnt(0) lgkmcnt(0)
	buffer_wbinvl1_vol
	s_and_saveexec_b64 s[90:91], vcc
	s_cbranch_execz .LBB6_1194
; %bb.1193:                             ;   in Loop: Header=BB6_1142 Depth=3
	s_bcnt1_i32_b64 s92, s[92:93]
	v_mov_b32_e32 v8, s92
	v_mov_b32_e32 v9, v2
	ds_add_u64 v0, v[8:9]
	s_trap 2
.LBB6_1194:                             ;   in Loop: Header=BB6_1142 Depth=3
	s_or_b64 exec, exec, s[90:91]
	s_trap 2
	ds_read_b64 v[8:9], v0
	s_waitcnt lgkmcnt(0)
	v_add_co_u32_e32 v48, vcc, v48, v51
	v_addc_co_u32_e32 v49, vcc, 0, v49, vcc
	v_cmp_lt_u64_e32 vcc, v[8:9], v[48:49]
	s_and_saveexec_b64 s[90:91], vcc
	s_cbranch_execz .LBB6_1203
; %bb.1195:                             ;   in Loop: Header=BB6_1142 Depth=3
	s_mov_b32 s38, 0
	s_mov_b64 s[92:93], 0
                                        ; implicit-def: $sgpr94_sgpr95
                                        ; implicit-def: $sgpr30_sgpr31
	s_branch .LBB6_1197
.LBB6_1196:                             ;   in Loop: Header=BB6_1197 Depth=4
	s_or_b64 exec, exec, s[36:37]
	s_and_b64 vcc, exec, vcc
	s_or_b64 s[92:93], vcc, s[92:93]
	s_andn2_b64 s[94:95], s[94:95], exec
	s_and_b64 vcc, s[30:31], exec
	s_or_b64 s[94:95], s[94:95], vcc
	s_andn2_b64 exec, exec, s[92:93]
	s_cbranch_execz .LBB6_1201
.LBB6_1197:                             ;   Parent Loop BB6_47 Depth=1
                                        ;     Parent Loop BB6_1139 Depth=2
                                        ;       Parent Loop BB6_1142 Depth=3
                                        ; =>      This Inner Loop Header: Depth=4
	s_add_i32 s38, s38, 1
	s_cmpk_lg_i32 s38, 0x2710
	s_cselect_b64 s[34:35], -1, 0
	s_and_b64 vcc, exec, s[34:35]
	s_cbranch_vccz .LBB6_1199
; %bb.1198:                             ;   in Loop: Header=BB6_1197 Depth=4
	s_mov_b64 vcc, -1
	s_or_b64 s[30:31], s[30:31], exec
	s_and_saveexec_b64 s[36:37], s[34:35]
	s_cbranch_execz .LBB6_1196
	s_branch .LBB6_1200
.LBB6_1199:                             ;   in Loop: Header=BB6_1197 Depth=4
	s_trap 2
	ds_read_b64 v[8:9], v0
	s_andn2_b64 s[34:35], s[34:35], exec
	s_mov_b32 s38, 0
	s_waitcnt lgkmcnt(0)
	flat_load_dword v0, v[8:9] glc
	s_waitcnt vmcnt(0) lgkmcnt(0)
	buffer_wbinvl1_vol
	v_cmp_eq_u32_e32 vcc, 0, v0
	s_and_b64 vcc, vcc, exec
	s_or_b64 s[34:35], s[34:35], vcc
	s_mov_b64 vcc, -1
	s_or_b64 s[30:31], s[30:31], exec
	s_and_saveexec_b64 s[36:37], s[34:35]
	s_cbranch_execz .LBB6_1196
.LBB6_1200:                             ;   in Loop: Header=BB6_1197 Depth=4
	s_sleep 1
	s_trap 2
	ds_read_b64 v[8:9], v0
	s_waitcnt lgkmcnt(0)
	s_andn2_b64 s[30:31], s[30:31], exec
	v_cmp_ge_u64_e32 vcc, v[8:9], v[48:49]
	s_orn2_b64 vcc, vcc, exec
	s_branch .LBB6_1196
.LBB6_1201:                             ;   in Loop: Header=BB6_1142 Depth=3
	s_or_b64 exec, exec, s[92:93]
	s_and_saveexec_b64 s[92:93], s[94:95]
	s_xor_b64 s[92:93], exec, s[92:93]
	s_cbranch_execz .LBB6_1203
; %bb.1202:                             ;   in Loop: Header=BB6_1142 Depth=3
	ds_write_b32 v0, v60
	s_trap 2
.LBB6_1203:                             ;   in Loop: Header=BB6_1142 Depth=3
	s_or_b64 exec, exec, s[90:91]
	;;#ASMSTART
	s_wakeup
	;;#ASMEND
.LBB6_1204:                             ;   in Loop: Header=BB6_1142 Depth=3
	s_or_b64 exec, exec, s[40:41]
.LBB6_1205:                             ;   in Loop: Header=BB6_1142 Depth=3
	s_andn2_saveexec_b64 s[28:29], s[28:29]
	s_cbranch_execz .LBB6_1207
; %bb.1206:                             ;   in Loop: Header=BB6_1142 Depth=3
	s_waitcnt vmcnt(0) lgkmcnt(0)
	buffer_wbinvl1_vol
	s_barrier
.LBB6_1207:                             ;   in Loop: Header=BB6_1142 Depth=3
	s_or_b64 exec, exec, s[28:29]
.LBB6_1208:                             ;   in Loop: Header=BB6_1142 Depth=3
	s_or_b64 exec, exec, s[26:27]
	s_trap 2
	ds_read_b64 v[18:19], v0
	s_waitcnt lgkmcnt(0)
	v_cmp_eq_u64_e32 vcc, 0, v[18:19]
	s_cbranch_vccnz .LBB6_1217
; %bb.1209:                             ;   in Loop: Header=BB6_1142 Depth=3
	s_trap 2
	ds_read_b64 v[20:21], v0
	s_waitcnt lgkmcnt(0)
	v_cmp_eq_u64_e32 vcc, 0, v[20:21]
	s_cbranch_vccnz .LBB6_1217
; %bb.1210:                             ;   in Loop: Header=BB6_1142 Depth=3
	s_trap 2
	ds_read_b64 v[22:23], v0
	v_cmp_eq_u32_e32 vcc, 0, v3
	v_cndmask_b32_e32 v13, 0, v12, vcc
	v_lshlrev_b32_e32 v15, 1, v13
	s_waitcnt lgkmcnt(0)
	v_cmp_ne_u64_e32 vcc, 0, v[22:23]
	s_cbranch_vccz .LBB6_1222
; %bb.1211:                             ;   in Loop: Header=BB6_1142 Depth=3
	s_mov_b64 s[28:29], -1
	s_and_saveexec_b64 s[26:27], s[20:21]
	s_cbranch_execz .LBB6_1213
; %bb.1212:                             ;   in Loop: Header=BB6_1142 Depth=3
	ds_read_b32 v0, v0 offset:720
	s_waitcnt lgkmcnt(0)
	v_and_b32_e32 v0, 15, v0
	v_cmp_eq_u32_e32 vcc, 0, v0
	s_orn2_b64 s[28:29], vcc, exec
.LBB6_1213:                             ;   in Loop: Header=BB6_1142 Depth=3
	s_or_b64 exec, exec, s[26:27]
	s_and_saveexec_b64 s[26:27], s[22:23]
	s_cbranch_execz .LBB6_1215
; %bb.1214:                             ;   in Loop: Header=BB6_1142 Depth=3
	ds_read_b32 v0, v0 offset:784
	s_waitcnt lgkmcnt(0)
	v_and_b32_e32 v0, 15, v0
	v_cmp_eq_u32_e32 vcc, 0, v0
	s_and_b64 s[40:41], s[28:29], vcc
	s_andn2_b64 s[28:29], s[28:29], exec
	s_and_b64 s[40:41], s[40:41], exec
	s_or_b64 s[28:29], s[28:29], s[40:41]
.LBB6_1215:                             ;   in Loop: Header=BB6_1142 Depth=3
	s_or_b64 exec, exec, s[26:27]
	s_xor_b64 s[28:29], s[28:29], -1
	v_cndmask_b32_e64 v0, 0, 1, s[28:29]
	s_mov_b64 s[26:27], -1
	v_mov_b32_e32 v25, 0
	v_cmp_ne_u32_e32 vcc, 0, v0
	v_mov_b32_e32 v26, v15
	s_waitcnt vmcnt(0)
	v_mov_b32_e32 v27, v44
	s_cbranch_vccz .LBB6_1224
; %bb.1216:                             ;   in Loop: Header=BB6_1142 Depth=3
	s_and_saveexec_b64 s[40:41], s[26:27]
	s_cbranch_execnz .LBB6_1237
	s_branch .LBB6_1247
.LBB6_1217:                             ;   in Loop: Header=BB6_1142 Depth=3
	s_mov_b64 s[26:27], 0
	s_and_saveexec_b64 s[28:29], s[10:11]
	s_cbranch_execnz .LBB6_1274
.LBB6_1218:                             ;   in Loop: Header=BB6_1142 Depth=3
	s_or_b64 exec, exec, s[28:29]
                                        ; implicit-def: $vgpr3
	s_and_saveexec_b64 s[28:29], s[24:25]
	s_xor_b64 s[28:29], exec, s[28:29]
	s_cbranch_execz .LBB6_1292
.LBB6_1219:                             ;   in Loop: Header=BB6_1142 Depth=3
	v_and_b32_e32 v0, 16, v62
	v_cmp_ne_u32_e32 vcc, 0, v0
	v_and_b32_e32 v3, 16, v62
	s_and_b64 s[40:41], vcc, s[26:27]
	s_and_saveexec_b64 s[26:27], s[40:41]
	s_cbranch_execz .LBB6_1221
; %bb.1220:                             ;   in Loop: Header=BB6_1142 Depth=3
	v_mov_b32_e32 v3, 1
	s_waitcnt vmcnt(0) lgkmcnt(0)
	buffer_wbinvl1_vol
.LBB6_1221:                             ;   in Loop: Header=BB6_1142 Depth=3
	s_or_b64 exec, exec, s[26:27]
	s_andn2_saveexec_b64 s[26:27], s[28:29]
	s_cbranch_execz .LBB6_1311
	s_branch .LBB6_1293
.LBB6_1222:                             ;   in Loop: Header=BB6_1142 Depth=3
	s_cbranch_execnz .LBB6_1248
.LBB6_1223:                             ;   in Loop: Header=BB6_1142 Depth=3
	v_cmp_lt_i32_e64 s[26:27], 0, v13
	s_and_saveexec_b64 s[28:29], s[10:11]
	s_cbranch_execnz .LBB6_1274
	s_branch .LBB6_1218
.LBB6_1224:                             ;   in Loop: Header=BB6_1142 Depth=3
	v_ashrrev_i32_e32 v0, 31, v15
	v_lshrrev_b32_e32 v0, 21, v0
	v_add_u32_e32 v0, v15, v0
	v_ashrrev_i32_e32 v25, 11, v0
	buffer_load_dword v0, off, s[0:3], s33 offset:108 ; 4-byte Folded Reload
	s_waitcnt vmcnt(0)
	v_sub_u32_e32 v29, v25, v0
	v_cmp_lt_i32_e32 vcc, 0, v29
	s_and_saveexec_b64 s[26:27], vcc
	s_cbranch_execz .LBB6_1228
; %bb.1225:                             ;   in Loop: Header=BB6_1142 Depth=3
	buffer_load_dword v0, off, s[0:3], s33 offset:136 ; 4-byte Folded Reload
	s_mov_b64 s[28:29], 0
	s_waitcnt vmcnt(0)
	v_add_co_u32_e32 v3, vcc, v18, v0
	v_addc_co_u32_e32 v4, vcc, 0, v19, vcc
	v_add_co_u32_e32 v8, vcc, v20, v0
	v_addc_co_u32_e32 v9, vcc, 0, v21, vcc
	;; [unrolled: 2-line block ×3, first 2 shown]
.LBB6_1226:                             ;   Parent Loop BB6_47 Depth=1
                                        ;     Parent Loop BB6_1139 Depth=2
                                        ;       Parent Loop BB6_1142 Depth=3
                                        ; =>      This Inner Loop Header: Depth=4
	global_load_dwordx4 v[34:37], v[3:4], off glc slc
	global_load_dwordx4 v[52:55], v[3:4], off offset:1024 glc slc
	v_add_co_u32_e32 v3, vcc, v3, v59
	v_addc_co_u32_e32 v4, vcc, 0, v4, vcc
	v_sub_u32_e32 v29, v29, v51
	v_cmp_gt_i32_e32 vcc, 1, v29
	s_or_b64 s[28:29], vcc, s[28:29]
	s_waitcnt vmcnt(1)
	global_store_dwordx4 v[8:9], v[34:37], off glc slc
	s_waitcnt vmcnt(1)
	global_store_dwordx4 v[8:9], v[52:55], off offset:1024 glc slc
	global_store_dwordx4 v[10:11], v[34:37], off glc slc
	global_store_dwordx4 v[10:11], v[52:55], off offset:1024 glc slc
	v_add_co_u32_e32 v8, vcc, v8, v59
	v_addc_co_u32_e32 v9, vcc, 0, v9, vcc
	v_add_co_u32_e32 v10, vcc, v10, v59
	v_addc_co_u32_e32 v11, vcc, 0, v11, vcc
	s_andn2_b64 exec, exec, s[28:29]
	s_cbranch_execnz .LBB6_1226
; %bb.1227:                             ;   in Loop: Header=BB6_1142 Depth=3
	s_or_b64 exec, exec, s[28:29]
	buffer_load_dword v36, off, s[0:3], s33 offset:112 ; 4-byte Folded Reload
	buffer_load_dword v37, off, s[0:3], s33 offset:116 ; 4-byte Folded Reload
.LBB6_1228:                             ;   in Loop: Header=BB6_1142 Depth=3
	s_or_b64 exec, exec, s[26:27]
	v_lshlrev_b32_e32 v28, 11, v25
	v_cmp_ne_u32_e32 vcc, v15, v28
	s_mov_b64 s[26:27], 0
	v_mov_b32_e32 v25, 0
                                        ; implicit-def: $vgpr26
                                        ; implicit-def: $vgpr27
	s_and_saveexec_b64 s[90:91], vcc
	s_cbranch_execz .LBB6_1236
; %bb.1229:                             ;   in Loop: Header=BB6_1142 Depth=3
	v_lshlrev_b32_e32 v0, 6, v29
	v_sub_u32_e32 v0, v56, v0
	v_ashrrev_i32_e32 v4, 31, v0
	v_lshrrev_b32_e32 v4, 26, v4
	v_add_u32_e32 v4, v0, v4
	v_sub_u32_e32 v3, v15, v28
	v_ashrrev_i32_e32 v8, 6, v4
	v_and_b32_e32 v4, 0xffffffc0, v4
	v_sub_u32_e32 v27, v0, v4
	v_ashrrev_i32_e32 v4, 31, v3
	v_lshrrev_b32_e32 v4, 22, v4
	v_add_u32_e32 v4, v3, v4
	v_and_b32_e32 v25, 0xfffffc00, v4
	v_lshlrev_b32_e32 v0, 4, v27
	v_sub_u32_e32 v26, v3, v25
	v_lshl_add_u32 v0, v8, 10, v0
	v_ashrrev_i32_e32 v9, 10, v4
	v_cmp_lt_i32_e64 s[26:27], 15, v26
	v_sub_u32_e32 v30, v3, v0
	v_addc_co_u32_e64 v3, vcc, 0, v9, s[26:27]
	v_sub_u32_e32 v29, v3, v8
	v_cmp_lt_i32_e32 vcc, 15, v30
	s_and_saveexec_b64 s[92:93], vcc
	s_cbranch_execz .LBB6_1235
; %bb.1230:                             ;   in Loop: Header=BB6_1142 Depth=3
	v_add_u32_e32 v0, v0, v28
	v_ashrrev_i32_e32 v8, 31, v0
	v_add_co_u32_e32 v3, vcc, v0, v18
	v_addc_co_u32_e32 v4, vcc, v8, v19, vcc
	v_add_co_u32_e32 v31, vcc, v0, v20
	v_addc_co_u32_e32 v52, vcc, v8, v21, vcc
	;; [unrolled: 2-line block ×3, first 2 shown]
	s_mov_b64 s[94:95], 0
.LBB6_1231:                             ;   Parent Loop BB6_47 Depth=1
                                        ;     Parent Loop BB6_1139 Depth=2
                                        ;       Parent Loop BB6_1142 Depth=3
                                        ; =>      This Loop Header: Depth=4
                                        ;           Child Loop BB6_1232 Depth 5
	global_load_dwordx4 v[8:11], v[3:4], off glc slc
	s_mov_b64 s[30:31], -1
	s_mov_b64 s[34:35], 0
	s_waitcnt vmcnt(0)
.LBB6_1232:                             ;   Parent Loop BB6_47 Depth=1
                                        ;     Parent Loop BB6_1139 Depth=2
                                        ;       Parent Loop BB6_1142 Depth=3
                                        ;         Parent Loop BB6_1231 Depth=4
                                        ; =>        This Inner Loop Header: Depth=5
	s_cmp_eq_u32 s34, 1
	s_cselect_b64 s[28:29], -1, 0
	v_cndmask_b32_e64 v34, v31, v53, s[28:29]
	v_cndmask_b32_e64 v35, v52, v54, s[28:29]
	v_add_co_u32_e32 v0, vcc, 0x400, v34
	s_cmp_eq_u32 s34, 0
	global_store_dwordx4 v[34:35], v[8:11], off glc slc
	v_addc_co_u32_e32 v34, vcc, 0, v35, vcc
	s_cselect_b64 vcc, -1, 0
	s_and_b64 s[40:41], exec, s[30:31]
	s_mov_b64 s[34:35], 1
	v_cndmask_b32_e64 v53, v53, v0, s[28:29]
	s_mov_b64 s[30:31], 0
	v_cndmask_b32_e64 v54, v54, v34, s[28:29]
	v_cndmask_b32_e32 v52, v52, v34, vcc
	v_cndmask_b32_e32 v31, v31, v0, vcc
	s_mov_b64 vcc, s[40:41]
	s_cbranch_vccnz .LBB6_1232
; %bb.1233:                             ;   in Loop: Header=BB6_1231 Depth=4
	buffer_load_dword v8, off, s[0:3], s33 offset:88 ; 4-byte Folded Reload
	v_add_u32_e32 v0, 0xfffffc00, v43
	v_add_co_u32_e32 v31, vcc, v31, v0
	v_sub_u32_e32 v30, v30, v43
	v_sub_u32_e32 v29, v29, v51
	s_waitcnt vmcnt(0)
	v_addc_co_u32_e32 v52, vcc, v52, v8, vcc
	v_add_co_u32_e32 v53, vcc, v53, v0
	buffer_load_dword v0, off, s[0:3], s33 offset:92 ; 4-byte Folded Reload
	v_addc_co_u32_e32 v54, vcc, v54, v8, vcc
	s_waitcnt vmcnt(0)
	v_add_co_u32_e32 v3, vcc, v0, v3
	buffer_load_dword v0, off, s[0:3], s33 offset:96 ; 4-byte Folded Reload
	s_waitcnt vmcnt(0)
	v_addc_co_u32_e32 v4, vcc, v0, v4, vcc
	v_cmp_gt_i32_e32 vcc, 16, v30
	s_or_b64 s[94:95], vcc, s[94:95]
	s_andn2_b64 exec, exec, s[94:95]
	s_cbranch_execnz .LBB6_1231
; %bb.1234:                             ;   in Loop: Header=BB6_1142 Depth=3
	s_or_b64 exec, exec, s[94:95]
.LBB6_1235:                             ;   in Loop: Header=BB6_1142 Depth=3
	s_or_b64 exec, exec, s[92:93]
	v_and_b32_e32 v0, 14, v15
	v_cmp_lt_i32_e32 vcc, 0, v29
	v_sub_u32_e32 v3, v26, v0
	v_cndmask_b32_e64 v26, v26, v0, s[26:27]
	v_cndmask_b32_e32 v0, 0, v51, vcc
	v_cndmask_b32_e64 v3, 0, v3, s[26:27]
	v_sub_u32_e32 v0, v0, v29
	v_cmp_ne_u32_e32 vcc, 0, v26
	v_add3_u32 v25, v25, v28, v3
	v_lshl_add_u32 v27, v0, 6, v27
	s_and_b64 s[26:27], vcc, exec
.LBB6_1236:                             ;   in Loop: Header=BB6_1142 Depth=3
	s_or_b64 exec, exec, s[90:91]
	s_and_saveexec_b64 s[40:41], s[26:27]
	s_cbranch_execz .LBB6_1247
.LBB6_1237:                             ;   in Loop: Header=BB6_1142 Depth=3
	v_ashrrev_i32_e32 v0, 31, v27
	v_ashrrev_i32_e32 v3, 31, v26
	v_lshrrev_b32_e32 v0, 26, v0
	v_lshrrev_b32_e32 v3, 22, v3
	v_add_u32_e32 v0, v27, v0
	v_add_u32_e32 v3, v26, v3
	v_ashrrev_i32_e32 v28, 6, v0
	v_ashrrev_i32_e32 v30, 10, v3
	v_sub_u32_e32 v29, v30, v28
	v_cmp_lt_i32_e32 vcc, 0, v29
	s_and_saveexec_b64 s[26:27], vcc
	s_cbranch_execz .LBB6_1241
; %bb.1238:                             ;   in Loop: Header=BB6_1142 Depth=3
	v_and_b32_e32 v0, 0x7fffffc0, v0
	v_sub_u32_e32 v0, v27, v0
	v_lshlrev_b32_e32 v0, 1, v0
	v_lshlrev_b32_e32 v3, 10, v28
	v_add3_u32 v0, v0, v25, v3
	v_ashrrev_i32_e32 v11, 31, v0
	v_add_co_u32_e32 v3, vcc, v0, v20
	v_addc_co_u32_e32 v4, vcc, v11, v21, vcc
	v_add_co_u32_e32 v8, vcc, v0, v22
	v_addc_co_u32_e32 v9, vcc, v11, v23, vcc
	;; [unrolled: 2-line block ×4, first 2 shown]
	s_mov_b64 s[28:29], 0
.LBB6_1239:                             ;   Parent Loop BB6_47 Depth=1
                                        ;     Parent Loop BB6_1139 Depth=2
                                        ;       Parent Loop BB6_1142 Depth=3
                                        ; =>      This Inner Loop Header: Depth=4
	v_add_co_u32_e32 v34, vcc, 0xfffffc80, v10
	v_addc_co_u32_e32 v35, vcc, -1, v11, vcc
	flat_load_ushort v31, v[34:35] glc slc
	v_add_co_u32_e32 v34, vcc, 0xfffffd00, v10
	v_addc_co_u32_e32 v35, vcc, -1, v11, vcc
	flat_load_ushort v0, v[34:35] glc slc
	v_add_co_u32_e32 v34, vcc, 0xfffffd80, v10
	v_addc_co_u32_e32 v35, vcc, -1, v11, vcc
	s_waitcnt vmcnt(0)
	flat_load_ushort v36, v[34:35] glc slc
	v_add_co_u32_e32 v34, vcc, 0xfffffe00, v10
	v_addc_co_u32_e32 v35, vcc, -1, v11, vcc
	flat_load_ushort v37, v[34:35] glc slc
	v_add_co_u32_e32 v34, vcc, 0xfffffe80, v10
	v_addc_co_u32_e32 v35, vcc, -1, v11, vcc
	;; [unrolled: 3-line block ×4, first 2 shown]
	flat_load_ushort v34, v[34:35] glc slc
	s_nop 0
	flat_load_ushort v35, v[10:11] glc slc
	v_sub_u32_e32 v29, v29, v51
	s_waitcnt lgkmcnt(0)
	flat_store_short v[3:4], v31 glc slc
	flat_store_short v[3:4], v0 offset:128 glc slc
	s_waitcnt vmcnt(0)
	flat_store_short v[3:4], v36 offset:256 glc slc
	flat_store_short v[3:4], v37 offset:384 glc slc
	;; [unrolled: 1-line block ×6, first 2 shown]
	flat_store_short v[8:9], v31 glc slc
	flat_store_short v[8:9], v0 offset:128 glc slc
	flat_store_short v[8:9], v36 offset:256 glc slc
	;; [unrolled: 1-line block ×7, first 2 shown]
	v_add_co_u32_e32 v3, vcc, v3, v43
	v_addc_co_u32_e32 v4, vcc, 0, v4, vcc
	v_add_co_u32_e32 v8, vcc, v8, v43
	v_addc_co_u32_e32 v9, vcc, 0, v9, vcc
	;; [unrolled: 2-line block ×3, first 2 shown]
	v_cmp_gt_i32_e32 vcc, 1, v29
	s_or_b64 s[28:29], vcc, s[28:29]
	s_andn2_b64 exec, exec, s[28:29]
	s_cbranch_execnz .LBB6_1239
; %bb.1240:                             ;   in Loop: Header=BB6_1142 Depth=3
	s_or_b64 exec, exec, s[28:29]
	buffer_load_dword v36, off, s[0:3], s33 offset:112 ; 4-byte Folded Reload
	buffer_load_dword v37, off, s[0:3], s33 offset:116 ; 4-byte Folded Reload
.LBB6_1241:                             ;   in Loop: Header=BB6_1142 Depth=3
	s_or_b64 exec, exec, s[26:27]
	v_lshlrev_b32_e32 v0, 10, v30
	v_cmp_ne_u32_e32 vcc, v26, v0
	s_and_b64 exec, exec, vcc
	s_cbranch_execz .LBB6_1247
; %bb.1242:                             ;   in Loop: Header=BB6_1142 Depth=3
	v_lshlrev_b32_e32 v3, 6, v28
	v_sub_u32_e32 v3, v27, v3
	v_lshlrev_b32_e32 v4, 6, v29
	v_sub_u32_e32 v3, v3, v4
	v_ashrrev_i32_e32 v4, 31, v3
	v_lshrrev_b32_e32 v4, 26, v4
	v_add_u32_e32 v4, v3, v4
	v_and_b32_e32 v8, 0x7fffffc0, v4
	v_sub_u32_e32 v3, v3, v8
	v_lshlrev_b32_e32 v4, 1, v4
	v_and_b32_e32 v4, 0xffffff80, v4
	v_lshlrev_b32_e32 v3, 1, v3
	v_add3_u32 v0, v4, v3, v0
	v_sub_u32_e32 v8, v26, v0
	v_cmp_lt_i32_e32 vcc, 1, v8
	s_and_b64 exec, exec, vcc
	s_cbranch_execz .LBB6_1247
; %bb.1243:                             ;   in Loop: Header=BB6_1142 Depth=3
	v_add_u32_e32 v0, v0, v25
	v_ashrrev_i32_e32 v25, 31, v0
	v_add_co_u32_e32 v3, vcc, v0, v18
	v_addc_co_u32_e32 v4, vcc, v25, v19, vcc
	v_add_co_u32_e32 v9, vcc, v0, v20
	v_addc_co_u32_e32 v10, vcc, v25, v21, vcc
	v_add_co_u32_e32 v11, vcc, v0, v22
	v_addc_co_u32_e32 v22, vcc, v25, v23, vcc
	s_mov_b64 s[90:91], 0
.LBB6_1244:                             ;   Parent Loop BB6_47 Depth=1
                                        ;     Parent Loop BB6_1139 Depth=2
                                        ;       Parent Loop BB6_1142 Depth=3
                                        ; =>      This Loop Header: Depth=4
                                        ;           Child Loop BB6_1245 Depth 5
	flat_load_ushort v23, v[3:4] glc slc
	s_mov_b64 s[92:93], -1
	s_mov_b64 s[94:95], 0
	s_waitcnt vmcnt(0)
.LBB6_1245:                             ;   Parent Loop BB6_47 Depth=1
                                        ;     Parent Loop BB6_1139 Depth=2
                                        ;       Parent Loop BB6_1142 Depth=3
                                        ;         Parent Loop BB6_1244 Depth=4
                                        ; =>        This Inner Loop Header: Depth=5
	s_cmp_eq_u32 s94, 1
	s_cselect_b64 s[26:27], -1, 0
	v_cndmask_b32_e64 v25, v9, v11, s[26:27]
	v_cndmask_b32_e64 v26, v10, v22, s[26:27]
	v_add_co_u32_e32 v0, vcc, 0x80, v25
	s_cmp_eq_u32 s94, 0
	s_waitcnt lgkmcnt(0)
	flat_store_short v[25:26], v23 glc slc
	v_addc_co_u32_e32 v25, vcc, 0, v26, vcc
	s_cselect_b64 vcc, -1, 0
	s_and_b64 s[28:29], exec, s[92:93]
	s_mov_b64 s[94:95], 1
	v_cndmask_b32_e64 v11, v11, v0, s[26:27]
	s_mov_b64 s[92:93], 0
	v_cndmask_b32_e64 v22, v22, v25, s[26:27]
	v_cndmask_b32_e32 v10, v10, v25, vcc
	v_cndmask_b32_e32 v9, v9, v0, vcc
	s_mov_b64 vcc, s[28:29]
	s_cbranch_vccnz .LBB6_1245
; %bb.1246:                             ;   in Loop: Header=BB6_1244 Depth=4
	buffer_load_dword v23, off, s[0:3], s33 offset:76 ; 4-byte Folded Reload
	v_add_u32_e32 v0, 0xffffff80, v42
	v_add_co_u32_e32 v9, vcc, v9, v0
	v_sub_u32_e32 v8, v8, v42
	s_waitcnt vmcnt(0)
	v_addc_co_u32_e32 v10, vcc, v10, v23, vcc
	v_add_co_u32_e32 v11, vcc, v11, v0
	buffer_load_dword v0, off, s[0:3], s33 offset:80 ; 4-byte Folded Reload
	v_addc_co_u32_e32 v22, vcc, v22, v23, vcc
	v_cmp_gt_i32_e32 vcc, 2, v8
	s_or_b64 s[90:91], vcc, s[90:91]
	s_waitcnt vmcnt(0)
	v_add_co_u32_e32 v3, vcc, v0, v3
	buffer_load_dword v0, off, s[0:3], s33 offset:84 ; 4-byte Folded Reload
	s_waitcnt vmcnt(0)
	v_addc_co_u32_e32 v4, vcc, v0, v4, vcc
	s_andn2_b64 exec, exec, s[90:91]
	s_cbranch_execnz .LBB6_1244
.LBB6_1247:                             ;   in Loop: Header=BB6_1142 Depth=3
	s_or_b64 exec, exec, s[40:41]
	s_branch .LBB6_1223
.LBB6_1248:                             ;   in Loop: Header=BB6_1142 Depth=3
	s_mov_b64 s[26:27], -1
	s_and_saveexec_b64 s[28:29], s[20:21]
	s_cbranch_execz .LBB6_1250
; %bb.1249:                             ;   in Loop: Header=BB6_1142 Depth=3
	ds_read_b32 v0, v0 offset:720
	s_waitcnt lgkmcnt(0)
	v_and_b32_e32 v0, 15, v0
	v_cmp_eq_u32_e32 vcc, 0, v0
	s_orn2_b64 s[26:27], vcc, exec
.LBB6_1250:                             ;   in Loop: Header=BB6_1142 Depth=3
	s_or_b64 exec, exec, s[28:29]
	s_and_saveexec_b64 s[28:29], s[18:19]
	s_cbranch_execz .LBB6_1252
; %bb.1251:                             ;   in Loop: Header=BB6_1142 Depth=3
	ds_read_b32 v0, v0 offset:784
	s_waitcnt lgkmcnt(0)
	v_and_b32_e32 v0, 15, v0
	v_cmp_eq_u32_e32 vcc, 0, v0
	s_and_b64 s[40:41], s[26:27], vcc
	s_andn2_b64 s[26:27], s[26:27], exec
	s_and_b64 s[40:41], s[40:41], exec
	s_or_b64 s[26:27], s[26:27], s[40:41]
.LBB6_1252:                             ;   in Loop: Header=BB6_1142 Depth=3
	s_or_b64 exec, exec, s[28:29]
	s_xor_b64 s[26:27], s[26:27], -1
	v_cndmask_b32_e64 v0, 0, 1, s[26:27]
	s_mov_b64 s[40:41], -1
	v_mov_b32_e32 v10, 0
	v_cmp_ne_u32_e32 vcc, 0, v0
	s_cbranch_vccz .LBB6_1254
; %bb.1253:                             ;   in Loop: Header=BB6_1142 Depth=3
	s_waitcnt vmcnt(0)
	v_mov_b32_e32 v11, v44
	s_and_saveexec_b64 s[26:27], s[40:41]
	s_cbranch_execnz .LBB6_1265
	s_branch .LBB6_1273
.LBB6_1254:                             ;   in Loop: Header=BB6_1142 Depth=3
	v_ashrrev_i32_e32 v0, 31, v15
	v_lshrrev_b32_e32 v0, 20, v0
	v_add_u32_e32 v0, v15, v0
	v_ashrrev_i32_e32 v10, 12, v0
	buffer_load_dword v0, off, s[0:3], s33 offset:108 ; 4-byte Folded Reload
	s_waitcnt vmcnt(0)
	v_sub_u32_e32 v22, v10, v0
	v_cmp_lt_i32_e32 vcc, 0, v22
	s_and_saveexec_b64 s[26:27], vcc
	s_cbranch_execz .LBB6_1258
; %bb.1255:                             ;   in Loop: Header=BB6_1142 Depth=3
	v_mov_b32_e32 v3, v20
	v_mov_b32_e32 v8, v18
	s_mov_b64 s[28:29], 0
	v_mov_b32_e32 v4, v21
	v_mov_b32_e32 v9, v19
.LBB6_1256:                             ;   Parent Loop BB6_47 Depth=1
                                        ;     Parent Loop BB6_1139 Depth=2
                                        ;       Parent Loop BB6_1142 Depth=3
                                        ; =>      This Inner Loop Header: Depth=4
	v_add_co_u32_e32 v29, vcc, v1, v8
	v_addc_co_u32_e32 v30, vcc, 0, v9, vcc
	global_load_dwordx4 v[25:28], v[29:30], off glc slc
	global_load_dwordx4 v[52:55], v[29:30], off offset:1024 glc slc
	global_load_dwordx4 v[44:47], v[29:30], off offset:2048 glc slc
	;; [unrolled: 1-line block ×3, first 2 shown]
	v_add_co_u32_e32 v29, vcc, v1, v3
	v_addc_co_u32_e32 v30, vcc, 0, v4, vcc
	v_add_co_u32_e32 v8, vcc, v8, v7
	v_addc_co_u32_e32 v9, vcc, 0, v9, vcc
	v_add_co_u32_e32 v3, vcc, v3, v7
	v_sub_u32_e32 v22, v22, v51
	v_addc_co_u32_e32 v4, vcc, 0, v4, vcc
	v_cmp_gt_i32_e32 vcc, 1, v22
	s_or_b64 s[28:29], vcc, s[28:29]
	s_waitcnt vmcnt(0)
	global_store_dwordx4 v[29:30], v[25:28], off glc slc
	global_store_dwordx4 v[29:30], v[52:55], off offset:1024 glc slc
	global_store_dwordx4 v[29:30], v[44:47], off offset:2048 glc slc
	;; [unrolled: 1-line block ×3, first 2 shown]
	s_andn2_b64 exec, exec, s[28:29]
	s_cbranch_execnz .LBB6_1256
; %bb.1257:                             ;   in Loop: Header=BB6_1142 Depth=3
	s_or_b64 exec, exec, s[28:29]
	buffer_load_dword v44, off, s[0:3], s33 offset:152 ; 4-byte Folded Reload
	buffer_load_dword v36, off, s[0:3], s33 offset:112 ; 4-byte Folded Reload
	buffer_load_dword v37, off, s[0:3], s33 offset:116 ; 4-byte Folded Reload
	v_ashrrev_i32_e32 v45, 31, v50
	v_mov_b32_e32 v46, 0xd0
.LBB6_1258:                             ;   in Loop: Header=BB6_1142 Depth=3
	s_or_b64 exec, exec, s[26:27]
	v_lshlrev_b32_e32 v3, 12, v10
	v_cmp_ne_u32_e32 vcc, v15, v3
	s_mov_b64 s[40:41], 0
	v_mov_b32_e32 v10, 0
                                        ; implicit-def: $vgpr11
	s_and_saveexec_b64 s[28:29], vcc
	s_cbranch_execz .LBB6_1264
; %bb.1259:                             ;   in Loop: Header=BB6_1142 Depth=3
	v_lshlrev_b32_e32 v0, 6, v22
	v_sub_u32_e32 v0, v56, v0
	v_ashrrev_i32_e32 v4, 31, v0
	v_lshrrev_b32_e32 v4, 26, v4
	v_sub_u32_e32 v9, v15, v3
	v_add_u32_e32 v4, v0, v4
	v_ashrrev_i32_e32 v11, 6, v4
	v_and_b32_e32 v4, 0xffffffc0, v4
	v_ashrrev_i32_e32 v8, 31, v9
	v_sub_u32_e32 v4, v0, v4
	v_lshrrev_b32_e32 v8, 22, v8
	v_lshlrev_b32_e32 v0, 4, v4
	v_add_u32_e32 v8, v9, v8
	v_lshl_add_u32 v0, v11, 10, v0
	v_ashrrev_i32_e32 v22, 10, v8
	v_and_b32_e32 v8, 0xfffffc00, v8
	v_sub_u32_e32 v10, v9, v0
	v_sub_u32_e32 v9, v9, v8
	v_cmp_lt_i32_e32 vcc, 15, v9
	v_addc_co_u32_e64 v22, s[26:27], 0, v22, vcc
	v_sub_u32_e32 v11, v22, v11
	v_cmp_lt_i32_e64 s[26:27], 15, v10
	s_and_saveexec_b64 s[40:41], s[26:27]
	s_cbranch_execz .LBB6_1263
; %bb.1260:                             ;   in Loop: Header=BB6_1142 Depth=3
	v_add_u32_e32 v22, v0, v3
	v_ashrrev_i32_e32 v23, 31, v22
	s_mov_b64 s[90:91], 0
.LBB6_1261:                             ;   Parent Loop BB6_47 Depth=1
                                        ;     Parent Loop BB6_1139 Depth=2
                                        ;       Parent Loop BB6_1142 Depth=3
                                        ; =>      This Inner Loop Header: Depth=4
	v_add_co_u32_e64 v25, s[26:27], v18, v22
	v_addc_co_u32_e64 v26, s[26:27], v19, v23, s[26:27]
	global_load_dwordx4 v[25:28], v[25:26], off glc slc
	v_add_co_u32_e64 v29, s[26:27], v20, v22
	v_addc_co_u32_e64 v30, s[26:27], v21, v23, s[26:27]
	v_add_co_u32_e64 v22, s[26:27], v22, v43
	v_sub_u32_e32 v10, v10, v43
	v_addc_co_u32_e64 v23, s[26:27], 0, v23, s[26:27]
	v_cmp_gt_i32_e64 s[26:27], 16, v10
	v_sub_u32_e32 v11, v11, v51
	s_or_b64 s[90:91], s[26:27], s[90:91]
	s_waitcnt vmcnt(0)
	global_store_dwordx4 v[29:30], v[25:28], off glc slc
	s_andn2_b64 exec, exec, s[90:91]
	s_cbranch_execnz .LBB6_1261
; %bb.1262:                             ;   in Loop: Header=BB6_1142 Depth=3
	s_or_b64 exec, exec, s[90:91]
.LBB6_1263:                             ;   in Loop: Header=BB6_1142 Depth=3
	s_or_b64 exec, exec, s[40:41]
	v_and_b32_e32 v0, 14, v15
	v_sub_u32_e32 v10, v9, v0
	v_cndmask_b32_e32 v10, 0, v10, vcc
	v_cndmask_b32_e32 v15, v9, v0, vcc
	v_cmp_lt_i32_e32 vcc, 0, v11
	v_cndmask_b32_e32 v0, 0, v51, vcc
	v_sub_u32_e32 v0, v0, v11
	v_cmp_ne_u32_e32 vcc, 0, v15
	v_add3_u32 v10, v8, v3, v10
	v_lshl_add_u32 v11, v0, 6, v4
	s_and_b64 s[40:41], vcc, exec
.LBB6_1264:                             ;   in Loop: Header=BB6_1142 Depth=3
	s_or_b64 exec, exec, s[28:29]
	s_and_saveexec_b64 s[26:27], s[40:41]
	s_cbranch_execz .LBB6_1273
.LBB6_1265:                             ;   in Loop: Header=BB6_1142 Depth=3
	v_ashrrev_i32_e32 v0, 31, v11
	v_ashrrev_i32_e32 v3, 31, v15
	v_lshrrev_b32_e32 v0, 26, v0
	v_lshrrev_b32_e32 v3, 22, v3
	v_add_u32_e32 v0, v11, v0
	v_add_u32_e32 v3, v15, v3
	v_ashrrev_i32_e32 v22, 6, v0
	v_ashrrev_i32_e32 v25, 10, v3
	v_sub_u32_e32 v23, v25, v22
	v_cmp_lt_i32_e32 vcc, 0, v23
	s_and_saveexec_b64 s[28:29], vcc
	s_cbranch_execz .LBB6_1269
; %bb.1266:                             ;   in Loop: Header=BB6_1142 Depth=3
	v_and_b32_e32 v0, 0x7fffffc0, v0
	v_sub_u32_e32 v0, v11, v0
	v_lshlrev_b32_e32 v0, 1, v0
	v_lshlrev_b32_e32 v3, 10, v22
	v_add3_u32 v26, v0, v10, v3
	v_mov_b32_e32 v3, v20
	v_mov_b32_e32 v8, v18
	v_ashrrev_i32_e32 v27, 31, v26
	s_mov_b64 s[40:41], 0
	v_mov_b32_e32 v4, v21
	v_mov_b32_e32 v9, v19
.LBB6_1267:                             ;   Parent Loop BB6_47 Depth=1
                                        ;     Parent Loop BB6_1139 Depth=2
                                        ;       Parent Loop BB6_1142 Depth=3
                                        ; =>      This Inner Loop Header: Depth=4
	v_add_co_u32_e32 v28, vcc, v26, v8
	v_addc_co_u32_e32 v29, vcc, v27, v9, vcc
	flat_load_ushort v0, v[28:29] glc slc
	flat_load_ushort v30, v[28:29] offset:128 glc slc
	flat_load_ushort v31, v[28:29] offset:256 glc slc
	;; [unrolled: 1-line block ×4, first 2 shown]
	s_waitcnt vmcnt(0)
	flat_load_ushort v36, v[28:29] offset:640 glc slc
	flat_load_ushort v37, v[28:29] offset:768 glc slc
	flat_load_ushort v52, v[28:29] offset:896 glc slc
	v_add_co_u32_e32 v28, vcc, v26, v3
	v_addc_co_u32_e32 v29, vcc, v27, v4, vcc
	v_add_co_u32_e32 v8, vcc, v8, v43
	v_addc_co_u32_e32 v9, vcc, 0, v9, vcc
	v_add_co_u32_e32 v3, vcc, v3, v43
	v_sub_u32_e32 v23, v23, v51
	v_addc_co_u32_e32 v4, vcc, 0, v4, vcc
	v_cmp_gt_i32_e32 vcc, 1, v23
	s_or_b64 s[40:41], vcc, s[40:41]
	s_waitcnt lgkmcnt(0)
	flat_store_short v[28:29], v0 glc slc
	flat_store_short v[28:29], v30 offset:128 glc slc
	flat_store_short v[28:29], v31 offset:256 glc slc
	;; [unrolled: 1-line block ×4, first 2 shown]
	s_waitcnt vmcnt(0)
	flat_store_short v[28:29], v36 offset:640 glc slc
	flat_store_short v[28:29], v37 offset:768 glc slc
	flat_store_short v[28:29], v52 offset:896 glc slc
	s_andn2_b64 exec, exec, s[40:41]
	s_cbranch_execnz .LBB6_1267
; %bb.1268:                             ;   in Loop: Header=BB6_1142 Depth=3
	s_or_b64 exec, exec, s[40:41]
	buffer_load_dword v36, off, s[0:3], s33 offset:112 ; 4-byte Folded Reload
	buffer_load_dword v37, off, s[0:3], s33 offset:116 ; 4-byte Folded Reload
.LBB6_1269:                             ;   in Loop: Header=BB6_1142 Depth=3
	s_or_b64 exec, exec, s[28:29]
	v_lshlrev_b32_e32 v0, 10, v25
	v_cmp_ne_u32_e32 vcc, v15, v0
	s_and_b64 exec, exec, vcc
	s_cbranch_execz .LBB6_1273
; %bb.1270:                             ;   in Loop: Header=BB6_1142 Depth=3
	v_lshlrev_b32_e32 v3, 6, v22
	v_sub_u32_e32 v3, v11, v3
	v_lshlrev_b32_e32 v4, 6, v23
	v_sub_u32_e32 v3, v3, v4
	v_ashrrev_i32_e32 v4, 31, v3
	v_lshrrev_b32_e32 v4, 26, v4
	v_add_u32_e32 v4, v3, v4
	v_and_b32_e32 v8, 0x7fffffc0, v4
	v_sub_u32_e32 v3, v3, v8
	v_lshlrev_b32_e32 v4, 1, v4
	v_and_b32_e32 v4, 0xffffff80, v4
	v_lshlrev_b32_e32 v3, 1, v3
	v_add3_u32 v0, v4, v3, v0
	v_sub_u32_e32 v3, v15, v0
	v_cmp_lt_i32_e32 vcc, 1, v3
	s_and_b64 exec, exec, vcc
	s_cbranch_execz .LBB6_1273
; %bb.1271:                             ;   in Loop: Header=BB6_1142 Depth=3
	v_add_u32_e32 v4, v0, v10
	v_ashrrev_i32_e32 v8, 31, v4
	s_mov_b64 s[28:29], 0
.LBB6_1272:                             ;   Parent Loop BB6_47 Depth=1
                                        ;     Parent Loop BB6_1139 Depth=2
                                        ;       Parent Loop BB6_1142 Depth=3
                                        ; =>      This Inner Loop Header: Depth=4
	v_add_co_u32_e32 v9, vcc, v18, v4
	v_addc_co_u32_e32 v10, vcc, v19, v8, vcc
	flat_load_ushort v0, v[9:10] glc slc
	v_add_co_u32_e32 v9, vcc, v20, v4
	v_addc_co_u32_e32 v10, vcc, v21, v8, vcc
	v_add_co_u32_e32 v4, vcc, v4, v42
	v_sub_u32_e32 v3, v3, v42
	v_addc_co_u32_e32 v8, vcc, 0, v8, vcc
	v_cmp_gt_i32_e32 vcc, 2, v3
	s_or_b64 s[28:29], vcc, s[28:29]
	s_waitcnt vmcnt(0) lgkmcnt(0)
	flat_store_short v[9:10], v0 glc slc
	s_andn2_b64 exec, exec, s[28:29]
	s_cbranch_execnz .LBB6_1272
.LBB6_1273:                             ;   in Loop: Header=BB6_1142 Depth=3
	s_or_b64 exec, exec, s[26:27]
	v_cmp_lt_i32_e64 s[26:27], 0, v13
	s_and_saveexec_b64 s[28:29], s[10:11]
	s_cbranch_execz .LBB6_1218
.LBB6_1274:                             ;   in Loop: Header=BB6_1142 Depth=3
	s_and_saveexec_b64 s[40:41], s[60:61]
	s_xor_b64 s[40:41], exec, s[40:41]
	s_cbranch_execz .LBB6_1289
; %bb.1275:                             ;   in Loop: Header=BB6_1142 Depth=3
	s_and_saveexec_b64 s[90:91], s[16:17]
	s_cbranch_execz .LBB6_1288
; %bb.1276:                             ;   in Loop: Header=BB6_1142 Depth=3
	s_mov_b64 s[94:95], exec
	v_mbcnt_lo_u32_b32 v0, s94, 0
	v_mbcnt_hi_u32_b32 v0, s95, v0
	v_cmp_eq_u32_e32 vcc, 0, v0
	s_waitcnt vmcnt(0) lgkmcnt(0)
	buffer_wbinvl1_vol
	s_and_saveexec_b64 s[92:93], vcc
	s_cbranch_execz .LBB6_1278
; %bb.1277:                             ;   in Loop: Header=BB6_1142 Depth=3
	s_bcnt1_i32_b64 s94, s[94:95]
	v_mov_b32_e32 v3, s94
	v_mov_b32_e32 v4, v2
	ds_add_u64 v0, v[3:4]
	s_trap 2
.LBB6_1278:                             ;   in Loop: Header=BB6_1142 Depth=3
	s_or_b64 exec, exec, s[92:93]
	s_trap 2
	ds_read_b64 v[3:4], v0
	s_waitcnt lgkmcnt(0)
	v_add_co_u32_e32 v48, vcc, v48, v51
	v_addc_co_u32_e32 v49, vcc, 0, v49, vcc
	v_cmp_lt_u64_e32 vcc, v[3:4], v[48:49]
	s_and_saveexec_b64 s[92:93], vcc
	s_cbranch_execz .LBB6_1287
; %bb.1279:                             ;   in Loop: Header=BB6_1142 Depth=3
	s_mov_b32 s48, 0
	s_mov_b64 s[94:95], 0
                                        ; implicit-def: $sgpr30_sgpr31
                                        ; implicit-def: $sgpr34_sgpr35
	s_branch .LBB6_1281
.LBB6_1280:                             ;   in Loop: Header=BB6_1281 Depth=4
	s_or_b64 exec, exec, s[38:39]
	s_and_b64 vcc, exec, vcc
	s_or_b64 s[94:95], vcc, s[94:95]
	s_andn2_b64 vcc, s[30:31], exec
	s_and_b64 s[30:31], s[34:35], exec
	s_or_b64 s[30:31], vcc, s[30:31]
	s_andn2_b64 exec, exec, s[94:95]
	s_cbranch_execz .LBB6_1285
.LBB6_1281:                             ;   Parent Loop BB6_47 Depth=1
                                        ;     Parent Loop BB6_1139 Depth=2
                                        ;       Parent Loop BB6_1142 Depth=3
                                        ; =>      This Inner Loop Header: Depth=4
	s_add_i32 s48, s48, 1
	s_cmpk_lg_i32 s48, 0x2710
	s_cselect_b64 s[36:37], -1, 0
	s_and_b64 vcc, exec, s[36:37]
	s_cbranch_vccz .LBB6_1283
; %bb.1282:                             ;   in Loop: Header=BB6_1281 Depth=4
	s_mov_b64 vcc, -1
	s_or_b64 s[34:35], s[34:35], exec
	s_and_saveexec_b64 s[38:39], s[36:37]
	s_cbranch_execz .LBB6_1280
	s_branch .LBB6_1284
.LBB6_1283:                             ;   in Loop: Header=BB6_1281 Depth=4
	s_trap 2
	ds_read_b64 v[3:4], v0
	s_andn2_b64 s[36:37], s[36:37], exec
	s_mov_b32 s48, 0
	s_waitcnt lgkmcnt(0)
	flat_load_dword v0, v[3:4] glc
	s_waitcnt vmcnt(0) lgkmcnt(0)
	buffer_wbinvl1_vol
	v_cmp_eq_u32_e32 vcc, 0, v0
	s_and_b64 vcc, vcc, exec
	s_or_b64 s[36:37], s[36:37], vcc
	s_mov_b64 vcc, -1
	s_or_b64 s[34:35], s[34:35], exec
	s_and_saveexec_b64 s[38:39], s[36:37]
	s_cbranch_execz .LBB6_1280
.LBB6_1284:                             ;   in Loop: Header=BB6_1281 Depth=4
	s_sleep 1
	s_trap 2
	ds_read_b64 v[3:4], v0
	s_waitcnt lgkmcnt(0)
	s_andn2_b64 s[34:35], s[34:35], exec
	v_cmp_ge_u64_e32 vcc, v[3:4], v[48:49]
	s_orn2_b64 vcc, vcc, exec
	s_branch .LBB6_1280
.LBB6_1285:                             ;   in Loop: Header=BB6_1142 Depth=3
	s_or_b64 exec, exec, s[94:95]
	s_and_saveexec_b64 s[94:95], s[30:31]
	s_xor_b64 s[94:95], exec, s[94:95]
	s_cbranch_execz .LBB6_1287
; %bb.1286:                             ;   in Loop: Header=BB6_1142 Depth=3
	ds_write_b32 v0, v60
	s_trap 2
.LBB6_1287:                             ;   in Loop: Header=BB6_1142 Depth=3
	s_or_b64 exec, exec, s[92:93]
	;;#ASMSTART
	s_wakeup
	;;#ASMEND
.LBB6_1288:                             ;   in Loop: Header=BB6_1142 Depth=3
	s_or_b64 exec, exec, s[90:91]
.LBB6_1289:                             ;   in Loop: Header=BB6_1142 Depth=3
	s_andn2_saveexec_b64 s[40:41], s[40:41]
	s_cbranch_execz .LBB6_1291
; %bb.1290:                             ;   in Loop: Header=BB6_1142 Depth=3
	s_waitcnt vmcnt(0) lgkmcnt(0)
	buffer_wbinvl1_vol
	s_barrier
.LBB6_1291:                             ;   in Loop: Header=BB6_1142 Depth=3
	s_or_b64 exec, exec, s[40:41]
	s_or_b64 exec, exec, s[28:29]
                                        ; implicit-def: $vgpr3
	s_and_saveexec_b64 s[28:29], s[24:25]
	s_xor_b64 s[28:29], exec, s[28:29]
	s_cbranch_execnz .LBB6_1219
.LBB6_1292:                             ;   in Loop: Header=BB6_1142 Depth=3
	s_andn2_saveexec_b64 s[26:27], s[28:29]
	s_cbranch_execz .LBB6_1311
.LBB6_1293:                             ;   in Loop: Header=BB6_1142 Depth=3
	s_and_saveexec_b64 s[28:29], s[60:61]
	s_xor_b64 s[28:29], exec, s[28:29]
	s_cbranch_execz .LBB6_1308
; %bb.1294:                             ;   in Loop: Header=BB6_1142 Depth=3
	s_and_saveexec_b64 s[40:41], s[16:17]
	s_cbranch_execz .LBB6_1307
; %bb.1295:                             ;   in Loop: Header=BB6_1142 Depth=3
	s_mov_b64 s[92:93], exec
	v_mbcnt_lo_u32_b32 v0, s92, 0
	v_mbcnt_hi_u32_b32 v0, s93, v0
	v_cmp_eq_u32_e32 vcc, 0, v0
	;;#ASMSTART
	s_waitcnt lgkmcnt(0) vmcnt(0)
	;;#ASMEND
	s_and_saveexec_b64 s[90:91], vcc
	s_cbranch_execz .LBB6_1297
; %bb.1296:                             ;   in Loop: Header=BB6_1142 Depth=3
	s_bcnt1_i32_b64 s92, s[92:93]
	v_mov_b32_e32 v3, s92
	v_mov_b32_e32 v4, v2
	s_waitcnt lgkmcnt(0)
	ds_add_u64 v0, v[3:4]
	s_trap 2
.LBB6_1297:                             ;   in Loop: Header=BB6_1142 Depth=3
	s_or_b64 exec, exec, s[90:91]
	s_trap 2
	ds_read_b64 v[3:4], v0
	s_waitcnt lgkmcnt(0)
	v_add_co_u32_e32 v48, vcc, v48, v51
	v_addc_co_u32_e32 v49, vcc, 0, v49, vcc
	v_cmp_lt_u64_e32 vcc, v[3:4], v[48:49]
	s_and_saveexec_b64 s[90:91], vcc
	s_cbranch_execz .LBB6_1306
; %bb.1298:                             ;   in Loop: Header=BB6_1142 Depth=3
	s_mov_b32 s38, 0
	s_mov_b64 s[92:93], 0
                                        ; implicit-def: $sgpr94_sgpr95
                                        ; implicit-def: $sgpr30_sgpr31
	s_branch .LBB6_1300
.LBB6_1299:                             ;   in Loop: Header=BB6_1300 Depth=4
	s_or_b64 exec, exec, s[36:37]
	s_and_b64 vcc, exec, vcc
	s_or_b64 s[92:93], vcc, s[92:93]
	s_andn2_b64 s[94:95], s[94:95], exec
	s_and_b64 vcc, s[30:31], exec
	s_or_b64 s[94:95], s[94:95], vcc
	s_andn2_b64 exec, exec, s[92:93]
	s_cbranch_execz .LBB6_1304
.LBB6_1300:                             ;   Parent Loop BB6_47 Depth=1
                                        ;     Parent Loop BB6_1139 Depth=2
                                        ;       Parent Loop BB6_1142 Depth=3
                                        ; =>      This Inner Loop Header: Depth=4
	s_add_i32 s38, s38, 1
	s_cmpk_lg_i32 s38, 0x2710
	s_cselect_b64 s[34:35], -1, 0
	s_and_b64 vcc, exec, s[34:35]
	s_cbranch_vccz .LBB6_1302
; %bb.1301:                             ;   in Loop: Header=BB6_1300 Depth=4
	s_mov_b64 vcc, -1
	s_or_b64 s[30:31], s[30:31], exec
	s_and_saveexec_b64 s[36:37], s[34:35]
	s_cbranch_execz .LBB6_1299
	s_branch .LBB6_1303
.LBB6_1302:                             ;   in Loop: Header=BB6_1300 Depth=4
	s_trap 2
	ds_read_b64 v[3:4], v0
	s_andn2_b64 s[34:35], s[34:35], exec
	s_mov_b32 s38, 0
	s_waitcnt vmcnt(0) lgkmcnt(0)
	flat_load_dword v0, v[3:4] glc
	s_waitcnt vmcnt(0) lgkmcnt(0)
	buffer_wbinvl1_vol
	v_cmp_eq_u32_e32 vcc, 0, v0
	s_and_b64 vcc, vcc, exec
	s_or_b64 s[34:35], s[34:35], vcc
	s_mov_b64 vcc, -1
	s_or_b64 s[30:31], s[30:31], exec
	s_and_saveexec_b64 s[36:37], s[34:35]
	s_cbranch_execz .LBB6_1299
.LBB6_1303:                             ;   in Loop: Header=BB6_1300 Depth=4
	s_sleep 1
	s_trap 2
	ds_read_b64 v[3:4], v0
	s_waitcnt lgkmcnt(0)
	s_andn2_b64 s[30:31], s[30:31], exec
	v_cmp_ge_u64_e32 vcc, v[3:4], v[48:49]
	s_orn2_b64 vcc, vcc, exec
	s_branch .LBB6_1299
.LBB6_1304:                             ;   in Loop: Header=BB6_1142 Depth=3
	s_or_b64 exec, exec, s[92:93]
	s_and_saveexec_b64 s[92:93], s[94:95]
	s_xor_b64 s[92:93], exec, s[92:93]
	s_cbranch_execz .LBB6_1306
; %bb.1305:                             ;   in Loop: Header=BB6_1142 Depth=3
	ds_write_b32 v0, v60
	s_trap 2
.LBB6_1306:                             ;   in Loop: Header=BB6_1142 Depth=3
	s_or_b64 exec, exec, s[90:91]
	;;#ASMSTART
	s_wakeup
	;;#ASMEND
.LBB6_1307:                             ;   in Loop: Header=BB6_1142 Depth=3
	s_or_b64 exec, exec, s[40:41]
.LBB6_1308:                             ;   in Loop: Header=BB6_1142 Depth=3
	s_andn2_saveexec_b64 s[28:29], s[28:29]
	s_cbranch_execz .LBB6_1310
; %bb.1309:                             ;   in Loop: Header=BB6_1142 Depth=3
	;;#ASMSTART
	s_waitcnt lgkmcnt(0) vmcnt(0)
	;;#ASMEND
	s_waitcnt vmcnt(0) lgkmcnt(0)
	s_barrier
.LBB6_1310:                             ;   in Loop: Header=BB6_1142 Depth=3
	s_or_b64 exec, exec, s[28:29]
	v_and_b32_e32 v3, 16, v62
.LBB6_1311:                             ;   in Loop: Header=BB6_1142 Depth=3
	s_or_b64 exec, exec, s[26:27]
	v_cmp_ne_u32_e32 vcc, 0, v3
	s_xor_b64 s[26:27], s[12:13], -1
	s_and_b64 s[28:29], vcc, s[26:27]
	s_and_saveexec_b64 s[26:27], s[28:29]
	s_cbranch_execz .LBB6_1313
; %bb.1312:                             ;   in Loop: Header=BB6_1142 Depth=3
	s_waitcnt vmcnt(0)
	flat_store_dword v[36:37], v60
.LBB6_1313:                             ;   in Loop: Header=BB6_1142 Depth=3
	s_or_b64 exec, exec, s[26:27]
	v_and_b32_e32 v0, 48, v62
	v_cmp_ne_u32_e32 vcc, 0, v0
	s_and_saveexec_b64 s[26:27], vcc
	s_cbranch_execz .LBB6_1141
; %bb.1314:                             ;   in Loop: Header=BB6_1142 Depth=3
	v_add_co_u32_e32 v40, vcc, 2, v40
	v_addc_co_u32_e32 v41, vcc, 0, v41, vcc
	flat_store_dwordx2 v[32:33], v[40:41]
	s_branch .LBB6_1141
.LBB6_1315:                             ;   in Loop: Header=BB6_1139 Depth=2
	s_or_b64 exec, exec, s[42:43]
	v_cmp_gt_i32_e32 vcc, 2, v8
	s_and_saveexec_b64 s[28:29], vcc
	s_cbranch_execz .LBB6_1391
.LBB6_1316:                             ;   in Loop: Header=BB6_1139 Depth=2
	v_cmp_eq_u32_e64 s[42:43], 0, v8
	s_mov_b64 s[40:41], 0
	s_branch .LBB6_1318
.LBB6_1317:                             ;   in Loop: Header=BB6_1318 Depth=3
	s_or_b64 exec, exec, s[26:27]
	v_add_u32_e32 v14, v12, v14
	s_mov_b64 s[42:43], 0
	s_andn2_b64 exec, exec, s[40:41]
	s_cbranch_execz .LBB6_1392
.LBB6_1318:                             ;   Parent Loop BB6_47 Depth=1
                                        ;     Parent Loop BB6_1139 Depth=2
                                        ; =>    This Loop Header: Depth=3
                                        ;         Child Loop BB6_1324 Depth 4
                                        ;         Child Loop BB6_1352 Depth 4
	;; [unrolled: 1-line block ×3, first 2 shown]
	v_sub_u32_e32 v0, v24, v14
	v_min_i32_e32 v12, v12, v0
	v_and_b32_e32 v0, 12, v62
	v_cmp_ne_u32_e32 vcc, 0, v0
	s_and_saveexec_b64 s[44:45], vcc
	s_cbranch_execz .LBB6_1344
; %bb.1319:                             ;   in Loop: Header=BB6_1318 Depth=3
	v_and_b32_e32 v17, 8, v62
	s_waitcnt vmcnt(0) lgkmcnt(0)
	v_add_co_u32_e32 v8, vcc, v38, v17
	v_addc_co_u32_e32 v9, vcc, 0, v39, vcc
	v_add_co_u32_e32 v3, vcc, 2, v40
	v_addc_co_u32_e32 v4, vcc, 0, v41, vcc
	v_cmp_lt_u64_e32 vcc, v[8:9], v[3:4]
	s_and_saveexec_b64 s[88:89], vcc
	s_cbranch_execz .LBB6_1331
; %bb.1320:                             ;   in Loop: Header=BB6_1318 Depth=3
	v_and_b32_e32 v0, 64, v62
	s_mov_b32 s79, 0
	v_cmp_eq_u32_e32 vcc, 0, v0
	s_mov_b64 s[90:91], 0
                                        ; implicit-def: $sgpr92_sgpr93
                                        ; implicit-def: $sgpr94_sgpr95
                                        ; implicit-def: $sgpr30_sgpr31
	s_branch .LBB6_1324
.LBB6_1321:                             ;   in Loop: Header=BB6_1324 Depth=4
	s_waitcnt vmcnt(0) lgkmcnt(0)
	v_add_co_u32_e64 v9, s[26:27], v38, v17
	v_addc_co_u32_e64 v10, s[26:27], 0, v39, s[26:27]
	v_cmp_ge_u64_e64 s[26:27], v[9:10], v[3:4]
	s_or_b64 s[38:39], s[38:39], exec
	s_orn2_b64 s[36:37], s[26:27], exec
.LBB6_1322:                             ;   in Loop: Header=BB6_1324 Depth=4
	s_or_b64 exec, exec, s[50:51]
	s_andn2_b64 s[26:27], s[30:31], exec
	s_and_b64 s[30:31], s[38:39], exec
	s_or_b64 s[30:31], s[26:27], s[30:31]
	s_andn2_b64 s[26:27], s[94:95], exec
	s_and_b64 s[94:95], s[36:37], exec
	s_or_b64 s[94:95], s[26:27], s[94:95]
.LBB6_1323:                             ;   in Loop: Header=BB6_1324 Depth=4
	s_or_b64 exec, exec, s[34:35]
	s_and_b64 s[26:27], exec, s[94:95]
	s_or_b64 s[90:91], s[26:27], s[90:91]
	s_andn2_b64 s[26:27], s[92:93], exec
	s_and_b64 s[92:93], s[30:31], exec
	s_or_b64 s[92:93], s[26:27], s[92:93]
	s_andn2_b64 exec, exec, s[90:91]
	s_cbranch_execz .LBB6_1328
.LBB6_1324:                             ;   Parent Loop BB6_47 Depth=1
                                        ;     Parent Loop BB6_1139 Depth=2
                                        ;       Parent Loop BB6_1318 Depth=3
                                        ; =>      This Inner Loop Header: Depth=4
	s_sleep 1
	s_waitcnt vmcnt(0) lgkmcnt(0)
	flat_load_dwordx2 v[38:39], v[32:33] glc
	s_or_b64 s[30:31], s[30:31], exec
	s_or_b64 s[94:95], s[94:95], exec
                                        ; implicit-def: $vgpr8
	s_and_saveexec_b64 s[34:35], vcc
	s_cbranch_execz .LBB6_1323
; %bb.1325:                             ;   in Loop: Header=BB6_1324 Depth=4
	s_cmpk_lt_i32 s79, 0x270f
	s_cselect_b64 s[48:49], -1, 0
	s_cmpk_gt_i32 s79, 0x270e
	s_mov_b64 s[36:37], -1
	s_cbranch_scc0 .LBB6_1327
; %bb.1326:                             ;   in Loop: Header=BB6_1324 Depth=4
	s_trap 2
	ds_read_b64 v[8:9], v0
	s_andn2_b64 s[48:49], s[48:49], exec
	s_mov_b32 s79, 0
	s_mov_b64 s[38:39], 0
	s_waitcnt vmcnt(0) lgkmcnt(0)
	flat_load_dword v8, v[8:9] glc
	s_waitcnt vmcnt(0) lgkmcnt(0)
	buffer_wbinvl1_vol
	v_cmp_eq_u32_e64 s[26:27], 0, v8
	s_and_b64 s[26:27], s[26:27], exec
	s_or_b64 s[48:49], s[48:49], s[26:27]
	s_and_saveexec_b64 s[50:51], s[48:49]
	s_cbranch_execz .LBB6_1322
	s_branch .LBB6_1321
.LBB6_1327:                             ;   in Loop: Header=BB6_1324 Depth=4
	s_add_i32 s79, s79, 1
	s_mov_b64 s[38:39], -1
                                        ; implicit-def: $vgpr8
	s_and_saveexec_b64 s[50:51], s[48:49]
	s_cbranch_execz .LBB6_1322
	s_branch .LBB6_1321
.LBB6_1328:                             ;   in Loop: Header=BB6_1318 Depth=3
	s_or_b64 exec, exec, s[90:91]
	s_xor_b64 s[26:27], s[92:93], -1
	s_and_saveexec_b64 s[90:91], s[26:27]
	s_xor_b64 s[26:27], exec, s[90:91]
	s_cbranch_execz .LBB6_1330
; %bb.1329:                             ;   in Loop: Header=BB6_1318 Depth=3
	v_or_b32_e32 v62, 64, v62
	s_waitcnt lgkmcnt(0)
	ds_write_b32 v0, v8
	s_trap 2
.LBB6_1330:                             ;   in Loop: Header=BB6_1318 Depth=3
	s_or_b64 exec, exec, s[26:27]
.LBB6_1331:                             ;   in Loop: Header=BB6_1318 Depth=3
	s_or_b64 exec, exec, s[88:89]
	v_and_b32_e32 v0, 0x108, v62
	v_cmp_ne_u32_e32 vcc, s65, v0
	;;#ASMSTART
	s_wakeup
	;;#ASMEND
                                        ; implicit-def: $vgpr8_vgpr9
	s_and_saveexec_b64 s[26:27], vcc
	s_xor_b64 s[26:27], exec, s[26:27]
; %bb.1332:                             ;   in Loop: Header=BB6_1318 Depth=3
	v_and_b32_e32 v8, 7, v40
	v_mov_b32_e32 v9, v2
                                        ; implicit-def: $vgpr40_vgpr41
; %bb.1333:                             ;   in Loop: Header=BB6_1318 Depth=3
	s_andn2_saveexec_b64 s[26:27], s[26:27]
	s_cbranch_execz .LBB6_1335
; %bb.1334:                             ;   in Loop: Header=BB6_1318 Depth=3
	buffer_load_dword v18, off, s[0:3], s33 offset:60 ; 4-byte Folded Reload
	buffer_load_dword v19, off, s[0:3], s33 offset:64 ; 4-byte Folded Reload
	;; [unrolled: 1-line block ×4, first 2 shown]
	v_and_b32_e32 v8, 7, v40
	v_ashrrev_i32_e32 v13, 31, v12
	v_lshlrev_b64 v[15:16], 1, v[12:13]
	v_mov_b32_e32 v9, v2
	s_waitcnt vmcnt(0)
	v_mad_u64_u32 v[10:11], s[88:89], v8, 24, v[18:19]
	flat_store_dwordx2 v[10:11], v[15:16] offset:8
.LBB6_1335:                             ;   in Loop: Header=BB6_1318 Depth=3
	s_or_b64 exec, exec, s[26:27]
	v_and_b32_e32 v0, 0x100, v62
	v_cmp_ne_u32_e32 vcc, 0, v0
	s_mov_b64 s[26:27], -1
                                        ; implicit-def: $vgpr10_vgpr11
	s_and_saveexec_b64 s[88:89], vcc
	s_cbranch_execz .LBB6_1339
; %bb.1336:                             ;   in Loop: Header=BB6_1318 Depth=3
	buffer_load_dword v18, off, s[0:3], s33 offset:60 ; 4-byte Folded Reload
	buffer_load_dword v19, off, s[0:3], s33 offset:64 ; 4-byte Folded Reload
	;; [unrolled: 1-line block ×4, first 2 shown]
	s_waitcnt vmcnt(0)
	v_mad_u64_u32 v[15:16], s[26:27], v8, 24, v[18:19]
	v_mov_b32_e32 v0, v16
	v_mad_u64_u32 v[10:11], s[26:27], v9, 24, v[0:1]
	v_mov_b32_e32 v16, v10
	flat_load_dword v0, v[15:16]
                                        ; implicit-def: $vgpr10_vgpr11
	s_waitcnt vmcnt(0) lgkmcnt(0)
	v_cmp_ne_u32_e32 vcc, 1, v0
	v_cmp_eq_u32_e64 s[26:27], 1, v0
	s_and_saveexec_b64 s[90:91], s[26:27]
	s_cbranch_execz .LBB6_1338
; %bb.1337:                             ;   in Loop: Header=BB6_1318 Depth=3
	flat_load_dword v10, v[15:16] offset:4 glc
	s_waitcnt vmcnt(0) lgkmcnt(0)
	v_ashrrev_i32_e32 v11, 31, v10
	v_lshrrev_b64 v[10:11], 1, v[10:11]
.LBB6_1338:                             ;   in Loop: Header=BB6_1318 Depth=3
	s_or_b64 exec, exec, s[90:91]
	s_orn2_b64 s[26:27], vcc, exec
.LBB6_1339:                             ;   in Loop: Header=BB6_1318 Depth=3
	s_or_b64 exec, exec, s[88:89]
	s_and_saveexec_b64 s[88:89], s[26:27]
	s_cbranch_execz .LBB6_1341
; %bb.1340:                             ;   in Loop: Header=BB6_1318 Depth=3
	v_mul_lo_u32 v0, v9, v50
	v_mul_lo_u32 v9, v8, v45
	v_mad_u64_u32 v[10:11], s[26:27], v8, v50, 0
	v_add3_u32 v11, v11, v9, v0
.LBB6_1341:                             ;   in Loop: Header=BB6_1318 Depth=3
	s_or_b64 exec, exec, s[88:89]
	v_lshlrev_b64 v[8:9], 1, v[10:11]
	v_cmp_eq_u32_e32 vcc, 0, v17
	v_mov_b32_e32 v0, 0x88
	v_cndmask_b32_e32 v0, v46, v0, vcc
	v_add_co_u32_e32 v8, vcc, v5, v8
	v_addc_co_u32_e32 v9, vcc, v6, v9, vcc
	v_add_u32_e32 v0, v0, v0
	ds_write_b64 v0, v[8:9] offset:584
	v_and_b32_e32 v0, 0x2000, v62
	v_cmp_ne_u32_e32 vcc, 0, v0
	s_and_saveexec_b64 s[26:27], vcc
	s_cbranch_execz .LBB6_1343
; %bb.1342:                             ;   in Loop: Header=BB6_1318 Depth=3
	ds_read_b64 v[8:9], v0 offset:872
	s_waitcnt lgkmcnt(0)
	v_add_co_u32_e32 v8, vcc, 1, v8
	v_addc_co_u32_e32 v9, vcc, 0, v9, vcc
	ds_write_b64 v0, v[8:9] offset:872
.LBB6_1343:                             ;   in Loop: Header=BB6_1318 Depth=3
	s_or_b64 exec, exec, s[26:27]
	v_mov_b32_e32 v41, v4
	v_mov_b32_e32 v40, v3
.LBB6_1344:                             ;   in Loop: Header=BB6_1318 Depth=3
	s_or_b64 exec, exec, s[44:45]
	s_xor_b64 s[26:27], s[42:43], -1
	s_and_b64 s[26:27], exec, s[26:27]
	s_or_b64 s[40:41], s[26:27], s[40:41]
	s_and_saveexec_b64 s[26:27], s[10:11]
	s_cbranch_execz .LBB6_1363
; %bb.1345:                             ;   in Loop: Header=BB6_1318 Depth=3
	s_and_saveexec_b64 s[42:43], s[60:61]
	s_xor_b64 s[42:43], exec, s[42:43]
	s_cbranch_execz .LBB6_1360
; %bb.1346:                             ;   in Loop: Header=BB6_1318 Depth=3
	s_and_saveexec_b64 s[44:45], s[16:17]
	s_cbranch_execz .LBB6_1359
; %bb.1347:                             ;   in Loop: Header=BB6_1318 Depth=3
	s_mov_b64 s[90:91], exec
	v_mbcnt_lo_u32_b32 v0, s90, 0
	v_mbcnt_hi_u32_b32 v0, s91, v0
	v_cmp_eq_u32_e32 vcc, 0, v0
	s_waitcnt vmcnt(0) lgkmcnt(0)
	buffer_wbinvl1_vol
	s_and_saveexec_b64 s[88:89], vcc
	s_cbranch_execz .LBB6_1349
; %bb.1348:                             ;   in Loop: Header=BB6_1318 Depth=3
	s_bcnt1_i32_b64 s79, s[90:91]
	v_mov_b32_e32 v3, s79
	v_mov_b32_e32 v4, v2
	ds_add_u64 v0, v[3:4]
	s_trap 2
.LBB6_1349:                             ;   in Loop: Header=BB6_1318 Depth=3
	s_or_b64 exec, exec, s[88:89]
	s_trap 2
	ds_read_b64 v[3:4], v0
	s_waitcnt lgkmcnt(0)
	v_add_co_u32_e32 v48, vcc, v48, v51
	v_addc_co_u32_e32 v49, vcc, 0, v49, vcc
	v_cmp_lt_u64_e32 vcc, v[3:4], v[48:49]
	s_and_saveexec_b64 s[88:89], vcc
	s_cbranch_execz .LBB6_1358
; %bb.1350:                             ;   in Loop: Header=BB6_1318 Depth=3
	s_mov_b32 s79, 0
	s_mov_b64 s[90:91], 0
                                        ; implicit-def: $sgpr92_sgpr93
                                        ; implicit-def: $sgpr94_sgpr95
	s_branch .LBB6_1352
.LBB6_1351:                             ;   in Loop: Header=BB6_1352 Depth=4
	s_or_b64 exec, exec, s[34:35]
	s_and_b64 vcc, exec, vcc
	s_or_b64 s[90:91], vcc, s[90:91]
	s_andn2_b64 s[92:93], s[92:93], exec
	s_and_b64 vcc, s[94:95], exec
	s_or_b64 s[92:93], s[92:93], vcc
	s_andn2_b64 exec, exec, s[90:91]
	s_cbranch_execz .LBB6_1356
.LBB6_1352:                             ;   Parent Loop BB6_47 Depth=1
                                        ;     Parent Loop BB6_1139 Depth=2
                                        ;       Parent Loop BB6_1318 Depth=3
                                        ; =>      This Inner Loop Header: Depth=4
	s_add_i32 s79, s79, 1
	s_cmpk_lg_i32 s79, 0x2710
	s_cselect_b64 s[30:31], -1, 0
	s_and_b64 vcc, exec, s[30:31]
	s_cbranch_vccz .LBB6_1354
; %bb.1353:                             ;   in Loop: Header=BB6_1352 Depth=4
	s_mov_b64 vcc, -1
	s_or_b64 s[94:95], s[94:95], exec
	s_and_saveexec_b64 s[34:35], s[30:31]
	s_cbranch_execz .LBB6_1351
	s_branch .LBB6_1355
.LBB6_1354:                             ;   in Loop: Header=BB6_1352 Depth=4
	s_trap 2
	ds_read_b64 v[3:4], v0
	s_andn2_b64 s[30:31], s[30:31], exec
	s_mov_b32 s79, 0
	s_waitcnt lgkmcnt(0)
	flat_load_dword v0, v[3:4] glc
	s_waitcnt vmcnt(0) lgkmcnt(0)
	buffer_wbinvl1_vol
	v_cmp_eq_u32_e32 vcc, 0, v0
	s_and_b64 vcc, vcc, exec
	s_or_b64 s[30:31], s[30:31], vcc
	s_mov_b64 vcc, -1
	s_or_b64 s[94:95], s[94:95], exec
	s_and_saveexec_b64 s[34:35], s[30:31]
	s_cbranch_execz .LBB6_1351
.LBB6_1355:                             ;   in Loop: Header=BB6_1352 Depth=4
	s_sleep 1
	s_trap 2
	ds_read_b64 v[3:4], v0
	s_waitcnt lgkmcnt(0)
	s_andn2_b64 s[94:95], s[94:95], exec
	v_cmp_ge_u64_e32 vcc, v[3:4], v[48:49]
	s_orn2_b64 vcc, vcc, exec
	s_branch .LBB6_1351
.LBB6_1356:                             ;   in Loop: Header=BB6_1318 Depth=3
	s_or_b64 exec, exec, s[90:91]
	s_and_saveexec_b64 s[90:91], s[92:93]
	s_xor_b64 s[90:91], exec, s[90:91]
	s_cbranch_execz .LBB6_1358
; %bb.1357:                             ;   in Loop: Header=BB6_1318 Depth=3
	ds_write_b32 v0, v60
	s_trap 2
.LBB6_1358:                             ;   in Loop: Header=BB6_1318 Depth=3
	s_or_b64 exec, exec, s[88:89]
	;;#ASMSTART
	s_wakeup
	;;#ASMEND
.LBB6_1359:                             ;   in Loop: Header=BB6_1318 Depth=3
	s_or_b64 exec, exec, s[44:45]
.LBB6_1360:                             ;   in Loop: Header=BB6_1318 Depth=3
	s_andn2_saveexec_b64 s[42:43], s[42:43]
	s_cbranch_execz .LBB6_1362
; %bb.1361:                             ;   in Loop: Header=BB6_1318 Depth=3
	s_waitcnt vmcnt(0) lgkmcnt(0)
	buffer_wbinvl1_vol
	s_barrier
.LBB6_1362:                             ;   in Loop: Header=BB6_1318 Depth=3
	s_or_b64 exec, exec, s[42:43]
.LBB6_1363:                             ;   in Loop: Header=BB6_1318 Depth=3
	s_or_b64 exec, exec, s[26:27]
                                        ; implicit-def: $vgpr3
	s_and_saveexec_b64 s[26:27], s[24:25]
	s_xor_b64 s[26:27], exec, s[26:27]
	s_cbranch_execz .LBB6_1367
; %bb.1364:                             ;   in Loop: Header=BB6_1318 Depth=3
	s_trap 2
	ds_read_b32 v0, v0
	v_cmp_lt_i32_e32 vcc, 0, v12
	v_and_b32_e32 v3, 16, v62
	s_waitcnt lgkmcnt(0)
	v_readfirstlane_b32 s42, v0
	s_cmp_eq_u32 s42, 0
	s_cselect_b64 s[42:43], -1, 0
	v_and_b32_e32 v0, 16, v62
	s_and_b64 s[42:43], vcc, s[42:43]
	v_cmp_ne_u32_e32 vcc, 0, v0
	s_and_b64 s[44:45], vcc, s[42:43]
	s_and_saveexec_b64 s[42:43], s[44:45]
	s_cbranch_execz .LBB6_1366
; %bb.1365:                             ;   in Loop: Header=BB6_1318 Depth=3
	v_mov_b32_e32 v3, 1
	s_waitcnt vmcnt(0)
	buffer_wbinvl1_vol
.LBB6_1366:                             ;   in Loop: Header=BB6_1318 Depth=3
	s_or_b64 exec, exec, s[42:43]
	s_andn2_saveexec_b64 s[26:27], s[26:27]
	s_cbranch_execz .LBB6_1386
	s_branch .LBB6_1368
.LBB6_1367:                             ;   in Loop: Header=BB6_1318 Depth=3
	s_andn2_saveexec_b64 s[26:27], s[26:27]
	s_cbranch_execz .LBB6_1386
.LBB6_1368:                             ;   in Loop: Header=BB6_1318 Depth=3
	s_and_saveexec_b64 s[42:43], s[60:61]
	s_xor_b64 s[42:43], exec, s[42:43]
	s_cbranch_execz .LBB6_1383
; %bb.1369:                             ;   in Loop: Header=BB6_1318 Depth=3
	s_and_saveexec_b64 s[44:45], s[16:17]
	s_cbranch_execz .LBB6_1382
; %bb.1370:                             ;   in Loop: Header=BB6_1318 Depth=3
	s_mov_b64 s[90:91], exec
	v_mbcnt_lo_u32_b32 v0, s90, 0
	v_mbcnt_hi_u32_b32 v0, s91, v0
	v_cmp_eq_u32_e32 vcc, 0, v0
	;;#ASMSTART
	s_waitcnt lgkmcnt(0) vmcnt(0)
	;;#ASMEND
	s_and_saveexec_b64 s[88:89], vcc
	s_cbranch_execz .LBB6_1372
; %bb.1371:                             ;   in Loop: Header=BB6_1318 Depth=3
	s_bcnt1_i32_b64 s79, s[90:91]
	v_mov_b32_e32 v3, s79
	v_mov_b32_e32 v4, v2
	s_waitcnt lgkmcnt(0)
	ds_add_u64 v0, v[3:4]
	s_trap 2
.LBB6_1372:                             ;   in Loop: Header=BB6_1318 Depth=3
	s_or_b64 exec, exec, s[88:89]
	s_trap 2
	ds_read_b64 v[3:4], v0
	s_waitcnt lgkmcnt(0)
	v_add_co_u32_e32 v48, vcc, v48, v51
	v_addc_co_u32_e32 v49, vcc, 0, v49, vcc
	v_cmp_lt_u64_e32 vcc, v[3:4], v[48:49]
	s_and_saveexec_b64 s[88:89], vcc
	s_cbranch_execz .LBB6_1381
; %bb.1373:                             ;   in Loop: Header=BB6_1318 Depth=3
	s_mov_b32 s79, 0
	s_mov_b64 s[90:91], 0
                                        ; implicit-def: $sgpr92_sgpr93
                                        ; implicit-def: $sgpr94_sgpr95
	s_branch .LBB6_1375
.LBB6_1374:                             ;   in Loop: Header=BB6_1375 Depth=4
	s_or_b64 exec, exec, s[34:35]
	s_and_b64 vcc, exec, vcc
	s_or_b64 s[90:91], vcc, s[90:91]
	s_andn2_b64 s[92:93], s[92:93], exec
	s_and_b64 vcc, s[94:95], exec
	s_or_b64 s[92:93], s[92:93], vcc
	s_andn2_b64 exec, exec, s[90:91]
	s_cbranch_execz .LBB6_1379
.LBB6_1375:                             ;   Parent Loop BB6_47 Depth=1
                                        ;     Parent Loop BB6_1139 Depth=2
                                        ;       Parent Loop BB6_1318 Depth=3
                                        ; =>      This Inner Loop Header: Depth=4
	s_add_i32 s79, s79, 1
	s_cmpk_lg_i32 s79, 0x2710
	s_cselect_b64 s[30:31], -1, 0
	s_and_b64 vcc, exec, s[30:31]
	s_cbranch_vccz .LBB6_1377
; %bb.1376:                             ;   in Loop: Header=BB6_1375 Depth=4
	s_mov_b64 vcc, -1
	s_or_b64 s[94:95], s[94:95], exec
	s_and_saveexec_b64 s[34:35], s[30:31]
	s_cbranch_execz .LBB6_1374
	s_branch .LBB6_1378
.LBB6_1377:                             ;   in Loop: Header=BB6_1375 Depth=4
	s_trap 2
	ds_read_b64 v[3:4], v0
	s_andn2_b64 s[30:31], s[30:31], exec
	s_mov_b32 s79, 0
	s_waitcnt vmcnt(0) lgkmcnt(0)
	flat_load_dword v0, v[3:4] glc
	s_waitcnt vmcnt(0) lgkmcnt(0)
	buffer_wbinvl1_vol
	v_cmp_eq_u32_e32 vcc, 0, v0
	s_and_b64 vcc, vcc, exec
	s_or_b64 s[30:31], s[30:31], vcc
	s_mov_b64 vcc, -1
	s_or_b64 s[94:95], s[94:95], exec
	s_and_saveexec_b64 s[34:35], s[30:31]
	s_cbranch_execz .LBB6_1374
.LBB6_1378:                             ;   in Loop: Header=BB6_1375 Depth=4
	s_sleep 1
	s_trap 2
	ds_read_b64 v[3:4], v0
	s_waitcnt lgkmcnt(0)
	s_andn2_b64 s[94:95], s[94:95], exec
	v_cmp_ge_u64_e32 vcc, v[3:4], v[48:49]
	s_orn2_b64 vcc, vcc, exec
	s_branch .LBB6_1374
.LBB6_1379:                             ;   in Loop: Header=BB6_1318 Depth=3
	s_or_b64 exec, exec, s[90:91]
	s_and_saveexec_b64 s[90:91], s[92:93]
	s_xor_b64 s[90:91], exec, s[90:91]
	s_cbranch_execz .LBB6_1381
; %bb.1380:                             ;   in Loop: Header=BB6_1318 Depth=3
	ds_write_b32 v0, v60
	s_trap 2
.LBB6_1381:                             ;   in Loop: Header=BB6_1318 Depth=3
	s_or_b64 exec, exec, s[88:89]
	;;#ASMSTART
	s_wakeup
	;;#ASMEND
.LBB6_1382:                             ;   in Loop: Header=BB6_1318 Depth=3
	s_or_b64 exec, exec, s[44:45]
.LBB6_1383:                             ;   in Loop: Header=BB6_1318 Depth=3
	s_andn2_saveexec_b64 s[42:43], s[42:43]
	s_cbranch_execz .LBB6_1385
; %bb.1384:                             ;   in Loop: Header=BB6_1318 Depth=3
	;;#ASMSTART
	s_waitcnt lgkmcnt(0) vmcnt(0)
	;;#ASMEND
	s_waitcnt vmcnt(0) lgkmcnt(0)
	s_barrier
.LBB6_1385:                             ;   in Loop: Header=BB6_1318 Depth=3
	s_or_b64 exec, exec, s[42:43]
	v_and_b32_e32 v3, 16, v62
.LBB6_1386:                             ;   in Loop: Header=BB6_1318 Depth=3
	s_or_b64 exec, exec, s[26:27]
	v_cmp_ne_u32_e32 vcc, 0, v3
	s_xor_b64 s[26:27], s[12:13], -1
	s_and_b64 s[42:43], vcc, s[26:27]
	s_and_saveexec_b64 s[26:27], s[42:43]
	s_cbranch_execz .LBB6_1388
; %bb.1387:                             ;   in Loop: Header=BB6_1318 Depth=3
	s_waitcnt vmcnt(0)
	flat_store_dword v[36:37], v60
.LBB6_1388:                             ;   in Loop: Header=BB6_1318 Depth=3
	s_or_b64 exec, exec, s[26:27]
	v_and_b32_e32 v0, 48, v62
	v_cmp_ne_u32_e32 vcc, 0, v0
	s_and_saveexec_b64 s[26:27], vcc
	s_cbranch_execz .LBB6_1317
; %bb.1389:                             ;   in Loop: Header=BB6_1318 Depth=3
	v_add_co_u32_e32 v40, vcc, 2, v40
	v_addc_co_u32_e32 v41, vcc, 0, v41, vcc
	flat_store_dwordx2 v[32:33], v[40:41]
	s_branch .LBB6_1317
.LBB6_1390:                             ;   in Loop: Header=BB6_1139 Depth=2
	s_or_b64 exec, exec, s[44:45]
	s_or_b64 exec, exec, s[42:43]
	v_cmp_gt_i32_e32 vcc, 2, v8
	s_and_saveexec_b64 s[28:29], vcc
	s_cbranch_execnz .LBB6_1316
.LBB6_1391:                             ;   in Loop: Header=BB6_1139 Depth=2
	s_or_b64 exec, exec, s[28:29]
	s_add_i32 s26, s58, 1
	s_cmp_eq_u32 s58, s83
	s_cbranch_scc0 .LBB6_1393
	s_branch .LBB6_1394
.LBB6_1392:                             ;   in Loop: Header=BB6_1139 Depth=2
	s_or_b64 exec, exec, s[40:41]
	s_or_b64 exec, exec, s[28:29]
	s_add_i32 s26, s58, 1
	s_cmp_eq_u32 s58, s83
	s_cbranch_scc1 .LBB6_1394
.LBB6_1393:                             ;   in Loop: Header=BB6_1139 Depth=2
	s_mov_b32 s58, s26
	s_branch .LBB6_1139
.LBB6_1394:                             ;   in Loop: Header=BB6_47 Depth=1
	buffer_load_dword v10, off, s[0:3], s33 offset:128 ; 4-byte Folded Reload
	buffer_load_dword v11, off, s[0:3], s33 offset:132 ; 4-byte Folded Reload
	s_waitcnt vmcnt(0)
	v_mul_lo_u32 v8, v10, s85
	v_mul_lo_u32 v0, v11, s84
	v_mad_u64_u32 v[3:4], s[26:27], v10, s84, 0
	v_add3_u32 v4, v4, v8, v0
	buffer_load_dword v8, off, s[0:3], s33 offset:120 ; 4-byte Folded Reload
	buffer_load_dword v9, off, s[0:3], s33 offset:124 ; 4-byte Folded Reload
	s_waitcnt vmcnt(0)
	v_sub_co_u32_e32 v8, vcc, v8, v3
	v_subb_co_u32_e32 v9, vcc, v9, v4, vcc
	v_cmp_lt_i64_e32 vcc, v[10:11], v[8:9]
	v_mov_b32_e32 v9, 0
	v_cndmask_b32_e32 v0, v8, v10, vcc
	v_max_i32_e32 v18, 0, v0
	v_add_u32_e32 v8, 31, v18
	v_lshrrev_b32_e32 v8, 1, v8
	v_and_b32_e32 v8, 0x3ffffff0, v8
	v_cmp_lt_i32_e32 vcc, 0, v0
	v_max_i32_e32 v19, s82, v8
	s_and_b64 s[26:27], s[76:77], vcc
	v_mov_b32_e32 v8, 0
	s_and_saveexec_b64 s[28:29], s[26:27]
	s_cbranch_execz .LBB6_1532
; %bb.1395:                             ;   in Loop: Header=BB6_47 Depth=1
	buffer_load_dword v8, off, s[0:3], s33 offset:100 ; 4-byte Folded Reload
	buffer_load_dword v9, off, s[0:3], s33 offset:104 ; 4-byte Folded Reload
	s_mov_b32 s58, 1
	s_mov_b64 s[42:43], -1
	s_mov_b64 s[40:41], 0
	s_waitcnt vmcnt(0)
	v_add_co_u32_e32 v3, vcc, v3, v8
	v_addc_co_u32_e32 v4, vcc, v4, v9, vcc
	v_lshlrev_b64 v[10:11], 1, v[3:4]
	v_mov_b32_e32 v8, 0
	s_branch .LBB6_1397
.LBB6_1396:                             ;   in Loop: Header=BB6_1397 Depth=2
	s_or_b64 exec, exec, s[26:27]
	v_add_u32_e32 v8, v19, v8
	v_cmp_ge_i32_e32 vcc, v8, v18
	s_xor_b64 s[26:27], s[42:43], -1
	s_or_b64 s[26:27], s[26:27], vcc
	s_and_b64 s[26:27], exec, s[26:27]
	s_or_b64 s[40:41], s[26:27], s[40:41]
	s_mov_b64 s[42:43], 0
	v_mov_b32_e32 v9, s58
	s_mov_b32 s58, 2
	s_andn2_b64 exec, exec, s[40:41]
	s_cbranch_execz .LBB6_1531
.LBB6_1397:                             ;   Parent Loop BB6_47 Depth=1
                                        ; =>  This Loop Header: Depth=2
                                        ;       Child Loop BB6_1405 Depth 3
                                        ;       Child Loop BB6_1429 Depth 3
	;; [unrolled: 1-line block ×9, first 2 shown]
	s_and_saveexec_b64 s[26:27], s[4:5]
	s_cbranch_execz .LBB6_1399
; %bb.1398:                             ;   in Loop: Header=BB6_1397 Depth=2
	s_trap 2
	ds_read_b128 v[12:15], v0
	v_ashrrev_i32_e32 v9, 31, v8
	v_lshlrev_b64 v[3:4], 1, v[8:9]
	s_waitcnt lgkmcnt(0)
	v_add_co_u32_e32 v0, vcc, v12, v10
	v_addc_co_u32_e32 v13, vcc, v13, v11, vcc
	v_add_co_u32_e32 v12, vcc, v0, v3
	v_addc_co_u32_e32 v13, vcc, v13, v4, vcc
	ds_write_b64 v0, v[12:13]
	v_add_co_u32_e32 v0, vcc, v14, v10
	v_addc_co_u32_e32 v9, vcc, v15, v11, vcc
	v_add_co_u32_e32 v0, vcc, v0, v3
	v_addc_co_u32_e32 v3, vcc, v9, v4, vcc
	v_cmp_ne_u64_e32 vcc, 0, v[14:15]
	v_cndmask_b32_e32 v4, 0, v3, vcc
	v_cndmask_b32_e32 v3, 0, v0, vcc
	ds_write_b64 v0, v[3:4]
.LBB6_1399:                             ;   in Loop: Header=BB6_1397 Depth=2
	s_or_b64 exec, exec, s[26:27]
	v_and_b32_e32 v0, 4, v62
	v_cmp_ne_u32_e32 vcc, 0, v0
	s_and_saveexec_b64 s[44:45], vcc
	s_cbranch_execz .LBB6_1421
; %bb.1400:                             ;   in Loop: Header=BB6_1397 Depth=2
	v_add_co_u32_e32 v3, vcc, 2, v40
	v_addc_co_u32_e32 v4, vcc, 0, v41, vcc
	s_waitcnt vmcnt(0) lgkmcnt(0)
	v_cmp_lt_u64_e32 vcc, v[38:39], v[3:4]
	s_and_saveexec_b64 s[88:89], vcc
	s_cbranch_execz .LBB6_1412
; %bb.1401:                             ;   in Loop: Header=BB6_1397 Depth=2
	v_and_b32_e32 v0, 64, v62
	s_mov_b32 s79, 0
	v_cmp_eq_u32_e32 vcc, 0, v0
	s_mov_b64 s[90:91], 0
                                        ; implicit-def: $sgpr92_sgpr93
                                        ; implicit-def: $sgpr94_sgpr95
                                        ; implicit-def: $sgpr30_sgpr31
	s_branch .LBB6_1405
.LBB6_1402:                             ;   in Loop: Header=BB6_1405 Depth=3
	s_waitcnt vmcnt(0) lgkmcnt(0)
	v_cmp_ge_u64_e64 s[26:27], v[38:39], v[3:4]
	s_or_b64 s[38:39], s[38:39], exec
	s_orn2_b64 s[36:37], s[26:27], exec
.LBB6_1403:                             ;   in Loop: Header=BB6_1405 Depth=3
	s_or_b64 exec, exec, s[50:51]
	s_andn2_b64 s[26:27], s[30:31], exec
	s_and_b64 s[30:31], s[38:39], exec
	s_or_b64 s[30:31], s[26:27], s[30:31]
	s_andn2_b64 s[26:27], s[94:95], exec
	s_and_b64 s[94:95], s[36:37], exec
	s_or_b64 s[94:95], s[26:27], s[94:95]
.LBB6_1404:                             ;   in Loop: Header=BB6_1405 Depth=3
	s_or_b64 exec, exec, s[34:35]
	s_and_b64 s[26:27], exec, s[94:95]
	s_or_b64 s[90:91], s[26:27], s[90:91]
	s_andn2_b64 s[26:27], s[92:93], exec
	s_and_b64 s[92:93], s[30:31], exec
	s_or_b64 s[92:93], s[26:27], s[92:93]
	s_andn2_b64 exec, exec, s[90:91]
	s_cbranch_execz .LBB6_1409
.LBB6_1405:                             ;   Parent Loop BB6_47 Depth=1
                                        ;     Parent Loop BB6_1397 Depth=2
                                        ; =>    This Inner Loop Header: Depth=3
	s_sleep 1
	s_waitcnt vmcnt(0) lgkmcnt(0)
	flat_load_dwordx2 v[38:39], v[32:33] glc
	s_or_b64 s[30:31], s[30:31], exec
	s_or_b64 s[94:95], s[94:95], exec
                                        ; implicit-def: $vgpr9
	s_and_saveexec_b64 s[34:35], vcc
	s_cbranch_execz .LBB6_1404
; %bb.1406:                             ;   in Loop: Header=BB6_1405 Depth=3
	s_cmpk_lt_i32 s79, 0x270f
	s_cselect_b64 s[48:49], -1, 0
	s_cmpk_gt_i32 s79, 0x270e
	s_mov_b64 s[36:37], -1
	s_cbranch_scc0 .LBB6_1408
; %bb.1407:                             ;   in Loop: Header=BB6_1405 Depth=3
	s_trap 2
	ds_read_b64 v[12:13], v0
	s_andn2_b64 s[48:49], s[48:49], exec
	s_mov_b32 s79, 0
	s_mov_b64 s[38:39], 0
	s_waitcnt vmcnt(0) lgkmcnt(0)
	flat_load_dword v9, v[12:13] glc
	s_waitcnt vmcnt(0) lgkmcnt(0)
	buffer_wbinvl1_vol
	v_cmp_eq_u32_e64 s[26:27], 0, v9
	s_and_b64 s[26:27], s[26:27], exec
	s_or_b64 s[48:49], s[48:49], s[26:27]
	s_and_saveexec_b64 s[50:51], s[48:49]
	s_cbranch_execz .LBB6_1403
	s_branch .LBB6_1402
.LBB6_1408:                             ;   in Loop: Header=BB6_1405 Depth=3
	s_add_i32 s79, s79, 1
	s_mov_b64 s[38:39], -1
                                        ; implicit-def: $vgpr9
	s_and_saveexec_b64 s[50:51], s[48:49]
	s_cbranch_execz .LBB6_1403
	s_branch .LBB6_1402
.LBB6_1409:                             ;   in Loop: Header=BB6_1397 Depth=2
	s_or_b64 exec, exec, s[90:91]
	s_xor_b64 s[26:27], s[92:93], -1
	s_and_saveexec_b64 s[90:91], s[26:27]
	s_xor_b64 s[26:27], exec, s[90:91]
	s_cbranch_execz .LBB6_1411
; %bb.1410:                             ;   in Loop: Header=BB6_1397 Depth=2
	v_or_b32_e32 v62, 64, v62
	s_waitcnt lgkmcnt(0)
	ds_write_b32 v0, v9
	s_trap 2
.LBB6_1411:                             ;   in Loop: Header=BB6_1397 Depth=2
	s_or_b64 exec, exec, s[26:27]
.LBB6_1412:                             ;   in Loop: Header=BB6_1397 Depth=2
	s_or_b64 exec, exec, s[88:89]
	v_and_b32_e32 v0, 0x100, v62
	v_cmp_ne_u32_e32 vcc, 0, v0
	v_and_b32_e32 v9, 7, v40
	s_mov_b64 s[26:27], -1
	;;#ASMSTART
	s_wakeup
	;;#ASMEND
                                        ; implicit-def: $vgpr12_vgpr13
	s_and_saveexec_b64 s[88:89], vcc
	s_cbranch_execz .LBB6_1416
; %bb.1413:                             ;   in Loop: Header=BB6_1397 Depth=2
	buffer_load_dword v12, off, s[0:3], s33 offset:60 ; 4-byte Folded Reload
	buffer_load_dword v13, off, s[0:3], s33 offset:64 ; 4-byte Folded Reload
	;; [unrolled: 1-line block ×4, first 2 shown]
	s_waitcnt vmcnt(0)
	v_mad_u64_u32 v[14:15], s[26:27], v9, 24, v[12:13]
                                        ; implicit-def: $vgpr12_vgpr13
	flat_load_dword v0, v[14:15]
	s_waitcnt vmcnt(0) lgkmcnt(0)
	v_cmp_ne_u32_e32 vcc, 1, v0
	v_cmp_eq_u32_e64 s[26:27], 1, v0
	s_and_saveexec_b64 s[90:91], s[26:27]
	s_cbranch_execz .LBB6_1415
; %bb.1414:                             ;   in Loop: Header=BB6_1397 Depth=2
	flat_load_dword v12, v[14:15] offset:4 glc
	s_waitcnt vmcnt(0) lgkmcnt(0)
	v_ashrrev_i32_e32 v13, 31, v12
	v_lshrrev_b64 v[12:13], 1, v[12:13]
.LBB6_1415:                             ;   in Loop: Header=BB6_1397 Depth=2
	s_or_b64 exec, exec, s[90:91]
	s_orn2_b64 s[26:27], vcc, exec
.LBB6_1416:                             ;   in Loop: Header=BB6_1397 Depth=2
	s_or_b64 exec, exec, s[88:89]
	s_and_saveexec_b64 s[88:89], s[26:27]
; %bb.1417:                             ;   in Loop: Header=BB6_1397 Depth=2
	v_mad_i64_i32 v[12:13], s[26:27], v9, v50, 0
; %bb.1418:                             ;   in Loop: Header=BB6_1397 Depth=2
	s_or_b64 exec, exec, s[88:89]
	v_lshlrev_b64 v[12:13], 1, v[12:13]
	v_add_co_u32_e32 v12, vcc, v5, v12
	v_addc_co_u32_e32 v13, vcc, v6, v13, vcc
	ds_write_b64 v0, v[12:13] offset:720
	v_and_b32_e32 v0, 0x2000, v62
	v_cmp_ne_u32_e32 vcc, 0, v0
	s_and_saveexec_b64 s[26:27], vcc
	s_cbranch_execz .LBB6_1420
; %bb.1419:                             ;   in Loop: Header=BB6_1397 Depth=2
	ds_read_b64 v[12:13], v0 offset:872
	s_waitcnt lgkmcnt(0)
	v_add_co_u32_e32 v12, vcc, 1, v12
	v_addc_co_u32_e32 v13, vcc, 0, v13, vcc
	ds_write_b64 v0, v[12:13] offset:872
.LBB6_1420:                             ;   in Loop: Header=BB6_1397 Depth=2
	s_or_b64 exec, exec, s[26:27]
	v_mov_b32_e32 v41, v4
	v_mov_b32_e32 v40, v3
.LBB6_1421:                             ;   in Loop: Header=BB6_1397 Depth=2
	s_or_b64 exec, exec, s[44:45]
	s_and_saveexec_b64 s[26:27], s[10:11]
	s_cbranch_execz .LBB6_1440
; %bb.1422:                             ;   in Loop: Header=BB6_1397 Depth=2
	s_and_saveexec_b64 s[44:45], s[60:61]
	s_xor_b64 s[44:45], exec, s[44:45]
	s_cbranch_execz .LBB6_1437
; %bb.1423:                             ;   in Loop: Header=BB6_1397 Depth=2
	s_and_saveexec_b64 s[88:89], s[16:17]
	s_cbranch_execz .LBB6_1436
; %bb.1424:                             ;   in Loop: Header=BB6_1397 Depth=2
	s_mov_b64 s[92:93], exec
	v_mbcnt_lo_u32_b32 v0, s92, 0
	v_mbcnt_hi_u32_b32 v0, s93, v0
	v_cmp_eq_u32_e32 vcc, 0, v0
	s_waitcnt vmcnt(0) lgkmcnt(0)
	buffer_wbinvl1_vol
	s_and_saveexec_b64 s[90:91], vcc
	s_cbranch_execz .LBB6_1426
; %bb.1425:                             ;   in Loop: Header=BB6_1397 Depth=2
	s_bcnt1_i32_b64 s79, s[92:93]
	v_mov_b32_e32 v3, s79
	v_mov_b32_e32 v4, v2
	ds_add_u64 v0, v[3:4]
	s_trap 2
.LBB6_1426:                             ;   in Loop: Header=BB6_1397 Depth=2
	s_or_b64 exec, exec, s[90:91]
	s_trap 2
	ds_read_b64 v[3:4], v0
	s_waitcnt lgkmcnt(0)
	v_add_co_u32_e32 v48, vcc, v48, v51
	v_addc_co_u32_e32 v49, vcc, 0, v49, vcc
	v_cmp_lt_u64_e32 vcc, v[3:4], v[48:49]
	s_and_saveexec_b64 s[90:91], vcc
	s_cbranch_execz .LBB6_1435
; %bb.1427:                             ;   in Loop: Header=BB6_1397 Depth=2
	s_mov_b32 s79, 0
	s_mov_b64 s[92:93], 0
                                        ; implicit-def: $sgpr94_sgpr95
                                        ; implicit-def: $sgpr30_sgpr31
	s_branch .LBB6_1429
.LBB6_1428:                             ;   in Loop: Header=BB6_1429 Depth=3
	s_or_b64 exec, exec, s[36:37]
	s_and_b64 vcc, exec, vcc
	s_or_b64 s[92:93], vcc, s[92:93]
	s_andn2_b64 s[94:95], s[94:95], exec
	s_and_b64 vcc, s[30:31], exec
	s_or_b64 s[94:95], s[94:95], vcc
	s_andn2_b64 exec, exec, s[92:93]
	s_cbranch_execz .LBB6_1433
.LBB6_1429:                             ;   Parent Loop BB6_47 Depth=1
                                        ;     Parent Loop BB6_1397 Depth=2
                                        ; =>    This Inner Loop Header: Depth=3
	s_add_i32 s79, s79, 1
	s_cmpk_lg_i32 s79, 0x2710
	s_cselect_b64 s[34:35], -1, 0
	s_and_b64 vcc, exec, s[34:35]
	s_cbranch_vccz .LBB6_1431
; %bb.1430:                             ;   in Loop: Header=BB6_1429 Depth=3
	s_mov_b64 vcc, -1
	s_or_b64 s[30:31], s[30:31], exec
	s_and_saveexec_b64 s[36:37], s[34:35]
	s_cbranch_execz .LBB6_1428
	s_branch .LBB6_1432
.LBB6_1431:                             ;   in Loop: Header=BB6_1429 Depth=3
	s_trap 2
	ds_read_b64 v[3:4], v0
	s_andn2_b64 s[34:35], s[34:35], exec
	s_mov_b32 s79, 0
	s_waitcnt lgkmcnt(0)
	flat_load_dword v0, v[3:4] glc
	s_waitcnt vmcnt(0) lgkmcnt(0)
	buffer_wbinvl1_vol
	v_cmp_eq_u32_e32 vcc, 0, v0
	s_and_b64 vcc, vcc, exec
	s_or_b64 s[34:35], s[34:35], vcc
	s_mov_b64 vcc, -1
	s_or_b64 s[30:31], s[30:31], exec
	s_and_saveexec_b64 s[36:37], s[34:35]
	s_cbranch_execz .LBB6_1428
.LBB6_1432:                             ;   in Loop: Header=BB6_1429 Depth=3
	s_sleep 1
	s_trap 2
	ds_read_b64 v[3:4], v0
	s_waitcnt lgkmcnt(0)
	s_andn2_b64 s[30:31], s[30:31], exec
	v_cmp_ge_u64_e32 vcc, v[3:4], v[48:49]
	s_orn2_b64 vcc, vcc, exec
	s_branch .LBB6_1428
.LBB6_1433:                             ;   in Loop: Header=BB6_1397 Depth=2
	s_or_b64 exec, exec, s[92:93]
	s_and_saveexec_b64 s[92:93], s[94:95]
	s_xor_b64 s[92:93], exec, s[92:93]
	s_cbranch_execz .LBB6_1435
; %bb.1434:                             ;   in Loop: Header=BB6_1397 Depth=2
	ds_write_b32 v0, v60
	s_trap 2
.LBB6_1435:                             ;   in Loop: Header=BB6_1397 Depth=2
	s_or_b64 exec, exec, s[90:91]
	;;#ASMSTART
	s_wakeup
	;;#ASMEND
.LBB6_1436:                             ;   in Loop: Header=BB6_1397 Depth=2
	s_or_b64 exec, exec, s[88:89]
.LBB6_1437:                             ;   in Loop: Header=BB6_1397 Depth=2
	s_andn2_saveexec_b64 s[44:45], s[44:45]
	s_cbranch_execz .LBB6_1439
; %bb.1438:                             ;   in Loop: Header=BB6_1397 Depth=2
	s_waitcnt vmcnt(0) lgkmcnt(0)
	buffer_wbinvl1_vol
	s_barrier
.LBB6_1439:                             ;   in Loop: Header=BB6_1397 Depth=2
	s_or_b64 exec, exec, s[44:45]
.LBB6_1440:                             ;   in Loop: Header=BB6_1397 Depth=2
	s_or_b64 exec, exec, s[26:27]
	s_trap 2
	ds_read_b32 v9, v0
	v_and_b32_e32 v0, 0x4000, v62
	v_cmp_ne_u32_e32 vcc, 0, v0
	s_xor_b64 s[26:27], s[6:7], -1
	s_and_b64 s[44:45], s[26:27], vcc
	s_and_saveexec_b64 s[26:27], s[44:45]
	s_cbranch_execz .LBB6_1459
; %bb.1441:                             ;   in Loop: Header=BB6_1397 Depth=2
	s_and_saveexec_b64 s[44:45], s[60:61]
	s_xor_b64 s[44:45], exec, s[44:45]
	s_cbranch_execz .LBB6_1456
; %bb.1442:                             ;   in Loop: Header=BB6_1397 Depth=2
	s_and_saveexec_b64 s[88:89], s[16:17]
	s_cbranch_execz .LBB6_1455
; %bb.1443:                             ;   in Loop: Header=BB6_1397 Depth=2
	s_mov_b64 s[92:93], exec
	v_mbcnt_lo_u32_b32 v0, s92, 0
	v_mbcnt_hi_u32_b32 v0, s93, v0
	v_cmp_eq_u32_e32 vcc, 0, v0
	s_waitcnt vmcnt(0) lgkmcnt(0)
	buffer_wbinvl1_vol
	s_and_saveexec_b64 s[90:91], vcc
	s_cbranch_execz .LBB6_1445
; %bb.1444:                             ;   in Loop: Header=BB6_1397 Depth=2
	s_bcnt1_i32_b64 s79, s[92:93]
	v_mov_b32_e32 v3, s79
	v_mov_b32_e32 v4, v2
	ds_add_u64 v0, v[3:4]
	s_trap 2
.LBB6_1445:                             ;   in Loop: Header=BB6_1397 Depth=2
	s_or_b64 exec, exec, s[90:91]
	s_trap 2
	ds_read_b64 v[3:4], v0
	s_waitcnt lgkmcnt(0)
	v_add_co_u32_e32 v48, vcc, v48, v51
	v_addc_co_u32_e32 v49, vcc, 0, v49, vcc
	v_cmp_lt_u64_e32 vcc, v[3:4], v[48:49]
	s_and_saveexec_b64 s[90:91], vcc
	s_cbranch_execz .LBB6_1454
; %bb.1446:                             ;   in Loop: Header=BB6_1397 Depth=2
	s_mov_b32 s79, 0
	s_mov_b64 s[92:93], 0
                                        ; implicit-def: $sgpr94_sgpr95
                                        ; implicit-def: $sgpr30_sgpr31
	s_branch .LBB6_1448
.LBB6_1447:                             ;   in Loop: Header=BB6_1448 Depth=3
	s_or_b64 exec, exec, s[36:37]
	s_and_b64 vcc, exec, vcc
	s_or_b64 s[92:93], vcc, s[92:93]
	s_andn2_b64 s[94:95], s[94:95], exec
	s_and_b64 vcc, s[30:31], exec
	s_or_b64 s[94:95], s[94:95], vcc
	s_andn2_b64 exec, exec, s[92:93]
	s_cbranch_execz .LBB6_1452
.LBB6_1448:                             ;   Parent Loop BB6_47 Depth=1
                                        ;     Parent Loop BB6_1397 Depth=2
                                        ; =>    This Inner Loop Header: Depth=3
	s_add_i32 s79, s79, 1
	s_cmpk_lg_i32 s79, 0x2710
	s_cselect_b64 s[34:35], -1, 0
	s_and_b64 vcc, exec, s[34:35]
	s_cbranch_vccz .LBB6_1450
; %bb.1449:                             ;   in Loop: Header=BB6_1448 Depth=3
	s_mov_b64 vcc, -1
	s_or_b64 s[30:31], s[30:31], exec
	s_and_saveexec_b64 s[36:37], s[34:35]
	s_cbranch_execz .LBB6_1447
	s_branch .LBB6_1451
.LBB6_1450:                             ;   in Loop: Header=BB6_1448 Depth=3
	s_trap 2
	ds_read_b64 v[3:4], v0
	s_andn2_b64 s[34:35], s[34:35], exec
	s_mov_b32 s79, 0
	s_waitcnt lgkmcnt(0)
	flat_load_dword v0, v[3:4] glc
	s_waitcnt vmcnt(0) lgkmcnt(0)
	buffer_wbinvl1_vol
	v_cmp_eq_u32_e32 vcc, 0, v0
	s_and_b64 vcc, vcc, exec
	s_or_b64 s[34:35], s[34:35], vcc
	s_mov_b64 vcc, -1
	s_or_b64 s[30:31], s[30:31], exec
	s_and_saveexec_b64 s[36:37], s[34:35]
	s_cbranch_execz .LBB6_1447
.LBB6_1451:                             ;   in Loop: Header=BB6_1448 Depth=3
	s_sleep 1
	s_trap 2
	ds_read_b64 v[3:4], v0
	s_waitcnt lgkmcnt(0)
	s_andn2_b64 s[30:31], s[30:31], exec
	v_cmp_ge_u64_e32 vcc, v[3:4], v[48:49]
	s_orn2_b64 vcc, vcc, exec
	s_branch .LBB6_1447
.LBB6_1452:                             ;   in Loop: Header=BB6_1397 Depth=2
	s_or_b64 exec, exec, s[92:93]
	s_and_saveexec_b64 s[92:93], s[94:95]
	s_xor_b64 s[92:93], exec, s[92:93]
	s_cbranch_execz .LBB6_1454
; %bb.1453:                             ;   in Loop: Header=BB6_1397 Depth=2
	ds_write_b32 v0, v60
	s_trap 2
.LBB6_1454:                             ;   in Loop: Header=BB6_1397 Depth=2
	s_or_b64 exec, exec, s[90:91]
	;;#ASMSTART
	s_wakeup
	;;#ASMEND
.LBB6_1455:                             ;   in Loop: Header=BB6_1397 Depth=2
	s_or_b64 exec, exec, s[88:89]
.LBB6_1456:                             ;   in Loop: Header=BB6_1397 Depth=2
	s_andn2_saveexec_b64 s[44:45], s[44:45]
	s_cbranch_execz .LBB6_1458
; %bb.1457:                             ;   in Loop: Header=BB6_1397 Depth=2
	s_waitcnt vmcnt(0) lgkmcnt(0)
	buffer_wbinvl1_vol
	s_barrier
.LBB6_1458:                             ;   in Loop: Header=BB6_1397 Depth=2
	s_or_b64 exec, exec, s[44:45]
.LBB6_1459:                             ;   in Loop: Header=BB6_1397 Depth=2
	s_or_b64 exec, exec, s[26:27]
	v_sub_u32_e32 v0, v18, v8
	s_trap 2
	ds_read_b64 v[3:4], v0
	v_min_i32_e32 v19, v19, v0
	s_waitcnt lgkmcnt(0)
	v_cmp_eq_u64_e32 vcc, 0, v[3:4]
	s_cbranch_vccnz .LBB6_1467
; %bb.1460:                             ;   in Loop: Header=BB6_1397 Depth=2
	s_trap 2
	ds_read_b64 v[12:13], v0
	s_waitcnt lgkmcnt(0)
	v_cmp_eq_u64_e32 vcc, 0, v[12:13]
	s_cbranch_vccnz .LBB6_1467
; %bb.1461:                             ;   in Loop: Header=BB6_1397 Depth=2
	s_mov_b64 s[26:27], -1
	s_and_saveexec_b64 s[44:45], s[20:21]
	s_cbranch_execz .LBB6_1463
; %bb.1462:                             ;   in Loop: Header=BB6_1397 Depth=2
	ds_read_b32 v0, v0 offset:720
	s_waitcnt lgkmcnt(0)
	v_and_b32_e32 v0, 15, v0
	v_cmp_eq_u32_e32 vcc, 0, v0
	s_orn2_b64 s[26:27], vcc, exec
.LBB6_1463:                             ;   in Loop: Header=BB6_1397 Depth=2
	s_or_b64 exec, exec, s[44:45]
	s_and_saveexec_b64 s[44:45], s[18:19]
	s_cbranch_execz .LBB6_1465
; %bb.1464:                             ;   in Loop: Header=BB6_1397 Depth=2
	ds_read_b32 v0, v0 offset:784
	s_waitcnt lgkmcnt(0)
	v_and_b32_e32 v0, 15, v0
	v_cmp_eq_u32_e32 vcc, 0, v0
	s_and_b64 s[88:89], s[26:27], vcc
	s_andn2_b64 s[26:27], s[26:27], exec
	s_and_b64 s[88:89], s[88:89], exec
	s_or_b64 s[26:27], s[26:27], s[88:89]
.LBB6_1465:                             ;   in Loop: Header=BB6_1397 Depth=2
	s_or_b64 exec, exec, s[44:45]
	v_cmp_eq_u32_e32 vcc, 0, v9
	s_xor_b64 s[26:27], s[26:27], -1
	v_cndmask_b32_e32 v9, 0, v19, vcc
	v_cndmask_b32_e64 v0, 0, 1, s[26:27]
	v_lshlrev_b32_e32 v20, 1, v9
	s_mov_b64 s[88:89], -1
	v_cmp_ne_u32_e32 vcc, 0, v0
	v_mov_b32_e32 v21, 0
	s_cbranch_vccz .LBB6_1472
; %bb.1466:                             ;   in Loop: Header=BB6_1397 Depth=2
	s_waitcnt vmcnt(0)
	v_mov_b32_e32 v22, v44
	s_and_saveexec_b64 s[26:27], s[88:89]
	s_cbranch_execnz .LBB6_1483
	s_branch .LBB6_1491
.LBB6_1467:                             ;   in Loop: Header=BB6_1397 Depth=2
	s_mov_b64 s[26:27], 0
	s_and_saveexec_b64 s[44:45], s[10:11]
	s_cbranch_execnz .LBB6_1492
.LBB6_1468:                             ;   in Loop: Header=BB6_1397 Depth=2
	s_or_b64 exec, exec, s[44:45]
	s_and_saveexec_b64 s[44:45], s[24:25]
	s_xor_b64 s[44:45], exec, s[44:45]
	s_cbranch_execz .LBB6_1510
.LBB6_1469:                             ;   in Loop: Header=BB6_1397 Depth=2
	v_and_b32_e32 v0, 16, v62
	v_cmp_ne_u32_e32 vcc, 0, v0
	s_and_b64 s[88:89], vcc, s[26:27]
	s_and_saveexec_b64 s[26:27], s[88:89]
	s_cbranch_execz .LBB6_1471
; %bb.1470:                             ;   in Loop: Header=BB6_1397 Depth=2
	s_waitcnt vmcnt(0) lgkmcnt(0)
	buffer_wbinvl1_vol
.LBB6_1471:                             ;   in Loop: Header=BB6_1397 Depth=2
	s_or_b64 exec, exec, s[26:27]
	s_andn2_saveexec_b64 s[26:27], s[44:45]
	s_cbranch_execz .LBB6_1529
	s_branch .LBB6_1511
.LBB6_1472:                             ;   in Loop: Header=BB6_1397 Depth=2
	v_ashrrev_i32_e32 v0, 31, v20
	v_lshrrev_b32_e32 v0, 20, v0
	v_add_u32_e32 v0, v20, v0
	v_ashrrev_i32_e32 v21, 12, v0
	buffer_load_dword v0, off, s[0:3], s33 offset:108 ; 4-byte Folded Reload
	s_waitcnt vmcnt(0)
	v_sub_u32_e32 v23, v21, v0
	v_cmp_lt_i32_e32 vcc, 0, v23
	s_and_saveexec_b64 s[26:27], vcc
	s_cbranch_execz .LBB6_1476
; %bb.1473:                             ;   in Loop: Header=BB6_1397 Depth=2
	v_mov_b32_e32 v15, v13
	v_mov_b32_e32 v17, v4
	s_mov_b64 s[44:45], 0
	v_mov_b32_e32 v14, v12
	v_mov_b32_e32 v16, v3
.LBB6_1474:                             ;   Parent Loop BB6_47 Depth=1
                                        ;     Parent Loop BB6_1397 Depth=2
                                        ; =>    This Inner Loop Header: Depth=3
	v_add_co_u32_e32 v34, vcc, v1, v16
	v_addc_co_u32_e32 v35, vcc, 0, v17, vcc
	global_load_dwordx4 v[24:27], v[34:35], off glc slc
	global_load_dwordx4 v[28:31], v[34:35], off offset:1024 glc slc
	global_load_dwordx4 v[52:55], v[34:35], off offset:2048 glc slc
	;; [unrolled: 1-line block ×3, first 2 shown]
	v_add_co_u32_e32 v34, vcc, v1, v14
	v_addc_co_u32_e32 v35, vcc, 0, v15, vcc
	v_add_co_u32_e32 v16, vcc, v16, v7
	v_addc_co_u32_e32 v17, vcc, 0, v17, vcc
	v_add_co_u32_e32 v14, vcc, v14, v7
	v_sub_u32_e32 v23, v23, v51
	v_addc_co_u32_e32 v15, vcc, 0, v15, vcc
	v_cmp_gt_i32_e32 vcc, 1, v23
	s_or_b64 s[44:45], vcc, s[44:45]
	s_waitcnt vmcnt(3)
	global_store_dwordx4 v[34:35], v[24:27], off glc slc
	s_waitcnt vmcnt(3)
	global_store_dwordx4 v[34:35], v[28:31], off offset:1024 glc slc
	s_waitcnt vmcnt(3)
	global_store_dwordx4 v[34:35], v[52:55], off offset:2048 glc slc
	;; [unrolled: 2-line block ×3, first 2 shown]
	s_andn2_b64 exec, exec, s[44:45]
	s_cbranch_execnz .LBB6_1474
; %bb.1475:                             ;   in Loop: Header=BB6_1397 Depth=2
	s_or_b64 exec, exec, s[44:45]
	buffer_load_dword v44, off, s[0:3], s33 offset:152 ; 4-byte Folded Reload
	v_ashrrev_i32_e32 v45, 31, v50
.LBB6_1476:                             ;   in Loop: Header=BB6_1397 Depth=2
	s_or_b64 exec, exec, s[26:27]
	v_lshlrev_b32_e32 v14, 12, v21
	v_cmp_ne_u32_e32 vcc, v20, v14
	s_mov_b64 s[88:89], 0
	v_mov_b32_e32 v21, 0
                                        ; implicit-def: $vgpr22
	s_and_saveexec_b64 s[44:45], vcc
	s_cbranch_execz .LBB6_1482
; %bb.1477:                             ;   in Loop: Header=BB6_1397 Depth=2
	v_lshlrev_b32_e32 v0, 6, v23
	v_sub_u32_e32 v0, v56, v0
	v_ashrrev_i32_e32 v15, 31, v0
	v_lshrrev_b32_e32 v15, 26, v15
	v_sub_u32_e32 v17, v20, v14
	v_add_u32_e32 v15, v0, v15
	v_ashrrev_i32_e32 v22, 6, v15
	v_and_b32_e32 v15, 0xffffffc0, v15
	v_ashrrev_i32_e32 v16, 31, v17
	v_sub_u32_e32 v15, v0, v15
	v_lshrrev_b32_e32 v16, 22, v16
	v_lshlrev_b32_e32 v0, 4, v15
	v_add_u32_e32 v16, v17, v16
	v_lshl_add_u32 v0, v22, 10, v0
	v_ashrrev_i32_e32 v23, 10, v16
	v_and_b32_e32 v16, 0xfffffc00, v16
	v_sub_u32_e32 v21, v17, v0
	v_sub_u32_e32 v17, v17, v16
	v_cmp_lt_i32_e32 vcc, 15, v17
	v_addc_co_u32_e64 v23, s[26:27], 0, v23, vcc
	v_sub_u32_e32 v22, v23, v22
	v_cmp_lt_i32_e64 s[26:27], 15, v21
	s_and_saveexec_b64 s[88:89], s[26:27]
	s_cbranch_execz .LBB6_1481
; %bb.1478:                             ;   in Loop: Header=BB6_1397 Depth=2
	v_add_u32_e32 v23, v0, v14
	v_ashrrev_i32_e32 v24, 31, v23
	s_mov_b64 s[90:91], 0
.LBB6_1479:                             ;   Parent Loop BB6_47 Depth=1
                                        ;     Parent Loop BB6_1397 Depth=2
                                        ; =>    This Inner Loop Header: Depth=3
	v_add_co_u32_e64 v25, s[26:27], v3, v23
	v_addc_co_u32_e64 v26, s[26:27], v4, v24, s[26:27]
	global_load_dwordx4 v[25:28], v[25:26], off glc slc
	v_add_co_u32_e64 v29, s[26:27], v12, v23
	v_addc_co_u32_e64 v30, s[26:27], v13, v24, s[26:27]
	v_add_co_u32_e64 v23, s[26:27], v23, v43
	v_sub_u32_e32 v21, v21, v43
	v_addc_co_u32_e64 v24, s[26:27], 0, v24, s[26:27]
	v_cmp_gt_i32_e64 s[26:27], 16, v21
	v_sub_u32_e32 v22, v22, v51
	s_or_b64 s[90:91], s[26:27], s[90:91]
	s_waitcnt vmcnt(0)
	global_store_dwordx4 v[29:30], v[25:28], off glc slc
	s_andn2_b64 exec, exec, s[90:91]
	s_cbranch_execnz .LBB6_1479
; %bb.1480:                             ;   in Loop: Header=BB6_1397 Depth=2
	s_or_b64 exec, exec, s[90:91]
.LBB6_1481:                             ;   in Loop: Header=BB6_1397 Depth=2
	s_or_b64 exec, exec, s[88:89]
	v_and_b32_e32 v0, 14, v20
	v_sub_u32_e32 v20, v17, v0
	v_cndmask_b32_e32 v20, 0, v20, vcc
	v_add3_u32 v21, v16, v14, v20
	v_cndmask_b32_e32 v20, v17, v0, vcc
	v_cmp_lt_i32_e32 vcc, 0, v22
	v_cndmask_b32_e32 v0, 0, v51, vcc
	v_sub_u32_e32 v0, v0, v22
	v_cmp_ne_u32_e32 vcc, 0, v20
	v_lshl_add_u32 v22, v0, 6, v15
	s_and_b64 s[88:89], vcc, exec
.LBB6_1482:                             ;   in Loop: Header=BB6_1397 Depth=2
	s_or_b64 exec, exec, s[44:45]
	s_and_saveexec_b64 s[26:27], s[88:89]
	s_cbranch_execz .LBB6_1491
.LBB6_1483:                             ;   in Loop: Header=BB6_1397 Depth=2
	v_ashrrev_i32_e32 v0, 31, v22
	v_ashrrev_i32_e32 v14, 31, v20
	v_lshrrev_b32_e32 v0, 26, v0
	v_lshrrev_b32_e32 v14, 22, v14
	v_add_u32_e32 v0, v22, v0
	v_add_u32_e32 v14, v20, v14
	v_ashrrev_i32_e32 v23, 6, v0
	v_ashrrev_i32_e32 v25, 10, v14
	v_sub_u32_e32 v24, v25, v23
	v_cmp_lt_i32_e32 vcc, 0, v24
	s_and_saveexec_b64 s[44:45], vcc
	s_cbranch_execz .LBB6_1487
; %bb.1484:                             ;   in Loop: Header=BB6_1397 Depth=2
	v_and_b32_e32 v0, 0x7fffffc0, v0
	v_sub_u32_e32 v0, v22, v0
	v_lshlrev_b32_e32 v0, 1, v0
	v_lshlrev_b32_e32 v14, 10, v23
	v_add3_u32 v26, v0, v21, v14
	v_mov_b32_e32 v15, v13
	v_mov_b32_e32 v17, v4
	v_ashrrev_i32_e32 v27, 31, v26
	s_mov_b64 s[88:89], 0
	v_mov_b32_e32 v14, v12
	v_mov_b32_e32 v16, v3
.LBB6_1485:                             ;   Parent Loop BB6_47 Depth=1
                                        ;     Parent Loop BB6_1397 Depth=2
                                        ; =>    This Inner Loop Header: Depth=3
	v_add_co_u32_e32 v28, vcc, v26, v16
	v_addc_co_u32_e32 v29, vcc, v27, v17, vcc
	flat_load_ushort v0, v[28:29] glc slc
	flat_load_ushort v30, v[28:29] offset:128 glc slc
	flat_load_ushort v31, v[28:29] offset:256 glc slc
	;; [unrolled: 1-line block ×7, first 2 shown]
	v_add_co_u32_e32 v28, vcc, v26, v14
	v_addc_co_u32_e32 v29, vcc, v27, v15, vcc
	v_add_co_u32_e32 v16, vcc, v16, v43
	v_addc_co_u32_e32 v17, vcc, 0, v17, vcc
	v_add_co_u32_e32 v14, vcc, v14, v43
	v_sub_u32_e32 v24, v24, v51
	v_addc_co_u32_e32 v15, vcc, 0, v15, vcc
	v_cmp_gt_i32_e32 vcc, 1, v24
	s_or_b64 s[88:89], vcc, s[88:89]
	s_waitcnt vmcnt(0) lgkmcnt(0)
	flat_store_short v[28:29], v0 glc slc
	flat_store_short v[28:29], v30 offset:128 glc slc
	flat_store_short v[28:29], v31 offset:256 glc slc
	;; [unrolled: 1-line block ×7, first 2 shown]
	s_andn2_b64 exec, exec, s[88:89]
	s_cbranch_execnz .LBB6_1485
; %bb.1486:                             ;   in Loop: Header=BB6_1397 Depth=2
	s_or_b64 exec, exec, s[88:89]
	buffer_load_dword v36, off, s[0:3], s33 offset:112 ; 4-byte Folded Reload
	buffer_load_dword v37, off, s[0:3], s33 offset:116 ; 4-byte Folded Reload
.LBB6_1487:                             ;   in Loop: Header=BB6_1397 Depth=2
	s_or_b64 exec, exec, s[44:45]
	v_lshlrev_b32_e32 v0, 10, v25
	v_cmp_ne_u32_e32 vcc, v20, v0
	s_and_b64 exec, exec, vcc
	s_cbranch_execz .LBB6_1491
; %bb.1488:                             ;   in Loop: Header=BB6_1397 Depth=2
	v_lshlrev_b32_e32 v14, 6, v23
	v_sub_u32_e32 v14, v22, v14
	v_lshlrev_b32_e32 v15, 6, v24
	v_sub_u32_e32 v14, v14, v15
	v_ashrrev_i32_e32 v15, 31, v14
	v_lshrrev_b32_e32 v15, 26, v15
	v_add_u32_e32 v15, v14, v15
	v_and_b32_e32 v16, 0x7fffffc0, v15
	v_sub_u32_e32 v14, v14, v16
	v_lshlrev_b32_e32 v15, 1, v15
	v_and_b32_e32 v15, 0xffffff80, v15
	v_lshlrev_b32_e32 v14, 1, v14
	v_add3_u32 v0, v15, v14, v0
	v_sub_u32_e32 v14, v20, v0
	v_cmp_lt_i32_e32 vcc, 1, v14
	s_and_b64 exec, exec, vcc
	s_cbranch_execz .LBB6_1491
; %bb.1489:                             ;   in Loop: Header=BB6_1397 Depth=2
	v_add_u32_e32 v15, v0, v21
	v_ashrrev_i32_e32 v16, 31, v15
	s_mov_b64 s[44:45], 0
.LBB6_1490:                             ;   Parent Loop BB6_47 Depth=1
                                        ;     Parent Loop BB6_1397 Depth=2
                                        ; =>    This Inner Loop Header: Depth=3
	v_add_co_u32_e32 v20, vcc, v3, v15
	v_addc_co_u32_e32 v21, vcc, v4, v16, vcc
	flat_load_ushort v0, v[20:21] glc slc
	v_add_co_u32_e32 v20, vcc, v12, v15
	v_addc_co_u32_e32 v21, vcc, v13, v16, vcc
	v_add_co_u32_e32 v15, vcc, v15, v42
	v_sub_u32_e32 v14, v14, v42
	v_addc_co_u32_e32 v16, vcc, 0, v16, vcc
	v_cmp_gt_i32_e32 vcc, 2, v14
	s_or_b64 s[44:45], vcc, s[44:45]
	s_waitcnt vmcnt(0) lgkmcnt(0)
	flat_store_short v[20:21], v0 glc slc
	s_andn2_b64 exec, exec, s[44:45]
	s_cbranch_execnz .LBB6_1490
.LBB6_1491:                             ;   in Loop: Header=BB6_1397 Depth=2
	s_or_b64 exec, exec, s[26:27]
	v_cmp_lt_i32_e64 s[26:27], 0, v9
	s_and_saveexec_b64 s[44:45], s[10:11]
	s_cbranch_execz .LBB6_1468
.LBB6_1492:                             ;   in Loop: Header=BB6_1397 Depth=2
	s_and_saveexec_b64 s[88:89], s[60:61]
	s_xor_b64 s[88:89], exec, s[88:89]
	s_cbranch_execz .LBB6_1507
; %bb.1493:                             ;   in Loop: Header=BB6_1397 Depth=2
	s_and_saveexec_b64 s[90:91], s[16:17]
	s_cbranch_execz .LBB6_1506
; %bb.1494:                             ;   in Loop: Header=BB6_1397 Depth=2
	s_mov_b64 s[94:95], exec
	v_mbcnt_lo_u32_b32 v0, s94, 0
	v_mbcnt_hi_u32_b32 v0, s95, v0
	v_cmp_eq_u32_e32 vcc, 0, v0
	s_waitcnt vmcnt(0) lgkmcnt(0)
	buffer_wbinvl1_vol
	s_and_saveexec_b64 s[92:93], vcc
	s_cbranch_execz .LBB6_1496
; %bb.1495:                             ;   in Loop: Header=BB6_1397 Depth=2
	s_bcnt1_i32_b64 s79, s[94:95]
	v_mov_b32_e32 v3, s79
	v_mov_b32_e32 v4, v2
	ds_add_u64 v0, v[3:4]
	s_trap 2
.LBB6_1496:                             ;   in Loop: Header=BB6_1397 Depth=2
	s_or_b64 exec, exec, s[92:93]
	s_trap 2
	ds_read_b64 v[3:4], v0
	s_waitcnt lgkmcnt(0)
	v_add_co_u32_e32 v48, vcc, v48, v51
	v_addc_co_u32_e32 v49, vcc, 0, v49, vcc
	v_cmp_lt_u64_e32 vcc, v[3:4], v[48:49]
	s_and_saveexec_b64 s[92:93], vcc
	s_cbranch_execz .LBB6_1505
; %bb.1497:                             ;   in Loop: Header=BB6_1397 Depth=2
	s_mov_b32 s79, 0
	s_mov_b64 s[94:95], 0
                                        ; implicit-def: $sgpr30_sgpr31
                                        ; implicit-def: $sgpr34_sgpr35
	s_branch .LBB6_1499
.LBB6_1498:                             ;   in Loop: Header=BB6_1499 Depth=3
	s_or_b64 exec, exec, s[38:39]
	s_and_b64 vcc, exec, vcc
	s_or_b64 s[94:95], vcc, s[94:95]
	s_andn2_b64 vcc, s[30:31], exec
	s_and_b64 s[30:31], s[34:35], exec
	s_or_b64 s[30:31], vcc, s[30:31]
	s_andn2_b64 exec, exec, s[94:95]
	s_cbranch_execz .LBB6_1503
.LBB6_1499:                             ;   Parent Loop BB6_47 Depth=1
                                        ;     Parent Loop BB6_1397 Depth=2
                                        ; =>    This Inner Loop Header: Depth=3
	s_add_i32 s79, s79, 1
	s_cmpk_lg_i32 s79, 0x2710
	s_cselect_b64 s[36:37], -1, 0
	s_and_b64 vcc, exec, s[36:37]
	s_cbranch_vccz .LBB6_1501
; %bb.1500:                             ;   in Loop: Header=BB6_1499 Depth=3
	s_mov_b64 vcc, -1
	s_or_b64 s[34:35], s[34:35], exec
	s_and_saveexec_b64 s[38:39], s[36:37]
	s_cbranch_execz .LBB6_1498
	s_branch .LBB6_1502
.LBB6_1501:                             ;   in Loop: Header=BB6_1499 Depth=3
	s_trap 2
	ds_read_b64 v[3:4], v0
	s_andn2_b64 s[36:37], s[36:37], exec
	s_mov_b32 s79, 0
	s_waitcnt lgkmcnt(0)
	flat_load_dword v0, v[3:4] glc
	s_waitcnt vmcnt(0) lgkmcnt(0)
	buffer_wbinvl1_vol
	v_cmp_eq_u32_e32 vcc, 0, v0
	s_and_b64 vcc, vcc, exec
	s_or_b64 s[36:37], s[36:37], vcc
	s_mov_b64 vcc, -1
	s_or_b64 s[34:35], s[34:35], exec
	s_and_saveexec_b64 s[38:39], s[36:37]
	s_cbranch_execz .LBB6_1498
.LBB6_1502:                             ;   in Loop: Header=BB6_1499 Depth=3
	s_sleep 1
	s_trap 2
	ds_read_b64 v[3:4], v0
	s_waitcnt lgkmcnt(0)
	s_andn2_b64 s[34:35], s[34:35], exec
	v_cmp_ge_u64_e32 vcc, v[3:4], v[48:49]
	s_orn2_b64 vcc, vcc, exec
	s_branch .LBB6_1498
.LBB6_1503:                             ;   in Loop: Header=BB6_1397 Depth=2
	s_or_b64 exec, exec, s[94:95]
	s_and_saveexec_b64 s[94:95], s[30:31]
	s_xor_b64 s[94:95], exec, s[94:95]
	s_cbranch_execz .LBB6_1505
; %bb.1504:                             ;   in Loop: Header=BB6_1397 Depth=2
	ds_write_b32 v0, v60
	s_trap 2
.LBB6_1505:                             ;   in Loop: Header=BB6_1397 Depth=2
	s_or_b64 exec, exec, s[92:93]
	;;#ASMSTART
	s_wakeup
	;;#ASMEND
.LBB6_1506:                             ;   in Loop: Header=BB6_1397 Depth=2
	s_or_b64 exec, exec, s[90:91]
.LBB6_1507:                             ;   in Loop: Header=BB6_1397 Depth=2
	s_andn2_saveexec_b64 s[88:89], s[88:89]
	s_cbranch_execz .LBB6_1509
; %bb.1508:                             ;   in Loop: Header=BB6_1397 Depth=2
	s_waitcnt vmcnt(0) lgkmcnt(0)
	buffer_wbinvl1_vol
	s_barrier
.LBB6_1509:                             ;   in Loop: Header=BB6_1397 Depth=2
	s_or_b64 exec, exec, s[88:89]
	s_or_b64 exec, exec, s[44:45]
	s_and_saveexec_b64 s[44:45], s[24:25]
	s_xor_b64 s[44:45], exec, s[44:45]
	s_cbranch_execnz .LBB6_1469
.LBB6_1510:                             ;   in Loop: Header=BB6_1397 Depth=2
	s_andn2_saveexec_b64 s[26:27], s[44:45]
	s_cbranch_execz .LBB6_1529
.LBB6_1511:                             ;   in Loop: Header=BB6_1397 Depth=2
	s_and_saveexec_b64 s[44:45], s[60:61]
	s_xor_b64 s[44:45], exec, s[44:45]
	s_cbranch_execz .LBB6_1526
; %bb.1512:                             ;   in Loop: Header=BB6_1397 Depth=2
	s_and_saveexec_b64 s[88:89], s[16:17]
	s_cbranch_execz .LBB6_1525
; %bb.1513:                             ;   in Loop: Header=BB6_1397 Depth=2
	s_mov_b64 s[92:93], exec
	v_mbcnt_lo_u32_b32 v0, s92, 0
	v_mbcnt_hi_u32_b32 v0, s93, v0
	v_cmp_eq_u32_e32 vcc, 0, v0
	;;#ASMSTART
	s_waitcnt lgkmcnt(0) vmcnt(0)
	;;#ASMEND
	s_and_saveexec_b64 s[90:91], vcc
	s_cbranch_execz .LBB6_1515
; %bb.1514:                             ;   in Loop: Header=BB6_1397 Depth=2
	s_bcnt1_i32_b64 s79, s[92:93]
	v_mov_b32_e32 v3, s79
	v_mov_b32_e32 v4, v2
	s_waitcnt lgkmcnt(0)
	ds_add_u64 v0, v[3:4]
	s_trap 2
.LBB6_1515:                             ;   in Loop: Header=BB6_1397 Depth=2
	s_or_b64 exec, exec, s[90:91]
	s_trap 2
	ds_read_b64 v[3:4], v0
	s_waitcnt lgkmcnt(0)
	v_add_co_u32_e32 v48, vcc, v48, v51
	v_addc_co_u32_e32 v49, vcc, 0, v49, vcc
	v_cmp_lt_u64_e32 vcc, v[3:4], v[48:49]
	s_and_saveexec_b64 s[90:91], vcc
	s_cbranch_execz .LBB6_1524
; %bb.1516:                             ;   in Loop: Header=BB6_1397 Depth=2
	s_mov_b32 s79, 0
	s_mov_b64 s[92:93], 0
                                        ; implicit-def: $sgpr94_sgpr95
                                        ; implicit-def: $sgpr30_sgpr31
	s_branch .LBB6_1518
.LBB6_1517:                             ;   in Loop: Header=BB6_1518 Depth=3
	s_or_b64 exec, exec, s[36:37]
	s_and_b64 vcc, exec, vcc
	s_or_b64 s[92:93], vcc, s[92:93]
	s_andn2_b64 s[94:95], s[94:95], exec
	s_and_b64 vcc, s[30:31], exec
	s_or_b64 s[94:95], s[94:95], vcc
	s_andn2_b64 exec, exec, s[92:93]
	s_cbranch_execz .LBB6_1522
.LBB6_1518:                             ;   Parent Loop BB6_47 Depth=1
                                        ;     Parent Loop BB6_1397 Depth=2
                                        ; =>    This Inner Loop Header: Depth=3
	s_add_i32 s79, s79, 1
	s_cmpk_lg_i32 s79, 0x2710
	s_cselect_b64 s[34:35], -1, 0
	s_and_b64 vcc, exec, s[34:35]
	s_cbranch_vccz .LBB6_1520
; %bb.1519:                             ;   in Loop: Header=BB6_1518 Depth=3
	s_mov_b64 vcc, -1
	s_or_b64 s[30:31], s[30:31], exec
	s_and_saveexec_b64 s[36:37], s[34:35]
	s_cbranch_execz .LBB6_1517
	s_branch .LBB6_1521
.LBB6_1520:                             ;   in Loop: Header=BB6_1518 Depth=3
	s_trap 2
	ds_read_b64 v[3:4], v0
	s_andn2_b64 s[34:35], s[34:35], exec
	s_mov_b32 s79, 0
	s_waitcnt vmcnt(0) lgkmcnt(0)
	flat_load_dword v0, v[3:4] glc
	s_waitcnt vmcnt(0) lgkmcnt(0)
	buffer_wbinvl1_vol
	v_cmp_eq_u32_e32 vcc, 0, v0
	s_and_b64 vcc, vcc, exec
	s_or_b64 s[34:35], s[34:35], vcc
	s_mov_b64 vcc, -1
	s_or_b64 s[30:31], s[30:31], exec
	s_and_saveexec_b64 s[36:37], s[34:35]
	s_cbranch_execz .LBB6_1517
.LBB6_1521:                             ;   in Loop: Header=BB6_1518 Depth=3
	s_sleep 1
	s_trap 2
	ds_read_b64 v[3:4], v0
	s_waitcnt lgkmcnt(0)
	s_andn2_b64 s[30:31], s[30:31], exec
	v_cmp_ge_u64_e32 vcc, v[3:4], v[48:49]
	s_orn2_b64 vcc, vcc, exec
	s_branch .LBB6_1517
.LBB6_1522:                             ;   in Loop: Header=BB6_1397 Depth=2
	s_or_b64 exec, exec, s[92:93]
	s_and_saveexec_b64 s[92:93], s[94:95]
	s_xor_b64 s[92:93], exec, s[92:93]
	s_cbranch_execz .LBB6_1524
; %bb.1523:                             ;   in Loop: Header=BB6_1397 Depth=2
	ds_write_b32 v0, v60
	s_trap 2
.LBB6_1524:                             ;   in Loop: Header=BB6_1397 Depth=2
	s_or_b64 exec, exec, s[90:91]
	;;#ASMSTART
	s_wakeup
	;;#ASMEND
.LBB6_1525:                             ;   in Loop: Header=BB6_1397 Depth=2
	s_or_b64 exec, exec, s[88:89]
.LBB6_1526:                             ;   in Loop: Header=BB6_1397 Depth=2
	s_andn2_saveexec_b64 s[44:45], s[44:45]
	s_cbranch_execz .LBB6_1528
; %bb.1527:                             ;   in Loop: Header=BB6_1397 Depth=2
	;;#ASMSTART
	s_waitcnt lgkmcnt(0) vmcnt(0)
	;;#ASMEND
	s_waitcnt vmcnt(0) lgkmcnt(0)
	s_barrier
.LBB6_1528:                             ;   in Loop: Header=BB6_1397 Depth=2
	s_or_b64 exec, exec, s[44:45]
.LBB6_1529:                             ;   in Loop: Header=BB6_1397 Depth=2
	s_or_b64 exec, exec, s[26:27]
	v_and_b32_e32 v0, 32, v62
	v_cmp_ne_u32_e32 vcc, 0, v0
	s_and_saveexec_b64 s[26:27], vcc
	s_cbranch_execz .LBB6_1396
; %bb.1530:                             ;   in Loop: Header=BB6_1397 Depth=2
	v_add_co_u32_e32 v40, vcc, 2, v40
	v_addc_co_u32_e32 v41, vcc, 0, v41, vcc
	flat_store_dwordx2 v[32:33], v[40:41]
	s_branch .LBB6_1396
.LBB6_1531:                             ;   in Loop: Header=BB6_47 Depth=1
	s_or_b64 exec, exec, s[40:41]
.LBB6_1532:                             ;   in Loop: Header=BB6_47 Depth=1
	s_or_b64 exec, exec, s[28:29]
	v_cmp_gt_i32_e32 vcc, 2, v9
	s_and_saveexec_b64 s[28:29], vcc
	s_cbranch_execz .LBB6_46
; %bb.1533:                             ;   in Loop: Header=BB6_47 Depth=1
	v_cmp_eq_u32_e64 s[42:43], 0, v9
	s_mov_b64 s[40:41], 0
	s_branch .LBB6_1535
.LBB6_1534:                             ;   in Loop: Header=BB6_1535 Depth=2
	s_or_b64 exec, exec, s[26:27]
	v_add_u32_e32 v8, v19, v8
	s_mov_b64 s[42:43], 0
	s_andn2_b64 exec, exec, s[40:41]
	s_cbranch_execz .LBB6_45
.LBB6_1535:                             ;   Parent Loop BB6_47 Depth=1
                                        ; =>  This Loop Header: Depth=2
                                        ;       Child Loop BB6_1541 Depth 3
                                        ;       Child Loop BB6_1565 Depth 3
	;; [unrolled: 1-line block ×3, first 2 shown]
	v_and_b32_e32 v0, 4, v62
	v_cmp_ne_u32_e32 vcc, 0, v0
	s_and_saveexec_b64 s[44:45], vcc
	s_cbranch_execz .LBB6_1557
; %bb.1536:                             ;   in Loop: Header=BB6_1535 Depth=2
	v_add_co_u32_e32 v3, vcc, 2, v40
	v_addc_co_u32_e32 v4, vcc, 0, v41, vcc
	s_waitcnt vmcnt(0) lgkmcnt(0)
	v_cmp_lt_u64_e32 vcc, v[38:39], v[3:4]
	s_and_saveexec_b64 s[88:89], vcc
	s_cbranch_execz .LBB6_1548
; %bb.1537:                             ;   in Loop: Header=BB6_1535 Depth=2
	v_and_b32_e32 v0, 64, v62
	s_mov_b32 s58, 0
	v_cmp_eq_u32_e32 vcc, 0, v0
	s_mov_b64 s[90:91], 0
                                        ; implicit-def: $sgpr92_sgpr93
                                        ; implicit-def: $sgpr94_sgpr95
                                        ; implicit-def: $sgpr30_sgpr31
	s_branch .LBB6_1541
.LBB6_1538:                             ;   in Loop: Header=BB6_1541 Depth=3
	s_waitcnt vmcnt(0) lgkmcnt(0)
	v_cmp_ge_u64_e64 s[26:27], v[38:39], v[3:4]
	s_or_b64 s[38:39], s[38:39], exec
	s_orn2_b64 s[36:37], s[26:27], exec
.LBB6_1539:                             ;   in Loop: Header=BB6_1541 Depth=3
	s_or_b64 exec, exec, s[50:51]
	s_andn2_b64 s[26:27], s[30:31], exec
	s_and_b64 s[30:31], s[38:39], exec
	s_or_b64 s[30:31], s[26:27], s[30:31]
	s_andn2_b64 s[26:27], s[94:95], exec
	s_and_b64 s[94:95], s[36:37], exec
	s_or_b64 s[94:95], s[26:27], s[94:95]
.LBB6_1540:                             ;   in Loop: Header=BB6_1541 Depth=3
	s_or_b64 exec, exec, s[34:35]
	s_and_b64 s[26:27], exec, s[94:95]
	s_or_b64 s[90:91], s[26:27], s[90:91]
	s_andn2_b64 s[26:27], s[92:93], exec
	s_and_b64 s[92:93], s[30:31], exec
	s_or_b64 s[92:93], s[26:27], s[92:93]
	s_andn2_b64 exec, exec, s[90:91]
	s_cbranch_execz .LBB6_1545
.LBB6_1541:                             ;   Parent Loop BB6_47 Depth=1
                                        ;     Parent Loop BB6_1535 Depth=2
                                        ; =>    This Inner Loop Header: Depth=3
	s_sleep 1
	s_waitcnt vmcnt(0) lgkmcnt(0)
	flat_load_dwordx2 v[38:39], v[32:33] glc
	s_or_b64 s[30:31], s[30:31], exec
	s_or_b64 s[94:95], s[94:95], exec
                                        ; implicit-def: $vgpr9
	s_and_saveexec_b64 s[34:35], vcc
	s_cbranch_execz .LBB6_1540
; %bb.1542:                             ;   in Loop: Header=BB6_1541 Depth=3
	s_cmpk_lt_i32 s58, 0x270f
	s_cselect_b64 s[48:49], -1, 0
	s_cmpk_gt_i32 s58, 0x270e
	s_mov_b64 s[36:37], -1
	s_cbranch_scc0 .LBB6_1544
; %bb.1543:                             ;   in Loop: Header=BB6_1541 Depth=3
	s_trap 2
	ds_read_b64 v[9:10], v0
	s_andn2_b64 s[48:49], s[48:49], exec
	s_mov_b32 s58, 0
	s_mov_b64 s[38:39], 0
	s_waitcnt vmcnt(0) lgkmcnt(0)
	flat_load_dword v9, v[9:10] glc
	s_waitcnt vmcnt(0) lgkmcnt(0)
	buffer_wbinvl1_vol
	v_cmp_eq_u32_e64 s[26:27], 0, v9
	s_and_b64 s[26:27], s[26:27], exec
	s_or_b64 s[48:49], s[48:49], s[26:27]
	s_and_saveexec_b64 s[50:51], s[48:49]
	s_cbranch_execz .LBB6_1539
	s_branch .LBB6_1538
.LBB6_1544:                             ;   in Loop: Header=BB6_1541 Depth=3
	s_add_i32 s58, s58, 1
	s_mov_b64 s[38:39], -1
                                        ; implicit-def: $vgpr9
	s_and_saveexec_b64 s[50:51], s[48:49]
	s_cbranch_execz .LBB6_1539
	s_branch .LBB6_1538
.LBB6_1545:                             ;   in Loop: Header=BB6_1535 Depth=2
	s_or_b64 exec, exec, s[90:91]
	s_xor_b64 s[26:27], s[92:93], -1
	s_and_saveexec_b64 s[90:91], s[26:27]
	s_xor_b64 s[26:27], exec, s[90:91]
	s_cbranch_execz .LBB6_1547
; %bb.1546:                             ;   in Loop: Header=BB6_1535 Depth=2
	v_or_b32_e32 v62, 64, v62
	s_waitcnt lgkmcnt(0)
	ds_write_b32 v0, v9
	s_trap 2
.LBB6_1547:                             ;   in Loop: Header=BB6_1535 Depth=2
	s_or_b64 exec, exec, s[26:27]
.LBB6_1548:                             ;   in Loop: Header=BB6_1535 Depth=2
	s_or_b64 exec, exec, s[88:89]
	v_and_b32_e32 v0, 0x100, v62
	v_cmp_ne_u32_e32 vcc, 0, v0
	v_and_b32_e32 v13, 7, v40
	s_mov_b64 s[26:27], -1
	;;#ASMSTART
	s_wakeup
	;;#ASMEND
                                        ; implicit-def: $vgpr9_vgpr10
	s_and_saveexec_b64 s[88:89], vcc
	s_cbranch_execz .LBB6_1552
; %bb.1549:                             ;   in Loop: Header=BB6_1535 Depth=2
	buffer_load_dword v9, off, s[0:3], s33 offset:60 ; 4-byte Folded Reload
	buffer_load_dword v10, off, s[0:3], s33 offset:64 ; 4-byte Folded Reload
	;; [unrolled: 1-line block ×4, first 2 shown]
	s_waitcnt vmcnt(0)
	v_mad_u64_u32 v[11:12], s[26:27], v13, 24, v[9:10]
                                        ; implicit-def: $vgpr9_vgpr10
	flat_load_dword v0, v[11:12]
	s_waitcnt vmcnt(0) lgkmcnt(0)
	v_cmp_ne_u32_e32 vcc, 1, v0
	v_cmp_eq_u32_e64 s[26:27], 1, v0
	s_and_saveexec_b64 s[90:91], s[26:27]
	s_cbranch_execz .LBB6_1551
; %bb.1550:                             ;   in Loop: Header=BB6_1535 Depth=2
	flat_load_dword v9, v[11:12] offset:4 glc
	s_waitcnt vmcnt(0) lgkmcnt(0)
	v_ashrrev_i32_e32 v10, 31, v9
	v_lshrrev_b64 v[9:10], 1, v[9:10]
.LBB6_1551:                             ;   in Loop: Header=BB6_1535 Depth=2
	s_or_b64 exec, exec, s[90:91]
	s_orn2_b64 s[26:27], vcc, exec
.LBB6_1552:                             ;   in Loop: Header=BB6_1535 Depth=2
	s_or_b64 exec, exec, s[88:89]
	s_and_saveexec_b64 s[88:89], s[26:27]
; %bb.1553:                             ;   in Loop: Header=BB6_1535 Depth=2
	v_mad_i64_i32 v[9:10], s[26:27], v13, v50, 0
; %bb.1554:                             ;   in Loop: Header=BB6_1535 Depth=2
	s_or_b64 exec, exec, s[88:89]
	v_lshlrev_b64 v[9:10], 1, v[9:10]
	v_add_co_u32_e32 v9, vcc, v5, v9
	v_addc_co_u32_e32 v10, vcc, v6, v10, vcc
	ds_write_b64 v0, v[9:10] offset:720
	v_and_b32_e32 v0, 0x2000, v62
	v_cmp_ne_u32_e32 vcc, 0, v0
	s_and_saveexec_b64 s[26:27], vcc
	s_cbranch_execz .LBB6_1556
; %bb.1555:                             ;   in Loop: Header=BB6_1535 Depth=2
	ds_read_b64 v[9:10], v0 offset:872
	s_waitcnt lgkmcnt(0)
	v_add_co_u32_e32 v9, vcc, 1, v9
	v_addc_co_u32_e32 v10, vcc, 0, v10, vcc
	ds_write_b64 v0, v[9:10] offset:872
.LBB6_1556:                             ;   in Loop: Header=BB6_1535 Depth=2
	s_or_b64 exec, exec, s[26:27]
	v_mov_b32_e32 v41, v4
	v_mov_b32_e32 v40, v3
.LBB6_1557:                             ;   in Loop: Header=BB6_1535 Depth=2
	s_or_b64 exec, exec, s[44:45]
	s_xor_b64 s[26:27], s[42:43], -1
	s_and_b64 s[26:27], exec, s[26:27]
	s_or_b64 s[40:41], s[26:27], s[40:41]
	s_and_saveexec_b64 s[26:27], s[10:11]
	s_cbranch_execz .LBB6_1576
; %bb.1558:                             ;   in Loop: Header=BB6_1535 Depth=2
	s_and_saveexec_b64 s[42:43], s[60:61]
	s_xor_b64 s[42:43], exec, s[42:43]
	s_cbranch_execz .LBB6_1573
; %bb.1559:                             ;   in Loop: Header=BB6_1535 Depth=2
	s_and_saveexec_b64 s[44:45], s[16:17]
	s_cbranch_execz .LBB6_1572
; %bb.1560:                             ;   in Loop: Header=BB6_1535 Depth=2
	s_mov_b64 s[90:91], exec
	v_mbcnt_lo_u32_b32 v0, s90, 0
	v_mbcnt_hi_u32_b32 v0, s91, v0
	v_cmp_eq_u32_e32 vcc, 0, v0
	s_waitcnt vmcnt(0) lgkmcnt(0)
	buffer_wbinvl1_vol
	s_and_saveexec_b64 s[88:89], vcc
	s_cbranch_execz .LBB6_1562
; %bb.1561:                             ;   in Loop: Header=BB6_1535 Depth=2
	s_bcnt1_i32_b64 s58, s[90:91]
	v_mov_b32_e32 v3, s58
	v_mov_b32_e32 v4, v2
	ds_add_u64 v0, v[3:4]
	s_trap 2
.LBB6_1562:                             ;   in Loop: Header=BB6_1535 Depth=2
	s_or_b64 exec, exec, s[88:89]
	s_trap 2
	ds_read_b64 v[3:4], v0
	s_waitcnt lgkmcnt(0)
	v_add_co_u32_e32 v48, vcc, v48, v51
	v_addc_co_u32_e32 v49, vcc, 0, v49, vcc
	v_cmp_lt_u64_e32 vcc, v[3:4], v[48:49]
	s_and_saveexec_b64 s[88:89], vcc
	s_cbranch_execz .LBB6_1571
; %bb.1563:                             ;   in Loop: Header=BB6_1535 Depth=2
	s_mov_b32 s58, 0
	s_mov_b64 s[90:91], 0
                                        ; implicit-def: $sgpr92_sgpr93
                                        ; implicit-def: $sgpr94_sgpr95
	s_branch .LBB6_1565
.LBB6_1564:                             ;   in Loop: Header=BB6_1565 Depth=3
	s_or_b64 exec, exec, s[34:35]
	s_and_b64 vcc, exec, vcc
	s_or_b64 s[90:91], vcc, s[90:91]
	s_andn2_b64 s[92:93], s[92:93], exec
	s_and_b64 vcc, s[94:95], exec
	s_or_b64 s[92:93], s[92:93], vcc
	s_andn2_b64 exec, exec, s[90:91]
	s_cbranch_execz .LBB6_1569
.LBB6_1565:                             ;   Parent Loop BB6_47 Depth=1
                                        ;     Parent Loop BB6_1535 Depth=2
                                        ; =>    This Inner Loop Header: Depth=3
	s_add_i32 s58, s58, 1
	s_cmpk_lg_i32 s58, 0x2710
	s_cselect_b64 s[30:31], -1, 0
	s_and_b64 vcc, exec, s[30:31]
	s_cbranch_vccz .LBB6_1567
; %bb.1566:                             ;   in Loop: Header=BB6_1565 Depth=3
	s_mov_b64 vcc, -1
	s_or_b64 s[94:95], s[94:95], exec
	s_and_saveexec_b64 s[34:35], s[30:31]
	s_cbranch_execz .LBB6_1564
	s_branch .LBB6_1568
.LBB6_1567:                             ;   in Loop: Header=BB6_1565 Depth=3
	s_trap 2
	ds_read_b64 v[3:4], v0
	s_andn2_b64 s[30:31], s[30:31], exec
	s_mov_b32 s58, 0
	s_waitcnt lgkmcnt(0)
	flat_load_dword v0, v[3:4] glc
	s_waitcnt vmcnt(0) lgkmcnt(0)
	buffer_wbinvl1_vol
	v_cmp_eq_u32_e32 vcc, 0, v0
	s_and_b64 vcc, vcc, exec
	s_or_b64 s[30:31], s[30:31], vcc
	s_mov_b64 vcc, -1
	s_or_b64 s[94:95], s[94:95], exec
	s_and_saveexec_b64 s[34:35], s[30:31]
	s_cbranch_execz .LBB6_1564
.LBB6_1568:                             ;   in Loop: Header=BB6_1565 Depth=3
	s_sleep 1
	s_trap 2
	ds_read_b64 v[3:4], v0
	s_waitcnt lgkmcnt(0)
	s_andn2_b64 s[94:95], s[94:95], exec
	v_cmp_ge_u64_e32 vcc, v[3:4], v[48:49]
	s_orn2_b64 vcc, vcc, exec
	s_branch .LBB6_1564
.LBB6_1569:                             ;   in Loop: Header=BB6_1535 Depth=2
	s_or_b64 exec, exec, s[90:91]
	s_and_saveexec_b64 s[90:91], s[92:93]
	s_xor_b64 s[90:91], exec, s[90:91]
	s_cbranch_execz .LBB6_1571
; %bb.1570:                             ;   in Loop: Header=BB6_1535 Depth=2
	ds_write_b32 v0, v60
	s_trap 2
.LBB6_1571:                             ;   in Loop: Header=BB6_1535 Depth=2
	s_or_b64 exec, exec, s[88:89]
	;;#ASMSTART
	s_wakeup
	;;#ASMEND
.LBB6_1572:                             ;   in Loop: Header=BB6_1535 Depth=2
	s_or_b64 exec, exec, s[44:45]
.LBB6_1573:                             ;   in Loop: Header=BB6_1535 Depth=2
	s_andn2_saveexec_b64 s[42:43], s[42:43]
	s_cbranch_execz .LBB6_1575
; %bb.1574:                             ;   in Loop: Header=BB6_1535 Depth=2
	s_waitcnt vmcnt(0) lgkmcnt(0)
	buffer_wbinvl1_vol
	s_barrier
.LBB6_1575:                             ;   in Loop: Header=BB6_1535 Depth=2
	s_or_b64 exec, exec, s[42:43]
.LBB6_1576:                             ;   in Loop: Header=BB6_1535 Depth=2
	s_or_b64 exec, exec, s[26:27]
	v_sub_u32_e32 v0, v18, v8
	v_min_i32_e32 v19, v19, v0
	s_and_saveexec_b64 s[26:27], s[24:25]
	s_xor_b64 s[26:27], exec, s[26:27]
	s_cbranch_execz .LBB6_1580
; %bb.1577:                             ;   in Loop: Header=BB6_1535 Depth=2
	s_trap 2
	ds_read_b32 v0, v0
	v_cmp_lt_i32_e32 vcc, 0, v19
	v_and_b32_e32 v3, 16, v62
	s_waitcnt lgkmcnt(0)
	v_readfirstlane_b32 s42, v0
	s_cmp_eq_u32 s42, 0
	s_cselect_b64 s[42:43], -1, 0
	s_and_b64 s[42:43], vcc, s[42:43]
	v_cmp_ne_u32_e32 vcc, 0, v3
	s_and_b64 s[44:45], vcc, s[42:43]
	s_and_saveexec_b64 s[42:43], s[44:45]
	s_cbranch_execz .LBB6_1579
; %bb.1578:                             ;   in Loop: Header=BB6_1535 Depth=2
	s_waitcnt vmcnt(0)
	buffer_wbinvl1_vol
.LBB6_1579:                             ;   in Loop: Header=BB6_1535 Depth=2
	s_or_b64 exec, exec, s[42:43]
.LBB6_1580:                             ;   in Loop: Header=BB6_1535 Depth=2
	s_andn2_saveexec_b64 s[26:27], s[26:27]
	s_cbranch_execz .LBB6_1599
; %bb.1581:                             ;   in Loop: Header=BB6_1535 Depth=2
	s_and_saveexec_b64 s[42:43], s[60:61]
	s_xor_b64 s[42:43], exec, s[42:43]
	s_cbranch_execz .LBB6_1596
; %bb.1582:                             ;   in Loop: Header=BB6_1535 Depth=2
	s_and_saveexec_b64 s[44:45], s[16:17]
	s_cbranch_execz .LBB6_1595
; %bb.1583:                             ;   in Loop: Header=BB6_1535 Depth=2
	s_mov_b64 s[90:91], exec
	v_mbcnt_lo_u32_b32 v0, s90, 0
	v_mbcnt_hi_u32_b32 v0, s91, v0
	v_cmp_eq_u32_e32 vcc, 0, v0
	;;#ASMSTART
	s_waitcnt lgkmcnt(0) vmcnt(0)
	;;#ASMEND
	s_and_saveexec_b64 s[88:89], vcc
	s_cbranch_execz .LBB6_1585
; %bb.1584:                             ;   in Loop: Header=BB6_1535 Depth=2
	s_bcnt1_i32_b64 s58, s[90:91]
	v_mov_b32_e32 v3, s58
	v_mov_b32_e32 v4, v2
	s_waitcnt lgkmcnt(0)
	ds_add_u64 v0, v[3:4]
	s_trap 2
.LBB6_1585:                             ;   in Loop: Header=BB6_1535 Depth=2
	s_or_b64 exec, exec, s[88:89]
	s_trap 2
	ds_read_b64 v[3:4], v0
	s_waitcnt lgkmcnt(0)
	v_add_co_u32_e32 v48, vcc, v48, v51
	v_addc_co_u32_e32 v49, vcc, 0, v49, vcc
	v_cmp_lt_u64_e32 vcc, v[3:4], v[48:49]
	s_and_saveexec_b64 s[88:89], vcc
	s_cbranch_execz .LBB6_1594
; %bb.1586:                             ;   in Loop: Header=BB6_1535 Depth=2
	s_mov_b32 s58, 0
	s_mov_b64 s[90:91], 0
                                        ; implicit-def: $sgpr92_sgpr93
                                        ; implicit-def: $sgpr94_sgpr95
	s_branch .LBB6_1588
.LBB6_1587:                             ;   in Loop: Header=BB6_1588 Depth=3
	s_or_b64 exec, exec, s[34:35]
	s_and_b64 vcc, exec, vcc
	s_or_b64 s[90:91], vcc, s[90:91]
	s_andn2_b64 s[92:93], s[92:93], exec
	s_and_b64 vcc, s[94:95], exec
	s_or_b64 s[92:93], s[92:93], vcc
	s_andn2_b64 exec, exec, s[90:91]
	s_cbranch_execz .LBB6_1592
.LBB6_1588:                             ;   Parent Loop BB6_47 Depth=1
                                        ;     Parent Loop BB6_1535 Depth=2
                                        ; =>    This Inner Loop Header: Depth=3
	s_add_i32 s58, s58, 1
	s_cmpk_lg_i32 s58, 0x2710
	s_cselect_b64 s[30:31], -1, 0
	s_and_b64 vcc, exec, s[30:31]
	s_cbranch_vccz .LBB6_1590
; %bb.1589:                             ;   in Loop: Header=BB6_1588 Depth=3
	s_mov_b64 vcc, -1
	s_or_b64 s[94:95], s[94:95], exec
	s_and_saveexec_b64 s[34:35], s[30:31]
	s_cbranch_execz .LBB6_1587
	s_branch .LBB6_1591
.LBB6_1590:                             ;   in Loop: Header=BB6_1588 Depth=3
	s_trap 2
	ds_read_b64 v[3:4], v0
	s_andn2_b64 s[30:31], s[30:31], exec
	s_mov_b32 s58, 0
	s_waitcnt vmcnt(0) lgkmcnt(0)
	flat_load_dword v0, v[3:4] glc
	s_waitcnt vmcnt(0) lgkmcnt(0)
	buffer_wbinvl1_vol
	v_cmp_eq_u32_e32 vcc, 0, v0
	s_and_b64 vcc, vcc, exec
	s_or_b64 s[30:31], s[30:31], vcc
	s_mov_b64 vcc, -1
	s_or_b64 s[94:95], s[94:95], exec
	s_and_saveexec_b64 s[34:35], s[30:31]
	s_cbranch_execz .LBB6_1587
.LBB6_1591:                             ;   in Loop: Header=BB6_1588 Depth=3
	s_sleep 1
	s_trap 2
	ds_read_b64 v[3:4], v0
	s_waitcnt lgkmcnt(0)
	s_andn2_b64 s[94:95], s[94:95], exec
	v_cmp_ge_u64_e32 vcc, v[3:4], v[48:49]
	s_orn2_b64 vcc, vcc, exec
	s_branch .LBB6_1587
.LBB6_1592:                             ;   in Loop: Header=BB6_1535 Depth=2
	s_or_b64 exec, exec, s[90:91]
	s_and_saveexec_b64 s[90:91], s[92:93]
	s_xor_b64 s[90:91], exec, s[90:91]
	s_cbranch_execz .LBB6_1594
; %bb.1593:                             ;   in Loop: Header=BB6_1535 Depth=2
	ds_write_b32 v0, v60
	s_trap 2
.LBB6_1594:                             ;   in Loop: Header=BB6_1535 Depth=2
	s_or_b64 exec, exec, s[88:89]
	;;#ASMSTART
	s_wakeup
	;;#ASMEND
.LBB6_1595:                             ;   in Loop: Header=BB6_1535 Depth=2
	s_or_b64 exec, exec, s[44:45]
.LBB6_1596:                             ;   in Loop: Header=BB6_1535 Depth=2
	s_andn2_saveexec_b64 s[42:43], s[42:43]
	s_cbranch_execz .LBB6_1598
; %bb.1597:                             ;   in Loop: Header=BB6_1535 Depth=2
	;;#ASMSTART
	s_waitcnt lgkmcnt(0) vmcnt(0)
	;;#ASMEND
	s_waitcnt vmcnt(0) lgkmcnt(0)
	s_barrier
.LBB6_1598:                             ;   in Loop: Header=BB6_1535 Depth=2
	s_or_b64 exec, exec, s[42:43]
.LBB6_1599:                             ;   in Loop: Header=BB6_1535 Depth=2
	s_or_b64 exec, exec, s[26:27]
	v_and_b32_e32 v0, 32, v62
	v_cmp_ne_u32_e32 vcc, 0, v0
	s_and_saveexec_b64 s[26:27], vcc
	s_cbranch_execz .LBB6_1534
; %bb.1600:                             ;   in Loop: Header=BB6_1535 Depth=2
	v_add_co_u32_e32 v40, vcc, 2, v40
	v_addc_co_u32_e32 v41, vcc, 0, v41, vcc
	flat_store_dwordx2 v[32:33], v[40:41]
	s_branch .LBB6_1534
.LBB6_1601:
	s_or_b64 exec, exec, s[62:63]
	buffer_load_dword v18, off, s[0:3], s33 offset:204 ; 4-byte Folded Reload
	buffer_load_dword v31, off, s[0:3], s33 offset:208 ; 4-byte Folded Reload
	;; [unrolled: 1-line block ×5, first 2 shown]
.LBB6_1602:
	s_or_b64 exec, exec, s[56:57]
	v_and_b32_e32 v0, 0x800, v62
	v_cmp_eq_u32_e32 vcc, 0, v0
	s_and_saveexec_b64 s[6:7], vcc
	s_cbranch_execz .LBB6_1635
; %bb.1603:
	v_and_b32_e32 v0, 48, v62
	v_cmp_ne_u32_e32 vcc, 0, v0
	s_and_saveexec_b64 s[4:5], vcc
	s_cbranch_execz .LBB6_1605
; %bb.1604:
	s_waitcnt vmcnt(0)
	flat_store_dwordx2 v[20:21], v[40:41] offset:104
.LBB6_1605:
	s_or_b64 exec, exec, s[4:5]
	s_movk_i32 s4, 0x88
	v_and_b32_e32 v0, 0x88, v62
	v_cmp_eq_u32_e32 vcc, s4, v0
	s_and_saveexec_b64 s[10:11], vcc
	s_cbranch_execz .LBB6_1615
; %bb.1606:
	buffer_load_dword v1, off, s[0:3], s33 offset:60 ; 4-byte Folded Reload
	buffer_load_dword v2, off, s[0:3], s33 offset:64 ; 4-byte Folded Reload
	;; [unrolled: 1-line block ×4, first 2 shown]
	v_add_u32_e32 v0, 6, v40
	v_and_b32_e32 v0, 7, v0
	s_waitcnt vmcnt(0)
	v_and_b32_e32 v4, 64, v62
	s_mov_b32 s22, 0
	v_mad_u64_u32 v[2:3], s[4:5], v0, 24, v[1:2]
	v_cmp_eq_u32_e64 s[4:5], 0, v4
	flat_load_dwordx2 v[0:1], v[2:3] offset:8 glc
	s_waitcnt vmcnt(0) lgkmcnt(0)
	v_cmp_ne_u64_e32 vcc, -1, v[0:1]
	s_and_b64 s[4:5], vcc, s[4:5]
	s_and_b64 exec, exec, s[4:5]
	s_cbranch_execz .LBB6_1615
; %bb.1607:
	s_mov_b64 s[4:5], 0
                                        ; implicit-def: $sgpr12_sgpr13
                                        ; implicit-def: $sgpr14_sgpr15
	s_branch .LBB6_1610
.LBB6_1608:                             ;   in Loop: Header=BB6_1610 Depth=1
	flat_load_dwordx2 v[4:5], v[2:3] offset:8 glc
	s_waitcnt vmcnt(0)
	s_andn2_b64 s[14:15], s[14:15], exec
	s_waitcnt lgkmcnt(0)
	v_cmp_eq_u64_e32 vcc, -1, v[4:5]
	s_orn2_b64 s[18:19], vcc, exec
.LBB6_1609:                             ;   in Loop: Header=BB6_1610 Depth=1
	s_or_b64 exec, exec, s[20:21]
	s_and_b64 s[16:17], exec, s[18:19]
	s_or_b64 s[4:5], s[16:17], s[4:5]
	s_andn2_b64 s[12:13], s[12:13], exec
	s_and_b64 s[16:17], s[14:15], exec
	s_or_b64 s[12:13], s[12:13], s[16:17]
	s_andn2_b64 exec, exec, s[4:5]
	s_cbranch_execz .LBB6_1613
.LBB6_1610:                             ; =>This Inner Loop Header: Depth=1
	s_cmpk_lt_i32 s22, 0x270f
	s_cselect_b64 s[16:17], -1, 0
	s_and_b64 vcc, exec, s[16:17]
	s_cbranch_vccnz .LBB6_1612
; %bb.1611:                             ;   in Loop: Header=BB6_1610 Depth=1
	s_trap 2
	ds_read_b64 v[0:1], v0
	s_andn2_b64 s[16:17], s[16:17], exec
	s_mov_b32 s22, 0
	s_waitcnt lgkmcnt(0)
	flat_load_dword v0, v[0:1] glc
	s_waitcnt vmcnt(0) lgkmcnt(0)
	buffer_wbinvl1_vol
	v_cmp_eq_u32_e32 vcc, 0, v0
	s_and_b64 s[18:19], vcc, exec
	s_or_b64 s[16:17], s[16:17], s[18:19]
	s_mov_b64 s[18:19], -1
	s_or_b64 s[14:15], s[14:15], exec
	s_and_saveexec_b64 s[20:21], s[16:17]
	s_cbranch_execz .LBB6_1609
	s_branch .LBB6_1608
.LBB6_1612:                             ;   in Loop: Header=BB6_1610 Depth=1
	s_add_i32 s22, s22, 1
                                        ; implicit-def: $vgpr0
	s_mov_b64 s[18:19], -1
	s_or_b64 s[14:15], s[14:15], exec
	s_and_saveexec_b64 s[20:21], s[16:17]
	s_cbranch_execz .LBB6_1609
	s_branch .LBB6_1608
.LBB6_1613:
	s_or_b64 exec, exec, s[4:5]
	s_and_saveexec_b64 s[4:5], s[12:13]
	s_xor_b64 s[4:5], exec, s[4:5]
	s_cbranch_execz .LBB6_1615
; %bb.1614:
	ds_write_b32 v0, v0
	s_trap 2
.LBB6_1615:
	s_or_b64 exec, exec, s[10:11]
	v_and_b32_e32 v0, 0x2000, v62
	v_cmp_ne_u32_e32 vcc, 0, v0
	s_and_saveexec_b64 s[4:5], vcc
	s_cbranch_execz .LBB6_1617
; %bb.1616:
	s_trap 2
	ds_read_b64 v[0:1], v0
	buffer_load_dword v2, off, s[0:3], s33 offset:224 ; 4-byte Folded Reload
	buffer_load_dword v3, off, s[0:3], s33 offset:228 ; 4-byte Folded Reload
	s_waitcnt vmcnt(0) lgkmcnt(0)
	flat_store_dwordx2 v[2:3], v[0:1] offset:16
.LBB6_1617:
	s_or_b64 exec, exec, s[4:5]
	s_waitcnt vmcnt(0)
	v_cmp_ne_u32_e32 vcc, 64, v18
	s_and_b64 exec, exec, vcc
	s_cbranch_execz .LBB6_1635
; %bb.1618:
	v_cmp_ne_u32_sdwa s[4:5], v18, v19 src0_sel:DWORD src1_sel:WORD_0
	s_and_saveexec_b64 s[10:11], s[4:5]
	s_xor_b64 s[4:5], exec, s[10:11]
	s_cbranch_execz .LBB6_1633
; %bb.1619:
	v_and_b32_e32 v0, 63, v31
	v_cmp_eq_u32_e32 vcc, 0, v0
	s_and_saveexec_b64 s[10:11], vcc
	s_cbranch_execz .LBB6_1632
; %bb.1620:
	s_mov_b64 s[14:15], exec
	v_mbcnt_lo_u32_b32 v0, s14, 0
	v_mbcnt_hi_u32_b32 v0, s15, v0
	v_cmp_eq_u32_e32 vcc, 0, v0
	s_waitcnt lgkmcnt(0)
	buffer_wbinvl1_vol
	s_and_saveexec_b64 s[12:13], vcc
	s_cbranch_execz .LBB6_1622
; %bb.1621:
	s_bcnt1_i32_b64 s14, s[14:15]
	v_mov_b32_e32 v0, s14
	v_mov_b32_e32 v1, 0
	ds_add_u64 v0, v[0:1]
	s_trap 2
.LBB6_1622:
	s_or_b64 exec, exec, s[12:13]
	v_lshrrev_b32_e32 v0, 6, v18
	s_trap 2
	ds_read_b64 v[2:3], v0
	s_waitcnt lgkmcnt(0)
	v_add_co_u32_e32 v0, vcc, v48, v0
	v_addc_co_u32_e32 v1, vcc, 0, v49, vcc
	v_cmp_lt_u64_e32 vcc, v[2:3], v[0:1]
	s_and_saveexec_b64 s[12:13], vcc
	s_cbranch_execz .LBB6_1631
; %bb.1623:
	s_mov_b32 s26, 0
	s_mov_b64 s[14:15], 0
                                        ; implicit-def: $sgpr16_sgpr17
                                        ; implicit-def: $sgpr18_sgpr19
	s_branch .LBB6_1625
.LBB6_1624:                             ;   in Loop: Header=BB6_1625 Depth=1
	s_or_b64 exec, exec, s[22:23]
	s_and_b64 s[20:21], exec, s[24:25]
	s_or_b64 s[14:15], s[20:21], s[14:15]
	s_andn2_b64 s[16:17], s[16:17], exec
	s_and_b64 s[20:21], s[18:19], exec
	s_or_b64 s[16:17], s[16:17], s[20:21]
	s_andn2_b64 exec, exec, s[14:15]
	s_cbranch_execz .LBB6_1629
.LBB6_1625:                             ; =>This Inner Loop Header: Depth=1
	s_add_i32 s26, s26, 1
	s_cmpk_lg_i32 s26, 0x2710
	s_cselect_b64 s[20:21], -1, 0
	s_and_b64 vcc, exec, s[20:21]
	s_cbranch_vccz .LBB6_1627
; %bb.1626:                             ;   in Loop: Header=BB6_1625 Depth=1
	s_mov_b64 s[24:25], -1
	s_or_b64 s[18:19], s[18:19], exec
	s_and_saveexec_b64 s[22:23], s[20:21]
	s_cbranch_execz .LBB6_1624
	s_branch .LBB6_1628
.LBB6_1627:                             ;   in Loop: Header=BB6_1625 Depth=1
	s_trap 2
	ds_read_b64 v[2:3], v0
	s_andn2_b64 s[20:21], s[20:21], exec
	s_mov_b32 s26, 0
	s_waitcnt lgkmcnt(0)
	flat_load_dword v2, v[2:3] glc
	s_waitcnt vmcnt(0) lgkmcnt(0)
	buffer_wbinvl1_vol
	v_cmp_eq_u32_e32 vcc, 0, v2
	s_and_b64 s[22:23], vcc, exec
	s_or_b64 s[20:21], s[20:21], s[22:23]
	s_mov_b64 s[24:25], -1
	s_or_b64 s[18:19], s[18:19], exec
	s_and_saveexec_b64 s[22:23], s[20:21]
	s_cbranch_execz .LBB6_1624
.LBB6_1628:                             ;   in Loop: Header=BB6_1625 Depth=1
	s_sleep 1
	s_trap 2
	ds_read_b64 v[2:3], v0
	s_waitcnt lgkmcnt(0)
	s_andn2_b64 s[18:19], s[18:19], exec
	v_cmp_ge_u64_e32 vcc, v[2:3], v[0:1]
	s_orn2_b64 s[24:25], vcc, exec
	s_branch .LBB6_1624
.LBB6_1629:
	s_or_b64 exec, exec, s[14:15]
	s_and_saveexec_b64 s[14:15], s[16:17]
	s_xor_b64 s[14:15], exec, s[14:15]
	s_cbranch_execz .LBB6_1631
; %bb.1630:
	v_mov_b32_e32 v0, 1
	ds_write_b32 v0, v0
	s_trap 2
.LBB6_1631:
	s_or_b64 exec, exec, s[12:13]
	;;#ASMSTART
	s_wakeup
	;;#ASMEND
.LBB6_1632:
	s_or_b64 exec, exec, s[10:11]
.LBB6_1633:
	s_andn2_saveexec_b64 s[4:5], s[4:5]
	s_cbranch_execz .LBB6_1635
; %bb.1634:
	s_waitcnt lgkmcnt(0)
	buffer_wbinvl1_vol
	s_barrier
.LBB6_1635:
	s_or_b64 exec, exec, s[6:7]
.LBB6_1636:
	s_andn2_saveexec_b64 s[26:27], s[46:47]
	s_cbranch_execz .LBB6_1638
; %bb.1637:
	s_getpc_b64 s[4:5]
	s_add_u32 s4, s4, __PRETTY_FUNCTION__._ZN10PrimitivesI12hip_bfloat1610FuncMinMaxIS0_E12FanSymmetricILi1EELi0E11ProtoSimpleILi2ELi2ELi0ELi2ELi0ELi0EELi0ELb0ELi0ELi0ELi0EEC2EiiPKiS9_PKvPvmhhhP15ncclDevWorkCollP14ncclDevWorkP2pii@rel32@lo+4
	s_addc_u32 s5, s5, __PRETTY_FUNCTION__._ZN10PrimitivesI12hip_bfloat1610FuncMinMaxIS0_E12FanSymmetricILi1EELi0E11ProtoSimpleILi2ELi2ELi0ELi2ELi0ELi0EELi0ELb0ELi0ELi0ELi0EEC2EiiPKiS9_PKvPvmhhhP15ncclDevWorkCollP14ncclDevWorkP2pii@rel32@hi+12
	s_getpc_b64 s[6:7]
	s_add_u32 s6, s6, __assert_fail@rel32@lo+4
	s_addc_u32 s7, s7, __assert_fail@rel32@hi+12
	v_mov_b32_e32 v0, s4
	v_mov_b32_e32 v1, s5
	s_swappc_b64 s[30:31], s[6:7]
	; divergent unreachable
.LBB6_1638:
	s_or_b64 exec, exec, s[26:27]
	buffer_load_dword v62, off, s[0:3], s33 ; 4-byte Folded Reload
	buffer_load_dword v61, off, s[0:3], s33 offset:4 ; 4-byte Folded Reload
	buffer_load_dword v60, off, s[0:3], s33 offset:8 ; 4-byte Folded Reload
	;; [unrolled: 1-line block ×14, first 2 shown]
	v_readlane_b32 s30, v63, 29
	v_readlane_b32 s31, v63, 30
	v_readlane_b32 s86, v63, 28
	v_readlane_b32 s85, v63, 27
	v_readlane_b32 s84, v63, 26
	v_readlane_b32 s83, v63, 25
	v_readlane_b32 s82, v63, 24
	v_readlane_b32 s81, v63, 23
	v_readlane_b32 s80, v63, 22
	v_readlane_b32 s71, v63, 21
	v_readlane_b32 s70, v63, 20
	v_readlane_b32 s69, v63, 19
	v_readlane_b32 s68, v63, 18
	v_readlane_b32 s67, v63, 17
	v_readlane_b32 s66, v63, 16
	v_readlane_b32 s65, v63, 15
	v_readlane_b32 s64, v63, 14
	v_readlane_b32 s55, v63, 13
	v_readlane_b32 s54, v63, 12
	v_readlane_b32 s53, v63, 11
	v_readlane_b32 s52, v63, 10
	v_readlane_b32 s51, v63, 9
	v_readlane_b32 s50, v63, 8
	v_readlane_b32 s49, v63, 7
	v_readlane_b32 s48, v63, 6
	v_readlane_b32 s39, v63, 5
	v_readlane_b32 s38, v63, 4
	v_readlane_b32 s37, v63, 3
	v_readlane_b32 s36, v63, 2
	v_readlane_b32 s35, v63, 1
	v_readlane_b32 s34, v63, 0
	s_mov_b32 s32, s33
	v_readlane_b32 s4, v63, 31
	s_or_saveexec_b64 s[6:7], -1
	buffer_load_dword v63, off, s[0:3], s33 offset:232 ; 4-byte Folded Reload
	s_mov_b64 exec, s[6:7]
	s_mov_b32 s33, s4
	s_waitcnt vmcnt(0) lgkmcnt(0)
	s_setpc_b64 s[30:31]
.Lfunc_end6:
	.size	_ZN12_GLOBAL__N_17runRingI12hip_bfloat1610FuncMinMaxIS1_E11ProtoSimpleILi2ELi2ELi0ELi2ELi0ELi0EELi0ELi0ELi2ELi0EEEviiP15ncclDevWorkColl, .Lfunc_end6-_ZN12_GLOBAL__N_17runRingI12hip_bfloat1610FuncMinMaxIS1_E11ProtoSimpleILi2ELi2ELi0ELi2ELi0ELi0EELi0ELi0ELi2ELi0EEEviiP15ncclDevWorkColl
                                        ; -- End function
	.set .L_ZN12_GLOBAL__N_17runRingI12hip_bfloat1610FuncMinMaxIS1_E11ProtoSimpleILi2ELi2ELi0ELi2ELi0ELi0EELi0ELi0ELi2ELi0EEEviiP15ncclDevWorkColl.num_vgpr, max(64, .L__assert_fail.num_vgpr)
	.set .L_ZN12_GLOBAL__N_17runRingI12hip_bfloat1610FuncMinMaxIS1_E11ProtoSimpleILi2ELi2ELi0ELi2ELi0ELi0EELi0ELi0ELi2ELi0EEEviiP15ncclDevWorkColl.num_agpr, max(0, .L__assert_fail.num_agpr)
	.set .L_ZN12_GLOBAL__N_17runRingI12hip_bfloat1610FuncMinMaxIS1_E11ProtoSimpleILi2ELi2ELi0ELi2ELi0ELi0EELi0ELi0ELi2ELi0EEEviiP15ncclDevWorkColl.numbered_sgpr, max(96, .L__assert_fail.numbered_sgpr)
	.set .L_ZN12_GLOBAL__N_17runRingI12hip_bfloat1610FuncMinMaxIS1_E11ProtoSimpleILi2ELi2ELi0ELi2ELi0ELi0EELi0ELi0ELi2ELi0EEEviiP15ncclDevWorkColl.num_named_barrier, max(0, .L__assert_fail.num_named_barrier)
	.set .L_ZN12_GLOBAL__N_17runRingI12hip_bfloat1610FuncMinMaxIS1_E11ProtoSimpleILi2ELi2ELi0ELi2ELi0ELi0EELi0ELi0ELi2ELi0EEEviiP15ncclDevWorkColl.private_seg_size, 240+max(.L__assert_fail.private_seg_size)
	.set .L_ZN12_GLOBAL__N_17runRingI12hip_bfloat1610FuncMinMaxIS1_E11ProtoSimpleILi2ELi2ELi0ELi2ELi0ELi0EELi0ELi0ELi2ELi0EEEviiP15ncclDevWorkColl.uses_vcc, or(1, .L__assert_fail.uses_vcc)
	.set .L_ZN12_GLOBAL__N_17runRingI12hip_bfloat1610FuncMinMaxIS1_E11ProtoSimpleILi2ELi2ELi0ELi2ELi0ELi0EELi0ELi0ELi2ELi0EEEviiP15ncclDevWorkColl.uses_flat_scratch, or(0, .L__assert_fail.uses_flat_scratch)
	.set .L_ZN12_GLOBAL__N_17runRingI12hip_bfloat1610FuncMinMaxIS1_E11ProtoSimpleILi2ELi2ELi0ELi2ELi0ELi0EELi0ELi0ELi2ELi0EEEviiP15ncclDevWorkColl.has_dyn_sized_stack, or(0, .L__assert_fail.has_dyn_sized_stack)
	.set .L_ZN12_GLOBAL__N_17runRingI12hip_bfloat1610FuncMinMaxIS1_E11ProtoSimpleILi2ELi2ELi0ELi2ELi0ELi0EELi0ELi0ELi2ELi0EEEviiP15ncclDevWorkColl.has_recursion, or(1, .L__assert_fail.has_recursion)
	.set .L_ZN12_GLOBAL__N_17runRingI12hip_bfloat1610FuncMinMaxIS1_E11ProtoSimpleILi2ELi2ELi0ELi2ELi0ELi0EELi0ELi0ELi2ELi0EEEviiP15ncclDevWorkColl.has_indirect_call, or(0, .L__assert_fail.has_indirect_call)
	.section	.AMDGPU.csdata,"",@progbits
; Function info:
; codeLenInByte = 50280
; TotalNumSgprs: 100
; NumVgprs: 64
; ScratchSize: 304
; MemoryBound: 1
	.text
	.p2align	2                               ; -- Begin function _Z51ncclDevFunc_AllReduce_RING_SIMPLE_MinMax_bf16_0_0_2v
	.type	_Z51ncclDevFunc_AllReduce_RING_SIMPLE_MinMax_bf16_0_0_2v,@function
_Z51ncclDevFunc_AllReduce_RING_SIMPLE_MinMax_bf16_0_0_2v: ; @_Z51ncclDevFunc_AllReduce_RING_SIMPLE_MinMax_bf16_0_0_2v
; %bb.0:
	s_waitcnt vmcnt(0) expcnt(0) lgkmcnt(0)
	s_mov_b32 s4, s33
	s_mov_b32 s33, s32
	s_or_saveexec_b64 s[6:7], -1
	buffer_store_dword v43, off, s[0:3], s33 offset:16 ; 4-byte Folded Spill
	buffer_store_dword v44, off, s[0:3], s33 offset:20 ; 4-byte Folded Spill
	s_mov_b64 exec, s[6:7]
	v_writelane_b32 v44, s4, 38
	v_writelane_b32 v44, s100, 36
	;; [unrolled: 1-line block ×3, first 2 shown]
	s_addk_i32 s32, 0x800
	buffer_store_dword v40, off, s[0:3], s33 offset:8 ; 4-byte Folded Spill
	buffer_store_dword v41, off, s[0:3], s33 offset:4 ; 4-byte Folded Spill
	buffer_store_dword v42, off, s[0:3], s33 ; 4-byte Folded Spill
	v_writelane_b32 v44, s34, 0
	v_writelane_b32 v44, s35, 1
	;; [unrolled: 1-line block ×36, first 2 shown]
	v_mov_b32_e32 v40, v31
                                        ; implicit-def: $vgpr43 : SGPR spill to VGPR lane
	v_writelane_b32 v43, s12, 0
	s_or_saveexec_b64 s[100:101], -1
	buffer_store_dword v43, off, s[0:3], s33 offset:12 ; 4-byte Folded Spill
	s_mov_b64 exec, s[100:101]
	s_trap 2
	ds_read_b32 v0, v0
	v_and_b32_e32 v41, 0x3ff, v40
	s_mov_b64 s[96:97], s[8:9]
	s_waitcnt lgkmcnt(0)
	v_cmp_lt_i32_e32 vcc, v41, v0
	s_and_saveexec_b64 s[4:5], vcc
	s_cbranch_execz .LBB7_5
; %bb.1:
	s_load_dword s6, s[96:97], 0x0
	s_or_saveexec_b64 s[100:101], -1
	buffer_load_dword v43, off, s[0:3], s33 offset:12 ; 4-byte Folded Reload
	s_mov_b64 exec, s[100:101]
	s_waitcnt vmcnt(0)
	v_readlane_b32 s7, v43, 0
	s_waitcnt lgkmcnt(0)
	s_cmp_lt_u32 s7, s6
	s_cselect_b32 s6, 12, 18
	s_add_u32 s6, s96, s6
	s_addc_u32 s7, s97, 0
	v_mov_b32_e32 v1, 0
	global_load_ushort v1, v1, s[6:7]
	s_trap 2
	ds_read_b32 v2, v0
	s_mov_b32 s10, 0
	s_mov_b64 s[6:7], 0
	v_mov_b32_e32 v4, v41
                                        ; implicit-def: $vgpr3
	s_waitcnt vmcnt(0) lgkmcnt(0)
	v_mul_lo_u32 v2, v2, v1
	s_branch .LBB7_3
.LBB7_2:                                ;   in Loop: Header=BB7_3 Depth=1
	s_or_b64 exec, exec, s[8:9]
	v_add_u32_e32 v4, v4, v1
	v_cmp_ge_i32_e32 vcc, v4, v0
	s_or_b64 s[6:7], vcc, s[6:7]
	v_add_u32_e32 v3, v3, v2
	s_andn2_b64 exec, exec, s[6:7]
	s_cbranch_execz .LBB7_5
.LBB7_3:                                ; =>This Inner Loop Header: Depth=1
	ds_read_b32 v5, v3
	s_waitcnt lgkmcnt(0)
	v_and_b32_e32 v5, 0x1000000, v5
	v_cmp_ne_u32_e32 vcc, 0, v5
	s_and_saveexec_b64 s[8:9], vcc
	s_cbranch_execz .LBB7_2
; %bb.4:                                ;   in Loop: Header=BB7_3 Depth=1
	ds_read_b64 v[5:6], v3 offset:104
	s_waitcnt lgkmcnt(0)
	flat_load_ushort v5, v[5:6]
	v_mov_b32_e32 v6, s10
	s_waitcnt vmcnt(0) lgkmcnt(0)
	v_and_b32_e32 v5, 0xffff, v5
	ds_write_b64 v3, v[5:6] offset:104
	s_branch .LBB7_2
.LBB7_5:
	s_or_b64 exec, exec, s[4:5]
	s_waitcnt vmcnt(0) lgkmcnt(0)
	s_barrier
	s_trap 2
	ds_read_b32 v0, v0
	s_waitcnt lgkmcnt(0)
	v_cmp_gt_i32_e32 vcc, 1, v0
	s_cbranch_vccnz .LBB7_13
; %bb.6:
	s_mov_b32 s87, 0
	v_mov_b32_e32 v42, 6
	s_branch .LBB7_8
.LBB7_7:                                ;   in Loop: Header=BB7_8 Depth=1
	s_or_b64 exec, exec, s[98:99]
	s_trap 2
	ds_read_b32 v0, v0
	s_add_i32 s87, s87, 1
	s_waitcnt lgkmcnt(0)
	v_cmp_lt_i32_e32 vcc, s87, v0
	s_cbranch_vccz .LBB7_13
.LBB7_8:                                ; =>This Inner Loop Header: Depth=1
	s_trap 2
	ds_read_b32 v0, v0
	s_cmp_eq_u32 s87, 0
	s_cbranch_scc1 .LBB7_11
; %bb.9:                                ;   in Loop: Header=BB7_8 Depth=1
	s_trap 2
	s_waitcnt lgkmcnt(0)
	ds_read_b32 v1, v0
	s_waitcnt lgkmcnt(0)
	v_xor_b32_e32 v1, v1, v0
	v_and_b32_e32 v1, 0xff0000, v1
	v_cmp_eq_u32_e32 vcc, 0, v1
	s_cbranch_vccnz .LBB7_11
; %bb.10:                               ;   in Loop: Header=BB7_8 Depth=1
	s_barrier
	ds_read_b32 v0, v0
.LBB7_11:                               ;   in Loop: Header=BB7_8 Depth=1
	s_waitcnt lgkmcnt(0)
	v_lshlrev_b32_sdwa v1, v42, v0 dst_sel:DWORD dst_unused:UNUSED_PAD src0_sel:DWORD src1_sel:BYTE_2
	v_cmp_lt_u32_e32 vcc, v41, v1
	s_and_saveexec_b64 s[98:99], vcc
	s_cbranch_execz .LBB7_7
; %bb.12:                               ;   in Loop: Header=BB7_8 Depth=1
	s_mov_b64 s[4:5], src_shared_base
	s_getpc_b64 s[6:7]
	s_add_u32 s6, s6, _ZN12_GLOBAL__N_17runRingI12hip_bfloat1610FuncMinMaxIS1_E11ProtoSimpleILi2ELi2ELi0ELi2ELi0ELi0EELi0ELi0ELi2ELi0EEEviiP15ncclDevWorkColl@rel32@lo+4
	s_addc_u32 s7, s7, _ZN12_GLOBAL__N_17runRingI12hip_bfloat1610FuncMinMaxIS1_E11ProtoSimpleILi2ELi2ELi0ELi2ELi0ELi0EELi0ELi0ELi2ELi0EEEviiP15ncclDevWorkColl@rel32@hi+12
	s_mov_b64 s[8:9], s[96:97]
	s_or_saveexec_b64 s[100:101], -1
	buffer_load_dword v43, off, s[0:3], s33 offset:12 ; 4-byte Folded Reload
	s_mov_b64 exec, s[100:101]
	s_waitcnt vmcnt(0)
	v_readlane_b32 s12, v43, 0
	v_mov_b32_e32 v31, v40
	v_mov_b32_e32 v0, v41
	;; [unrolled: 1-line block ×3, first 2 shown]
	s_swappc_b64 s[30:31], s[6:7]
	s_branch .LBB7_7
.LBB7_13:
	buffer_load_dword v42, off, s[0:3], s33 ; 4-byte Folded Reload
	buffer_load_dword v41, off, s[0:3], s33 offset:4 ; 4-byte Folded Reload
	buffer_load_dword v40, off, s[0:3], s33 offset:8 ; 4-byte Folded Reload
	v_readlane_b32 s30, v44, 34
	v_readlane_b32 s31, v44, 35
	;; [unrolled: 1-line block ×36, first 2 shown]
	s_mov_b32 s32, s33
	v_readlane_b32 s4, v44, 38
	v_readlane_b32 s100, v44, 36
	;; [unrolled: 1-line block ×3, first 2 shown]
	s_or_saveexec_b64 s[6:7], -1
	buffer_load_dword v43, off, s[0:3], s33 offset:16 ; 4-byte Folded Reload
	buffer_load_dword v44, off, s[0:3], s33 offset:20 ; 4-byte Folded Reload
	s_mov_b64 exec, s[6:7]
	s_mov_b32 s33, s4
	s_waitcnt vmcnt(0)
	s_setpc_b64 s[30:31]
.Lfunc_end7:
	.size	_Z51ncclDevFunc_AllReduce_RING_SIMPLE_MinMax_bf16_0_0_2v, .Lfunc_end7-_Z51ncclDevFunc_AllReduce_RING_SIMPLE_MinMax_bf16_0_0_2v
                                        ; -- End function
	.set .L_Z51ncclDevFunc_AllReduce_RING_SIMPLE_MinMax_bf16_0_0_2v.num_vgpr, max(45, .L_ZN12_GLOBAL__N_17runRingI12hip_bfloat1610FuncMinMaxIS1_E11ProtoSimpleILi2ELi2ELi0ELi2ELi0ELi0EELi0ELi0ELi2ELi0EEEviiP15ncclDevWorkColl.num_vgpr)
	.set .L_Z51ncclDevFunc_AllReduce_RING_SIMPLE_MinMax_bf16_0_0_2v.num_agpr, max(0, .L_ZN12_GLOBAL__N_17runRingI12hip_bfloat1610FuncMinMaxIS1_E11ProtoSimpleILi2ELi2ELi0ELi2ELi0ELi0EELi0ELi0ELi2ELi0EEEviiP15ncclDevWorkColl.num_agpr)
	.set .L_Z51ncclDevFunc_AllReduce_RING_SIMPLE_MinMax_bf16_0_0_2v.numbered_sgpr, max(102, .L_ZN12_GLOBAL__N_17runRingI12hip_bfloat1610FuncMinMaxIS1_E11ProtoSimpleILi2ELi2ELi0ELi2ELi0ELi0EELi0ELi0ELi2ELi0EEEviiP15ncclDevWorkColl.numbered_sgpr)
	.set .L_Z51ncclDevFunc_AllReduce_RING_SIMPLE_MinMax_bf16_0_0_2v.num_named_barrier, max(0, .L_ZN12_GLOBAL__N_17runRingI12hip_bfloat1610FuncMinMaxIS1_E11ProtoSimpleILi2ELi2ELi0ELi2ELi0ELi0EELi0ELi0ELi2ELi0EEEviiP15ncclDevWorkColl.num_named_barrier)
	.set .L_Z51ncclDevFunc_AllReduce_RING_SIMPLE_MinMax_bf16_0_0_2v.private_seg_size, 32+max(.L_ZN12_GLOBAL__N_17runRingI12hip_bfloat1610FuncMinMaxIS1_E11ProtoSimpleILi2ELi2ELi0ELi2ELi0ELi0EELi0ELi0ELi2ELi0EEEviiP15ncclDevWorkColl.private_seg_size)
	.set .L_Z51ncclDevFunc_AllReduce_RING_SIMPLE_MinMax_bf16_0_0_2v.uses_vcc, or(1, .L_ZN12_GLOBAL__N_17runRingI12hip_bfloat1610FuncMinMaxIS1_E11ProtoSimpleILi2ELi2ELi0ELi2ELi0ELi0EELi0ELi0ELi2ELi0EEEviiP15ncclDevWorkColl.uses_vcc)
	.set .L_Z51ncclDevFunc_AllReduce_RING_SIMPLE_MinMax_bf16_0_0_2v.uses_flat_scratch, or(0, .L_ZN12_GLOBAL__N_17runRingI12hip_bfloat1610FuncMinMaxIS1_E11ProtoSimpleILi2ELi2ELi0ELi2ELi0ELi0EELi0ELi0ELi2ELi0EEEviiP15ncclDevWorkColl.uses_flat_scratch)
	.set .L_Z51ncclDevFunc_AllReduce_RING_SIMPLE_MinMax_bf16_0_0_2v.has_dyn_sized_stack, or(0, .L_ZN12_GLOBAL__N_17runRingI12hip_bfloat1610FuncMinMaxIS1_E11ProtoSimpleILi2ELi2ELi0ELi2ELi0ELi0EELi0ELi0ELi2ELi0EEEviiP15ncclDevWorkColl.has_dyn_sized_stack)
	.set .L_Z51ncclDevFunc_AllReduce_RING_SIMPLE_MinMax_bf16_0_0_2v.has_recursion, or(1, .L_ZN12_GLOBAL__N_17runRingI12hip_bfloat1610FuncMinMaxIS1_E11ProtoSimpleILi2ELi2ELi0ELi2ELi0ELi0EELi0ELi0ELi2ELi0EEEviiP15ncclDevWorkColl.has_recursion)
	.set .L_Z51ncclDevFunc_AllReduce_RING_SIMPLE_MinMax_bf16_0_0_2v.has_indirect_call, or(0, .L_ZN12_GLOBAL__N_17runRingI12hip_bfloat1610FuncMinMaxIS1_E11ProtoSimpleILi2ELi2ELi0ELi2ELi0ELi0EELi0ELi0ELi2ELi0EEEviiP15ncclDevWorkColl.has_indirect_call)
	.section	.AMDGPU.csdata,"",@progbits
; Function info:
; codeLenInByte = 1288
; TotalNumSgprs: 106
; NumVgprs: 64
; ScratchSize: 336
; MemoryBound: 0
	.text
	.p2align	2                               ; -- Begin function _ZN12_GLOBAL__N_17runRingI12hip_bfloat1610FuncMinMaxIS1_E11ProtoSimpleILi2ELi2ELi0ELi2ELi0ELi0EELi0ELi0ELi2ELi1EEEviiP15ncclDevWorkColl
	.type	_ZN12_GLOBAL__N_17runRingI12hip_bfloat1610FuncMinMaxIS1_E11ProtoSimpleILi2ELi2ELi0ELi2ELi0ELi0EELi0ELi0ELi2ELi1EEEviiP15ncclDevWorkColl,@function
_ZN12_GLOBAL__N_17runRingI12hip_bfloat1610FuncMinMaxIS1_E11ProtoSimpleILi2ELi2ELi0ELi2ELi0ELi0EELi0ELi0ELi2ELi1EEEviiP15ncclDevWorkColl: ; @_ZN12_GLOBAL__N_17runRingI12hip_bfloat1610FuncMinMaxIS1_E11ProtoSimpleILi2ELi2ELi0ELi2ELi0ELi0EELi0ELi0ELi2ELi1EEEviiP15ncclDevWorkColl
; %bb.0:
	s_waitcnt vmcnt(0) expcnt(0) lgkmcnt(0)
	s_mov_b32 s4, s33
	s_mov_b32 s33, s32
	s_or_saveexec_b64 s[6:7], -1
	buffer_store_dword v63, off, s[0:3], s33 offset:420 ; 4-byte Folded Spill
	buffer_store_dword v62, off, s[0:3], s33 offset:424 ; 4-byte Folded Spill
	s_mov_b64 exec, s[6:7]
	v_writelane_b32 v63, s4, 34
	s_addk_i32 s32, 0x6c00
	buffer_store_dword v40, off, s[0:3], s33 offset:52 ; 4-byte Folded Spill
	buffer_store_dword v41, off, s[0:3], s33 offset:48 ; 4-byte Folded Spill
	;; [unrolled: 1-line block ×13, first 2 shown]
	buffer_store_dword v61, off, s[0:3], s33 ; 4-byte Folded Spill
	v_writelane_b32 v63, s34, 0
	v_writelane_b32 v63, s35, 1
	;; [unrolled: 1-line block ×34, first 2 shown]
	buffer_store_dword v0, off, s[0:3], s33 offset:268 ; 4-byte Folded Spill
	s_trap 2
	flat_load_dword v5, v[2:3]
	ds_read_b32 v6, v0
                                        ; implicit-def: $vgpr18_vgpr19
                                        ; implicit-def: $vgpr7_vgpr8
                                        ; kill: killed $vgpr7_vgpr8
                                        ; implicit-def: $vgpr10_vgpr11
	s_waitcnt lgkmcnt(0)
	v_readfirstlane_b32 s52, v6
	s_waitcnt vmcnt(0)
	v_cmp_ne_u32_sdwa s[4:5], v6, v5 src0_sel:DWORD src1_sel:BYTE_0
	s_and_saveexec_b64 s[6:7], s[4:5]
	s_xor_b64 s[4:5], exec, s[6:7]
	s_cbranch_execz .LBB8_6
; %bb.1:
	v_not_b32_sdwa v4, v5 dst_sel:DWORD dst_unused:UNUSED_PAD src0_sel:BYTE_0
	v_cmp_ne_u32_sdwa s[6:7], v6, v5 src0_sel:DWORD src1_sel:BYTE_1
                                        ; implicit-def: $vgpr18_vgpr19
                                        ; implicit-def: $vgpr7_vgpr8
                                        ; kill: killed $vgpr7_vgpr8
                                        ; implicit-def: $vgpr10_vgpr11
	s_and_saveexec_b64 s[10:11], s[6:7]
	s_xor_b64 s[6:7], exec, s[10:11]
	s_cbranch_execz .LBB8_3
; %bb.2:
	flat_load_dwordx4 v[7:10], v[2:3] offset:72
	flat_load_dwordx2 v[11:12], v[2:3] offset:96
	v_add_u32_e32 v4, v6, v4
	v_ashrrev_i32_e32 v5, 31, v4
	s_waitcnt vmcnt(0) lgkmcnt(0)
	v_mul_lo_u32 v5, v9, v5
	v_mad_u64_u32 v[6:7], s[10:11], v9, v4, v[7:8]
	v_mul_lo_u32 v4, v10, v4
	v_lshrrev_b64 v[18:19], 13, v[11:12]
	v_mov_b32_e32 v11, v10
	v_mov_b32_e32 v10, v9
	v_add3_u32 v7, v4, v7, v5
	buffer_store_dword v6, off, s[0:3], s33 offset:376 ; 4-byte Folded Spill
	s_nop 0
	buffer_store_dword v7, off, s[0:3], s33 offset:380 ; 4-byte Folded Spill
                                        ; implicit-def: $vgpr5
                                        ; implicit-def: $vgpr4
.LBB8_3:
	s_andn2_saveexec_b64 s[6:7], s[6:7]
	s_cbranch_execz .LBB8_5
; %bb.4:
	flat_load_dwordx4 v[6:9], v[2:3] offset:72
	flat_load_dwordx4 v[10:13], v[2:3] offset:88
	v_add_u32_sdwa v0, v5, v4 dst_sel:DWORD dst_unused:UNUSED_PAD src0_sel:BYTE_1 src1_sel:DWORD
	v_ashrrev_i32_e32 v4, 31, v0
	s_waitcnt vmcnt(0) lgkmcnt(0)
	v_mul_lo_u32 v4, v8, v4
	v_mad_u64_u32 v[5:6], s[10:11], v8, v0, v[6:7]
	v_mul_lo_u32 v0, v9, v0
	v_lshrrev_b32_e32 v18, 2, v13
	v_add3_u32 v6, v0, v6, v4
	buffer_store_dword v5, off, s[0:3], s33 offset:376 ; 4-byte Folded Spill
	s_nop 0
	buffer_store_dword v6, off, s[0:3], s33 offset:380 ; 4-byte Folded Spill
.LBB8_5:
	s_or_b64 exec, exec, s[6:7]
.LBB8_6:
	s_andn2_saveexec_b64 s[4:5], s[4:5]
	s_cbranch_execz .LBB8_8
; %bb.7:
	flat_load_dwordx2 v[4:5], v[2:3] offset:96
	flat_load_dwordx2 v[10:11], v[2:3] offset:72
	s_waitcnt vmcnt(0) lgkmcnt(0)
	v_lshlrev_b64 v[18:19], 8, v[4:5]
	v_mov_b32_e32 v4, 0
	v_mov_b32_e32 v5, 0
	buffer_store_dword v4, off, s[0:3], s33 offset:376 ; 4-byte Folded Spill
	s_nop 0
	buffer_store_dword v5, off, s[0:3], s33 offset:380 ; 4-byte Folded Spill
.LBB8_8:
	s_or_b64 exec, exec, s[4:5]
	s_trap 2
	ds_read_b64 v[4:5], v0
	s_waitcnt lgkmcnt(0)
	v_cmp_ne_u32_e32 vcc, -1, v4
	v_cndmask_b32_e64 v19, 0, 1, vcc
	v_cmp_ne_u32_e32 vcc, -1, v5
	v_addc_co_u32_e64 v8, s[4:5], 0, v19, vcc
	v_lshlrev_b32_e32 v4, 1, v8
	v_cmp_le_u32_e64 s[4:5], v4, v1
	s_and_saveexec_b64 s[6:7], s[4:5]
	s_xor_b64 s[28:29], exec, s[6:7]
	s_cbranch_execz .LBB8_2677
; %bb.9:
	buffer_store_dword v10, off, s[0:3], s33 offset:360 ; 4-byte Folded Spill
	s_nop 0
	buffer_store_dword v11, off, s[0:3], s33 offset:364 ; 4-byte Folded Spill
	buffer_store_dword v12, off, s[0:3], s33 offset:368 ; 4-byte Folded Spill
	;; [unrolled: 1-line block ×3, first 2 shown]
	flat_load_dwordx4 v[10:13], v[2:3] offset:16
	s_nop 0
	flat_load_dwordx2 v[6:7], v[2:3] offset:104
	flat_load_ushort v5, v[2:3] offset:8
	flat_load_dword v4, v[2:3] offset:4
	s_trap 2
	s_load_dword s4, s[8:9], 0x0
	v_mov_b32_e32 v9, 0
	v_mov_b32_e32 v56, 4
	s_waitcnt lgkmcnt(0)
	s_cmp_lt_u32 s12, s4
	s_cselect_b32 s4, 12, 18
	s_add_u32 s4, s8, s4
	s_addc_u32 s5, s9, 0
	global_load_ushort v20, v9, s[4:5]
	ds_read_b32 v9, v0
	buffer_load_dword v0, off, s[0:3], s33 offset:268 ; 4-byte Folded Reload
	s_waitcnt lgkmcnt(0)
	v_readfirstlane_b32 s24, v9
	s_waitcnt vmcnt(0)
	v_cmp_ge_u32_e64 s[4:5], v0, v19
	s_and_saveexec_b64 s[6:7], s[4:5]
	s_cbranch_execz .LBB8_19
; %bb.10:
	buffer_load_dword v0, off, s[0:3], s33 offset:268 ; 4-byte Folded Reload
                                        ; implicit-def: $vgpr56
	s_waitcnt vmcnt(0)
	v_cmp_ge_u32_e64 s[4:5], v0, v8
	s_and_saveexec_b64 s[10:11], s[4:5]
	s_xor_b64 s[4:5], exec, s[10:11]
	s_cbranch_execz .LBB8_16
; %bb.11:
	buffer_load_dword v0, off, s[0:3], s33 offset:268 ; 4-byte Folded Reload
	v_cndmask_b32_e64 v9, 0, 1, vcc
	v_sub_u32_e32 v9, v1, v9
	s_waitcnt vmcnt(0)
	v_cmp_ge_u32_e32 vcc, v0, v9
	s_and_saveexec_b64 s[10:11], vcc
	s_xor_b64 s[10:11], exec, s[10:11]
; %bb.12:
                                        ; implicit-def: $vgpr8
; %bb.13:
	s_or_saveexec_b64 s[10:11], s[10:11]
	v_mov_b32_e32 v56, 16
	s_xor_b64 exec, exec, s[10:11]
	s_cbranch_execz .LBB8_15
; %bb.14:
	buffer_load_dword v0, off, s[0:3], s33 offset:268 ; 4-byte Folded Reload
	v_sub_u32_e32 v8, v1, v8
	s_waitcnt vmcnt(0)
	v_cmp_lt_i32_e32 vcc, v0, v8
	v_cndmask_b32_e64 v56, 32, 0, vcc
.LBB8_15:
	s_or_b64 exec, exec, s[10:11]
.LBB8_16:
	s_andn2_saveexec_b64 s[4:5], s[4:5]
; %bb.17:
	v_mov_b32_e32 v56, 8
; %bb.18:
	s_or_b64 exec, exec, s[4:5]
.LBB8_19:
	s_or_b64 exec, exec, s[6:7]
	v_and_b32_e32 v8, 36, v56
	v_cmp_ne_u32_e32 vcc, 0, v8
	v_mov_b32_e32 v8, -1
	s_and_saveexec_b64 s[4:5], vcc
	s_cbranch_execz .LBB8_21
; %bb.20:
	s_trap 2
	ds_read_b32 v8, v0
.LBB8_21:
	s_or_b64 exec, exec, s[4:5]
	v_and_b32_e32 v9, 24, v56
	v_cmp_ne_u32_e64 s[4:5], 0, v9
	s_and_saveexec_b64 s[6:7], s[4:5]
	s_cbranch_execz .LBB8_23
; %bb.22:
	s_trap 2
	s_waitcnt lgkmcnt(0)
	ds_read_b32 v8, v0
.LBB8_23:
	s_or_b64 exec, exec, s[6:7]
	v_mov_b32_e32 v14, 0
	v_mov_b32_e32 v15, 0
	buffer_store_dword v14, off, s[0:3], s33 offset:392 ; 4-byte Folded Spill
	s_nop 0
	buffer_store_dword v15, off, s[0:3], s33 offset:396 ; 4-byte Folded Spill
	v_mov_b32_e32 v14, 0
	v_mov_b32_e32 v15, 0
	v_lshrrev_b64 v[4:5], 31, v[4:5]
	buffer_store_dword v14, off, s[0:3], s33 offset:204 ; 4-byte Folded Spill
	s_nop 0
	buffer_store_dword v15, off, s[0:3], s33 offset:208 ; 4-byte Folded Spill
	buffer_store_dword v16, off, s[0:3], s33 offset:212 ; 4-byte Folded Spill
	;; [unrolled: 1-line block ×3, first 2 shown]
                                        ; implicit-def: $vgpr14_vgpr15
	v_and_b32_e32 v4, 3, v4
	s_waitcnt lgkmcnt(0)
	v_ashrrev_i32_e32 v9, 31, v8
                                        ; kill: killed $vgpr14_vgpr15
                                        ; implicit-def: $vgpr14_vgpr15
                                        ; implicit-def: $vgpr0
                                        ; kill: killed $vgpr0
                                        ; kill: killed $vgpr14_vgpr15
                                        ; implicit-def: $vgpr14_vgpr15
                                        ; kill: killed $vgpr14_vgpr15
                                        ; implicit-def: $vgpr46_vgpr47
                                        ; implicit-def: $vgpr40_vgpr41
	s_and_saveexec_b64 s[4:5], vcc
	s_cbranch_execz .LBB8_33
; %bb.24:
	s_trap 2
	ds_read_b64 v[14:15], v0
	v_lshlrev_b64 v[16:17], 3, v[8:9]
	v_and_b32_e32 v5, 0xffff, v4
	s_movk_i32 s6, 0xa8
	s_waitcnt lgkmcnt(0)
	v_add_co_u32_e32 v14, vcc, v14, v16
	v_addc_co_u32_e32 v15, vcc, v15, v17, vcc
	flat_load_dwordx2 v[14:15], v[14:15]
                                        ; implicit-def: $vgpr16_vgpr17
                                        ; kill: killed $vgpr16_vgpr17
	s_waitcnt vmcnt(0) lgkmcnt(0)
	v_mad_u64_u32 v[14:15], s[6:7], v5, s6, v[14:15]
	flat_load_dword v5, v[14:15] offset:640
	s_waitcnt vmcnt(0) lgkmcnt(0)
	v_cmp_eq_u32_e32 vcc, 1, v5
	s_and_saveexec_b64 s[6:7], vcc
	s_cbranch_execz .LBB8_26
; %bb.25:
	flat_load_dwordx2 v[21:22], v[14:15] offset:648
	v_or_b32_e32 v56, 0x2000, v56
	s_waitcnt vmcnt(0) lgkmcnt(0)
	flat_load_dwordx2 v[16:17], v[21:22]
	s_trap 2
	s_waitcnt vmcnt(0) lgkmcnt(0)
	ds_write_b64 v0, v[16:17]
	flat_load_dwordx2 v[16:17], v[21:22] offset:8
	s_waitcnt vmcnt(0) lgkmcnt(0)
	ds_write_b64 v0, v[16:17]
	buffer_store_dword v21, off, s[0:3], s33 offset:412 ; 4-byte Folded Spill
	s_nop 0
	buffer_store_dword v22, off, s[0:3], s33 offset:416 ; 4-byte Folded Spill
	flat_load_dwordx2 v[16:17], v[21:22] offset:16
	s_waitcnt vmcnt(0) lgkmcnt(0)
	ds_write_b64 v0, v[16:17]
.LBB8_26:
	s_or_b64 exec, exec, s[6:7]
	flat_load_dwordx2 v[16:17], v[14:15] offset:608
	v_and_b32_e32 v5, 32, v56
                                        ; implicit-def: $vgpr40_vgpr41
	s_waitcnt vmcnt(0) lgkmcnt(0)
	v_add_co_u32_e32 v16, vcc, 3, v16
	v_addc_co_u32_e32 v17, vcc, 0, v17, vcc
	v_and_b32_e32 v16, -4, v16
	v_cmp_ne_u32_e32 vcc, 0, v5
	buffer_store_dword v16, off, s[0:3], s33 offset:148 ; 4-byte Folded Spill
	s_nop 0
	buffer_store_dword v17, off, s[0:3], s33 offset:152 ; 4-byte Folded Spill
	s_and_saveexec_b64 s[6:7], vcc
	s_cbranch_execz .LBB8_28
; %bb.27:
	flat_load_dwordx2 v[40:41], v[14:15] offset:560
	buffer_load_dword v16, off, s[0:3], s33 offset:148 ; 4-byte Folded Reload
	buffer_load_dword v17, off, s[0:3], s33 offset:152 ; 4-byte Folded Reload
	s_waitcnt vmcnt(0) lgkmcnt(0)
	flat_store_dwordx2 v[40:41], v[16:17]
.LBB8_28:
	s_or_b64 exec, exec, s[6:7]
	v_add_co_u32_e32 v16, vcc, 0x1f8, v14
	v_addc_co_u32_e32 v17, vcc, 0, v15, vcc
	buffer_store_dword v16, off, s[0:3], s33 offset:392 ; 4-byte Folded Spill
	s_nop 0
	buffer_store_dword v17, off, s[0:3], s33 offset:396 ; 4-byte Folded Spill
	v_mov_b32_e32 v16, 0
	v_and_b32_e32 v5, 4, v56
	v_mov_b32_e32 v17, 0
	buffer_store_dword v16, off, s[0:3], s33 offset:204 ; 4-byte Folded Spill
	s_nop 0
	buffer_store_dword v17, off, s[0:3], s33 offset:208 ; 4-byte Folded Spill
	buffer_store_dword v18, off, s[0:3], s33 offset:212 ; 4-byte Folded Spill
	buffer_store_dword v19, off, s[0:3], s33 offset:216 ; 4-byte Folded Spill
	v_cmp_ne_u32_e32 vcc, 0, v5
                                        ; implicit-def: $vgpr0
                                        ; kill: killed $vgpr0
                                        ; implicit-def: $vgpr16_vgpr17
                                        ; kill: killed $vgpr16_vgpr17
                                        ; implicit-def: $vgpr46_vgpr47
	s_and_saveexec_b64 s[6:7], vcc
	s_cbranch_execz .LBB8_32
; %bb.29:
	v_and_b32_e32 v5, 0x800, v56
	v_cmp_eq_u32_e32 vcc, 0, v5
	s_and_saveexec_b64 s[10:11], vcc
	s_cbranch_execz .LBB8_31
; %bb.30:
	s_trap 2
	buffer_load_dword v16, off, s[0:3], s33 offset:392 ; 4-byte Folded Reload
	buffer_load_dword v17, off, s[0:3], s33 offset:396 ; 4-byte Folded Reload
	s_waitcnt vmcnt(0)
	ds_write_b64 v0, v[16:17]
.LBB8_31:
	s_or_b64 exec, exec, s[10:11]
	flat_load_dwordx2 v[40:41], v[14:15] offset:552
	s_waitcnt vmcnt(0) lgkmcnt(0)
	flat_load_dwordx2 v[46:47], v[40:41] glc
	flat_load_dword v5, v[14:15] offset:576
	flat_load_dwordx2 v[21:22], v[14:15] offset:600
	s_nop 0
	flat_load_dwordx2 v[14:15], v[14:15] offset:520
	s_waitcnt vmcnt(0) lgkmcnt(0)
	buffer_store_dword v14, off, s[0:3], s33 offset:196 ; 4-byte Folded Spill
	s_nop 0
	buffer_store_dword v15, off, s[0:3], s33 offset:200 ; 4-byte Folded Spill
	v_cmp_eq_u64_e32 vcc, 0, v[21:22]
	v_or_b32_e32 v14, 0x100, v56
	v_mov_b32_e32 v15, v21
	v_ashrrev_i32_e32 v0, 1, v5
	v_mov_b32_e32 v16, v22
	v_cndmask_b32_e32 v56, v14, v56, vcc
	buffer_store_dword v0, off, s[0:3], s33 offset:228 ; 4-byte Folded Spill
	buffer_store_dword v15, off, s[0:3], s33 offset:204 ; 4-byte Folded Spill
	s_nop 0
	buffer_store_dword v16, off, s[0:3], s33 offset:208 ; 4-byte Folded Spill
	buffer_store_dword v17, off, s[0:3], s33 offset:212 ; 4-byte Folded Spill
	;; [unrolled: 1-line block ×3, first 2 shown]
.LBB8_32:
	s_or_b64 exec, exec, s[6:7]
.LBB8_33:
	s_or_b64 exec, exec, s[4:5]
	v_and_b32_e32 v5, 24, v56
	v_cmp_ne_u32_e32 vcc, 0, v5
                                        ; implicit-def: $vgpr14_vgpr15
                                        ; kill: killed $vgpr14_vgpr15
	s_and_saveexec_b64 s[4:5], vcc
	s_cbranch_execz .LBB8_41
; %bb.34:
	s_trap 2
	ds_read_b64 v[14:15], v0
	v_lshlrev_b64 v[8:9], 3, v[8:9]
	v_and_b32_e32 v4, 0xffff, v4
	s_movk_i32 s6, 0xa8
	s_waitcnt lgkmcnt(0)
	v_add_co_u32_e32 v8, vcc, v14, v8
	v_addc_co_u32_e32 v9, vcc, v15, v9, vcc
	flat_load_dwordx2 v[8:9], v[8:9]
	s_waitcnt vmcnt(0) lgkmcnt(0)
	v_mad_u64_u32 v[4:5], s[6:7], v4, s6, v[8:9]
	buffer_store_dword v4, off, s[0:3], s33 offset:392 ; 4-byte Folded Spill
	s_nop 0
	buffer_store_dword v5, off, s[0:3], s33 offset:396 ; 4-byte Folded Spill
	flat_load_dwordx4 v[14:17], v[4:5] offset:96
	v_or_b32_e32 v4, 0x100, v56
	s_waitcnt vmcnt(0) lgkmcnt(0)
	buffer_store_dword v14, off, s[0:3], s33 offset:204 ; 4-byte Folded Spill
	s_nop 0
	buffer_store_dword v15, off, s[0:3], s33 offset:208 ; 4-byte Folded Spill
	buffer_store_dword v16, off, s[0:3], s33 offset:212 ; 4-byte Folded Spill
	;; [unrolled: 1-line block ×3, first 2 shown]
	v_cmp_eq_u64_e32 vcc, 0, v[14:15]
	v_cndmask_b32_e32 v56, v4, v56, vcc
	v_and_b32_e32 v4, 16, v56
	v_cmp_ne_u32_e32 vcc, 0, v4
                                        ; implicit-def: $vgpr4_vgpr5
                                        ; kill: killed $vgpr4_vgpr5
	s_and_saveexec_b64 s[6:7], vcc
	s_cbranch_execz .LBB8_36
; %bb.35:
	buffer_load_dword v4, off, s[0:3], s33 offset:392 ; 4-byte Folded Reload
	buffer_load_dword v5, off, s[0:3], s33 offset:396 ; 4-byte Folded Reload
	s_waitcnt vmcnt(0)
	flat_load_dwordx2 v[40:41], v[4:5] offset:48
	flat_load_dwordx2 v[8:9], v[4:5] offset:120
	s_waitcnt vmcnt(0) lgkmcnt(0)
	buffer_store_dword v8, off, s[0:3], s33 offset:220 ; 4-byte Folded Spill
	s_nop 0
	buffer_store_dword v9, off, s[0:3], s33 offset:224 ; 4-byte Folded Spill
	flat_load_dwordx2 v[4:5], v[4:5] offset:16
	s_waitcnt vmcnt(0) lgkmcnt(0)
	buffer_store_dword v4, off, s[0:3], s33 offset:196 ; 4-byte Folded Spill
	s_nop 0
	buffer_store_dword v5, off, s[0:3], s33 offset:200 ; 4-byte Folded Spill
.LBB8_36:
	s_or_b64 exec, exec, s[6:7]
	buffer_load_dword v14, off, s[0:3], s33 offset:204 ; 4-byte Folded Reload
	buffer_load_dword v15, off, s[0:3], s33 offset:208 ; 4-byte Folded Reload
	;; [unrolled: 1-line block ×4, first 2 shown]
	s_waitcnt vmcnt(1)
	v_add_co_u32_e32 v4, vcc, 3, v16
	s_waitcnt vmcnt(0)
	v_addc_co_u32_e32 v5, vcc, 0, v17, vcc
	v_and_b32_e32 v4, -4, v4
	buffer_store_dword v4, off, s[0:3], s33 offset:148 ; 4-byte Folded Spill
	s_nop 0
	buffer_store_dword v5, off, s[0:3], s33 offset:152 ; 4-byte Folded Spill
	v_and_b32_e32 v4, 8, v56
	v_cmp_ne_u32_e32 vcc, 0, v4
	s_and_saveexec_b64 s[6:7], vcc
	s_cbranch_execz .LBB8_40
; %bb.37:
	v_and_b32_e32 v4, 0x800, v56
	v_cmp_eq_u32_e32 vcc, 0, v4
	s_and_saveexec_b64 s[10:11], vcc
	s_cbranch_execz .LBB8_39
; %bb.38:
	s_trap 2
	buffer_load_dword v4, off, s[0:3], s33 offset:392 ; 4-byte Folded Reload
	buffer_load_dword v5, off, s[0:3], s33 offset:396 ; 4-byte Folded Reload
	s_waitcnt vmcnt(0)
	ds_write_b64 v0, v[4:5]
.LBB8_39:
	s_or_b64 exec, exec, s[10:11]
	buffer_load_dword v8, off, s[0:3], s33 offset:392 ; 4-byte Folded Reload
	buffer_load_dword v9, off, s[0:3], s33 offset:396 ; 4-byte Folded Reload
	s_waitcnt vmcnt(0)
	flat_load_dwordx2 v[40:41], v[8:9] offset:56
	s_waitcnt vmcnt(0) lgkmcnt(0)
	flat_load_dwordx2 v[46:47], v[40:41] glc
	flat_load_dword v4, v[8:9] offset:72
	s_nop 0
	flat_load_dwordx2 v[8:9], v[8:9] offset:16
	s_waitcnt vmcnt(0) lgkmcnt(0)
	buffer_store_dword v8, off, s[0:3], s33 offset:196 ; 4-byte Folded Spill
	s_nop 0
	buffer_store_dword v9, off, s[0:3], s33 offset:200 ; 4-byte Folded Spill
	v_ashrrev_i32_e32 v0, 1, v4
	buffer_store_dword v0, off, s[0:3], s33 offset:228 ; 4-byte Folded Spill
.LBB8_40:
	s_or_b64 exec, exec, s[6:7]
.LBB8_41:
	s_or_b64 exec, exec, s[4:5]
	buffer_load_dword v0, off, s[0:3], s33 offset:268 ; 4-byte Folded Reload
	s_waitcnt vmcnt(0)
	v_cmp_eq_u32_e64 s[4:5], 0, v0
	s_and_saveexec_b64 s[6:7], s[4:5]
	s_cbranch_execz .LBB8_43
; %bb.42:
	flat_load_dwordx2 v[4:5], v[2:3] offset:32
	v_mov_b32_e32 v8, v12
	v_mov_b32_e32 v9, v13
	ds_write2_b64 v0, v[8:9], v[10:11] offset1:1
	s_trap 2
	s_waitcnt vmcnt(0) lgkmcnt(0)
	ds_write_b64 v0, v[4:5]
	ds_write_b64 v0, v[6:7]
.LBB8_43:
	s_or_b64 exec, exec, s[6:7]
	v_mov_b32_e32 v4, 0
	v_mov_b32_e32 v5, 0
	buffer_store_dword v4, off, s[0:3], s33 offset:132 ; 4-byte Folded Spill
	s_nop 0
	buffer_store_dword v5, off, s[0:3], s33 offset:136 ; 4-byte Folded Spill
	buffer_load_dword v4, off, s[0:3], s33 offset:360 ; 4-byte Folded Reload
	s_nop 0
	buffer_load_dword v5, off, s[0:3], s33 offset:364 ; 4-byte Folded Reload
	buffer_load_dword v6, off, s[0:3], s33 offset:368 ; 4-byte Folded Reload
	;; [unrolled: 1-line block ×3, first 2 shown]
	s_waitcnt vmcnt(0)
	v_cmp_lt_i64_e32 vcc, 0, v[4:5]
	s_mov_b64 s[6:7], exec
                                        ; implicit-def: $vgpr62 : SGPR spill to VGPR lane
	v_writelane_b32 v62, s6, 0
	v_writelane_b32 v62, s7, 1
	s_and_b64 s[6:7], s[6:7], vcc
	s_mov_b64 exec, s[6:7]
	s_cbranch_execz .LBB8_2643
; %bb.44:
	buffer_load_dword v4, off, s[0:3], s33 offset:268 ; 4-byte Folded Reload
	buffer_load_dword v5, off, s[0:3], s33 offset:228 ; 4-byte Folded Reload
	v_and_b32_e32 v9, 0x1fffff00, v18
	flat_load_dword v3, v[2:3] offset:4
	v_mov_b32_e32 v2, 0
	buffer_store_dword v31, off, s[0:3], s33 offset:404 ; 4-byte Folded Spill
	v_mov_b32_e32 v10, v2
	v_and_b32_e32 v0, 63, v31
	s_ashr_i32 s18, s24, 31
	v_cmp_eq_u32_e64 s[6:7], 64, v1
	v_cmp_ne_u32_e64 s[10:11], 64, v1
	v_cmp_ne_u32_sdwa s[58:59], v1, v20 src0_sel:DWORD src1_sel:WORD_0
	v_writelane_b32 v62, s28, 2
	s_movk_i32 s54, 0x1000
	s_lshr_b32 s25, s18, 29
	v_writelane_b32 v62, s29, 3
	s_add_i32 s28, s24, s25
	s_movk_i32 s27, 0x800
	s_movk_i32 s55, 0x400
	;; [unrolled: 1-line block ×3, first 2 shown]
	s_ashr_i32 s53, s52, 31
	s_ashr_i32 s29, s28, 4
	s_add_u32 s64, s52, -1
	s_addc_u32 s65, s53, -1
	s_add_i32 s66, s52, s52
	s_mov_b64 s[60:61], 0
	s_movk_i32 s87, 0x108
	s_mov_b32 s96, 0x7f800000
	s_movk_i32 s97, 0x7fff
	s_mov_b32 s56, 0xffff0000
	s_waitcnt vmcnt(0)
	v_and_b32_e32 v8, 63, v4
	v_ashrrev_i32_e32 v5, 31, v5
	buffer_store_dword v5, off, s[0:3], s33 offset:232 ; 4-byte Folded Spill
	s_trap 2
	buffer_store_dword v20, off, s[0:3], s33 offset:408 ; 4-byte Folded Spill
	buffer_store_dword v1, off, s[0:3], s33 offset:400 ; 4-byte Folded Spill
	buffer_load_dword v5, off, s[0:3], s33 offset:220 ; 4-byte Folded Reload
	buffer_load_dword v6, off, s[0:3], s33 offset:224 ; 4-byte Folded Reload
	s_nop 0
	buffer_store_dword v9, off, s[0:3], s33 offset:328 ; 4-byte Folded Spill
	s_nop 0
	buffer_store_dword v10, off, s[0:3], s33 offset:332 ; 4-byte Folded Spill
	v_cmp_ge_u32_e32 vcc, v4, v1
	v_lshrrev_b32_e32 v1, 6, v1
	v_lshrrev_b32_e32 v7, 6, v4
	v_mov_b32_e32 v4, 0xfffff000
	v_lshl_add_u32 v4, v1, 12, v4
	v_lshlrev_b32_e32 v11, 7, v1
	v_mov_b32_e32 v52, v1
	buffer_store_dword v8, off, s[0:3], s33 offset:252 ; 4-byte Folded Spill
	buffer_store_dword v11, off, s[0:3], s33 offset:156 ; 4-byte Folded Spill
	;; [unrolled: 1-line block ×3, first 2 shown]
	v_cmp_eq_u32_e64 s[18:19], 0, v8
	v_cmp_lt_u32_e64 s[20:21], v8, v19
	v_cmp_le_u32_e64 s[22:23], v8, v19
	v_mad_i64_i32 v[9:10], s[16:17], v9, s52, 0
	s_waitcnt vmcnt(0)
	v_cmp_eq_u64_e64 s[12:13], 0, v[5:6]
	v_cmp_ne_u64_e64 s[14:15], 0, v[5:6]
	v_mov_b32_e32 v5, 0xfffff800
	v_cmp_eq_u32_e64 s[16:17], 0, v0
	v_lshlrev_b32_e32 v0, 4, v8
	v_lshlrev_b32_e32 v6, 10, v1
	v_lshl_add_u32 v12, v1, 11, v5
	v_lshl_or_b32 v1, v7, 12, v0
	v_lshl_or_b32 v0, v7, 11, v0
	v_ashrrev_i32_e32 v5, 31, v4
	buffer_store_dword v0, off, s[0:3], s33 offset:264 ; 4-byte Folded Spill
	v_add_co_u32_e64 v0, s[24:25], s54, v4
	buffer_store_dword v1, off, s[0:3], s33 offset:316 ; 4-byte Folded Spill
	buffer_store_dword v6, off, s[0:3], s33 offset:168 ; 4-byte Folded Spill
	buffer_store_dword v0, off, s[0:3], s33 offset:188 ; 4-byte Folded Spill
	buffer_store_dword v4, off, s[0:3], s33 offset:236 ; 4-byte Folded Spill
	s_nop 0
	buffer_store_dword v5, off, s[0:3], s33 offset:240 ; 4-byte Folded Spill
	v_ashrrev_i32_e32 v13, 31, v12
	v_add_u32_e32 v54, 0xfffffc00, v6
	v_ashrrev_i32_e32 v55, 31, v54
	v_add_u32_e32 v6, 0xffffff80, v11
	v_ashrrev_i32_e32 v7, 31, v6
	v_addc_co_u32_e64 v0, s[24:25], 0, v5, s[24:25]
	buffer_store_dword v0, off, s[0:3], s33 offset:192 ; 4-byte Folded Spill
	v_add_co_u32_e64 v0, s[24:25], s27, v12
	buffer_store_dword v0, off, s[0:3], s33 offset:140 ; 4-byte Folded Spill
	buffer_store_dword v12, off, s[0:3], s33 offset:160 ; 4-byte Folded Spill
	s_nop 0
	buffer_store_dword v13, off, s[0:3], s33 offset:164 ; 4-byte Folded Spill
	v_addc_co_u32_e64 v0, s[24:25], 0, v13, s[24:25]
	buffer_store_dword v0, off, s[0:3], s33 offset:144 ; 4-byte Folded Spill
	v_add_co_u32_e64 v0, s[24:25], s55, v54
	v_addc_co_u32_e64 v53, s[24:25], 0, v55, s[24:25]
	buffer_store_dword v0, off, s[0:3], s33 offset:128 ; 4-byte Folded Spill
	v_add_co_u32_e64 v0, s[24:25], s26, v6
	buffer_store_dword v0, off, s[0:3], s33 offset:180 ; 4-byte Folded Spill
	buffer_store_dword v6, off, s[0:3], s33 offset:172 ; 4-byte Folded Spill
	s_nop 0
	buffer_store_dword v7, off, s[0:3], s33 offset:176 ; 4-byte Folded Spill
	v_addc_co_u32_e64 v0, s[24:25], 0, v7, s[24:25]
	s_not_b32 s24, s52
	s_cmp_gt_i32 s52, 0
	s_cselect_b32 s24, s24, -1
	s_ashr_i32 s25, s28, 31
	s_add_i32 s67, s24, s66
	s_lshr_b32 s24, s25, 28
	s_add_i32 s29, s29, s24
	s_ashr_i32 s68, s67, 31
	s_ashr_i32 s69, s29, 4
	s_cmp_gt_i32 s52, 2
	s_cselect_b64 s[62:63], -1, 0
	s_lshr_b32 s24, s33, 6
	s_add_i32 s70, s24, 0x70
	s_lshr_b32 s24, s33, 6
	buffer_store_dword v0, off, s[0:3], s33 offset:184 ; 4-byte Folded Spill
	s_add_i32 s71, s24, 0x50
	s_lshr_b32 s24, s33, 6
	s_waitcnt lgkmcnt(0)
	v_and_b32_e32 v0, 1, v3
	s_add_i32 s80, s24, 0x70
	v_cmp_eq_u32_e64 s[24:25], 1, v0
	v_mov_b32_e32 v0, 0
	v_mov_b32_e32 v1, 0
	buffer_store_dword v0, off, s[0:3], s33 offset:132 ; 4-byte Folded Spill
	s_nop 0
	buffer_store_dword v1, off, s[0:3], s33 offset:136 ; 4-byte Folded Spill
	buffer_load_dword v3, off, s[0:3], s33 offset:360 ; 4-byte Folded Reload
	buffer_load_dword v4, off, s[0:3], s33 offset:364 ; 4-byte Folded Reload
	;; [unrolled: 1-line block ×4, first 2 shown]
	s_lshr_b32 s26, s33, 6
	s_add_i32 s81, s26, 0x50
	s_lshr_b32 s26, s33, 6
	s_add_i32 s82, s26, 0x70
	s_lshr_b32 s26, s33, 6
	s_xor_b64 s[72:73], s[24:25], -1
	s_add_i32 s83, s26, 0x50
	s_add_i32 s26, s52, 1
	s_cmp_ge_i32 s26, s52
	s_cselect_b32 s27, s52, 0
	s_sub_i32 s84, s26, s27
	s_waitcnt vmcnt(0)
	v_mov_b32_e32 v5, 0
	s_ashr_i32 s85, s84, 31
	s_add_i32 s86, s52, -2
	s_xor_b64 s[74:75], vcc, -1
	s_ashr_i32 s76, s53, 31
	v_mov_b32_e32 v6, 0
	buffer_store_dword v9, off, s[0:3], s33 offset:384 ; 4-byte Folded Spill
	s_nop 0
	buffer_store_dword v10, off, s[0:3], s33 offset:388 ; 4-byte Folded Spill
	v_mov_b32_e32 v0, v3
	v_mov_b32_e32 v1, v4
	s_branch .LBB8_47
.LBB8_45:                               ;   in Loop: Header=BB8_47 Depth=1
	s_or_b64 exec, exec, s[40:41]
.LBB8_46:                               ;   in Loop: Header=BB8_47 Depth=1
	s_or_b64 exec, exec, s[28:29]
	buffer_load_dword v9, off, s[0:3], s33 offset:384 ; 4-byte Folded Reload
	buffer_load_dword v10, off, s[0:3], s33 offset:388 ; 4-byte Folded Reload
	;; [unrolled: 1-line block ×8, first 2 shown]
	s_waitcnt vmcnt(0)
	v_add_co_u32_e32 v0, vcc, v0, v9
	v_addc_co_u32_e32 v1, vcc, v1, v10, vcc
	v_mov_b32_e32 v6, v1
	v_mov_b32_e32 v5, v0
	;; [unrolled: 1-line block ×4, first 2 shown]
	v_cmp_ge_i64_e32 vcc, v[5:6], v[0:1]
	s_or_b64 s[60:61], vcc, s[60:61]
	s_andn2_b64 exec, exec, s[60:61]
	s_cbranch_execz .LBB8_2642
.LBB8_47:                               ; =>This Loop Header: Depth=1
                                        ;     Child Loop BB8_57 Depth 2
                                        ;       Child Loop BB8_65 Depth 3
                                        ;       Child Loop BB8_89 Depth 3
	;; [unrolled: 1-line block ×9, first 2 shown]
                                        ;     Child Loop BB8_228 Depth 2
                                        ;       Child Loop BB8_234 Depth 3
                                        ;       Child Loop BB8_258 Depth 3
	;; [unrolled: 1-line block ×3, first 2 shown]
                                        ;     Child Loop BB8_300 Depth 2
                                        ;       Child Loop BB8_303 Depth 3
                                        ;         Child Loop BB8_311 Depth 4
                                        ;         Child Loop BB8_339 Depth 4
	;; [unrolled: 1-line block ×5, first 2 shown]
                                        ;           Child Loop BB8_592 Depth 5
                                        ;           Child Loop BB8_629 Depth 5
                                        ;         Child Loop BB8_706 Depth 4
                                        ;         Child Loop BB8_813 Depth 4
                                        ;           Child Loop BB8_814 Depth 5
                                        ;           Child Loop BB8_823 Depth 5
                                        ;         Child Loop BB8_842 Depth 4
                                        ;         Child Loop BB8_861 Depth 4
                                        ;       Child Loop BB8_880 Depth 3
                                        ;         Child Loop BB8_886 Depth 4
                                        ;         Child Loop BB8_914 Depth 4
	;; [unrolled: 1-line block ×3, first 2 shown]
                                        ;     Child Loop BB8_955 Depth 2
                                        ;       Child Loop BB8_963 Depth 3
                                        ;       Child Loop BB8_991 Depth 3
	;; [unrolled: 1-line block ×5, first 2 shown]
                                        ;         Child Loop BB8_1242 Depth 4
                                        ;         Child Loop BB8_1277 Depth 4
	;; [unrolled: 1-line block ×4, first 2 shown]
                                        ;       Child Loop BB8_1353 Depth 3
                                        ;       Child Loop BB8_1361 Depth 3
	;; [unrolled: 1-line block ×3, first 2 shown]
                                        ;         Child Loop BB8_1471 Depth 4
                                        ;         Child Loop BB8_1478 Depth 4
	;; [unrolled: 1-line block ×4, first 2 shown]
                                        ;       Child Loop BB8_1497 Depth 3
                                        ;       Child Loop BB8_1509 Depth 3
	;; [unrolled: 1-line block ×3, first 2 shown]
                                        ;         Child Loop BB8_1715 Depth 4
                                        ;         Child Loop BB8_1752 Depth 4
                                        ;       Child Loop BB8_1829 Depth 3
                                        ;       Child Loop BB8_1936 Depth 3
                                        ;         Child Loop BB8_1937 Depth 4
                                        ;         Child Loop BB8_1946 Depth 4
                                        ;       Child Loop BB8_1966 Depth 3
                                        ;       Child Loop BB8_1989 Depth 3
                                        ;     Child Loop BB8_2007 Depth 2
                                        ;       Child Loop BB8_2013 Depth 3
                                        ;       Child Loop BB8_2041 Depth 3
	;; [unrolled: 1-line block ×3, first 2 shown]
                                        ;     Child Loop BB8_2083 Depth 2
                                        ;       Child Loop BB8_2086 Depth 3
                                        ;         Child Loop BB8_2094 Depth 4
                                        ;         Child Loop BB8_2122 Depth 4
	;; [unrolled: 1-line block ×5, first 2 shown]
                                        ;           Child Loop BB8_2184 Depth 5
                                        ;           Child Loop BB8_2189 Depth 5
                                        ;         Child Loop BB8_2195 Depth 4
                                        ;         Child Loop BB8_2203 Depth 4
                                        ;         Child Loop BB8_2213 Depth 4
                                        ;           Child Loop BB8_2215 Depth 5
                                        ;           Child Loop BB8_2220 Depth 5
                                        ;         Child Loop BB8_2224 Depth 4
                                        ;         Child Loop BB8_2236 Depth 4
	;; [unrolled: 1-line block ×7, first 2 shown]
                                        ;       Child Loop BB8_2328 Depth 3
                                        ;         Child Loop BB8_2334 Depth 4
                                        ;         Child Loop BB8_2362 Depth 4
	;; [unrolled: 1-line block ×3, first 2 shown]
                                        ;     Child Loop BB8_2407 Depth 2
                                        ;       Child Loop BB8_2415 Depth 3
                                        ;       Child Loop BB8_2439 Depth 3
	;; [unrolled: 1-line block ×9, first 2 shown]
                                        ;     Child Loop BB8_2576 Depth 2
                                        ;       Child Loop BB8_2582 Depth 3
                                        ;       Child Loop BB8_2606 Depth 3
	;; [unrolled: 1-line block ×3, first 2 shown]
	buffer_store_dword v5, off, s[0:3], s33 offset:344 ; 4-byte Folded Spill
	s_nop 0
	buffer_store_dword v6, off, s[0:3], s33 offset:348 ; 4-byte Folded Spill
	v_sub_co_u32_e32 v0, vcc, v0, v5
	v_subb_co_u32_e32 v1, vcc, v1, v6, vcc
	buffer_store_dword v0, off, s[0:3], s33 offset:320 ; 4-byte Folded Spill
	s_nop 0
	buffer_store_dword v1, off, s[0:3], s33 offset:324 ; 4-byte Folded Spill
	v_cmp_lt_i64_e32 vcc, v[0:1], v[9:10]
	s_and_saveexec_b64 s[28:29], vcc
	s_cbranch_execz .LBB8_53
; %bb.48:                               ;   in Loop: Header=BB8_47 Depth=1
	buffer_load_dword v4, off, s[0:3], s33 offset:320 ; 4-byte Folded Reload
	buffer_load_dword v5, off, s[0:3], s33 offset:324 ; 4-byte Folded Reload
	v_mov_b32_e32 v0, s65
	s_waitcnt vmcnt(0)
	v_add_co_u32_e32 v4, vcc, s64, v4
	s_waitcnt vmcnt(0)
	v_addc_co_u32_e32 v5, vcc, v0, v5, vcc
	v_or_b32_e32 v3, s53, v5
	v_cmp_ne_u64_e32 vcc, 0, v[2:3]
                                        ; implicit-def: $vgpr0_vgpr1
	s_and_saveexec_b64 s[26:27], vcc
	s_xor_b64 s[40:41], exec, s[26:27]
	s_cbranch_execz .LBB8_50
; %bb.49:                               ;   in Loop: Header=BB8_47 Depth=1
	s_add_u32 s26, s52, s76
	s_mov_b32 s77, s76
	s_addc_u32 s27, s53, s76
	s_xor_b64 s[42:43], s[26:27], s[76:77]
	v_cvt_f32_u32_e32 v0, s42
	v_cvt_f32_u32_e32 v1, s43
	s_sub_u32 s44, 0, s42
	s_subb_u32 s45, 0, s43
	v_ashrrev_i32_e32 v6, 31, v5
	v_mac_f32_e32 v0, 0x4f800000, v1
	v_rcp_f32_e32 v0, v0
	v_mul_f32_e32 v0, 0x5f7ffffc, v0
	v_mul_f32_e32 v1, 0x2f800000, v0
	v_trunc_f32_e32 v1, v1
	v_mac_f32_e32 v0, 0xcf800000, v1
	v_cvt_u32_f32_e32 v1, v1
	v_cvt_u32_f32_e32 v0, v0
	v_readfirstlane_b32 s46, v1
	v_readfirstlane_b32 s26, v0
	s_mul_i32 s27, s44, s46
	s_mul_hi_u32 s57, s44, s26
	s_mul_i32 s47, s45, s26
	s_add_i32 s27, s57, s27
	s_add_i32 s27, s27, s47
	s_mul_i32 s77, s44, s26
	s_mul_i32 s57, s26, s27
	s_mul_hi_u32 s78, s26, s77
	s_mul_hi_u32 s47, s26, s27
	s_add_u32 s57, s78, s57
	s_addc_u32 s47, 0, s47
	s_mul_hi_u32 s79, s46, s77
	s_mul_i32 s77, s46, s77
	s_add_u32 s57, s57, s77
	s_mul_hi_u32 s78, s46, s27
	s_addc_u32 s47, s47, s79
	s_addc_u32 s57, s78, 0
	s_mul_i32 s27, s46, s27
	s_add_u32 s27, s47, s27
	s_addc_u32 s47, 0, s57
	s_add_u32 s57, s26, s27
	s_cselect_b64 s[26:27], -1, 0
	s_cmp_lg_u64 s[26:27], 0
	s_addc_u32 s46, s46, s47
	s_mul_i32 s26, s44, s46
	s_mul_hi_u32 s27, s44, s57
	s_add_i32 s26, s27, s26
	s_mul_i32 s45, s45, s57
	s_add_i32 s26, s26, s45
	s_mul_i32 s44, s44, s57
	s_mul_hi_u32 s45, s46, s44
	s_mul_i32 s47, s46, s44
	s_mul_i32 s78, s57, s26
	s_mul_hi_u32 s44, s57, s44
	s_mul_hi_u32 s77, s57, s26
	s_add_u32 s44, s44, s78
	s_addc_u32 s77, 0, s77
	s_add_u32 s44, s44, s47
	s_mul_hi_u32 s27, s46, s26
	s_addc_u32 s44, s77, s45
	s_addc_u32 s27, s27, 0
	s_mul_i32 s26, s46, s26
	s_add_u32 s26, s44, s26
	s_addc_u32 s44, 0, s27
	s_add_u32 s45, s57, s26
	s_cselect_b64 s[26:27], -1, 0
	s_cmp_lg_u64 s[26:27], 0
	v_add_co_u32_e32 v0, vcc, v4, v6
	s_addc_u32 s44, s46, s44
	v_addc_co_u32_e32 v3, vcc, v5, v6, vcc
	v_xor_b32_e32 v5, v0, v6
	v_mad_u64_u32 v[0:1], s[26:27], v5, s44, 0
	v_mul_hi_u32 v4, v5, s45
	v_xor_b32_e32 v7, v3, v6
	v_add_co_u32_e32 v8, vcc, v4, v0
	v_addc_co_u32_e32 v9, vcc, 0, v1, vcc
	v_mad_u64_u32 v[0:1], s[26:27], v7, s45, 0
	v_mad_u64_u32 v[3:4], s[26:27], v7, s44, 0
	v_add_co_u32_e32 v0, vcc, v8, v0
	v_addc_co_u32_e32 v0, vcc, v9, v1, vcc
	v_addc_co_u32_e32 v1, vcc, 0, v4, vcc
	v_add_co_u32_e32 v3, vcc, v0, v3
	v_addc_co_u32_e32 v4, vcc, 0, v1, vcc
	v_mul_lo_u32 v8, s43, v3
	v_mul_lo_u32 v9, s42, v4
	v_mad_u64_u32 v[0:1], s[26:27], s42, v3, 0
	v_add3_u32 v1, v1, v9, v8
	v_sub_u32_e32 v8, v7, v1
	v_mov_b32_e32 v9, s43
	v_sub_co_u32_e32 v0, vcc, v5, v0
	v_subb_co_u32_e64 v5, s[26:27], v8, v9, vcc
	v_subrev_co_u32_e64 v8, s[26:27], s42, v0
	v_subbrev_co_u32_e64 v5, s[26:27], 0, v5, s[26:27]
	v_cmp_le_u32_e64 s[26:27], s43, v5
	v_cndmask_b32_e64 v9, 0, -1, s[26:27]
	v_cmp_le_u32_e64 s[26:27], s42, v8
	v_cndmask_b32_e64 v8, 0, -1, s[26:27]
	v_cmp_eq_u32_e64 s[26:27], s43, v5
	v_cndmask_b32_e64 v5, v9, v8, s[26:27]
	v_add_co_u32_e64 v8, s[26:27], 2, v3
	v_subb_co_u32_e32 v1, vcc, v7, v1, vcc
	v_addc_co_u32_e64 v9, s[26:27], 0, v4, s[26:27]
	v_cmp_le_u32_e32 vcc, s43, v1
	v_add_co_u32_e64 v10, s[26:27], 1, v3
	v_cndmask_b32_e64 v7, 0, -1, vcc
	v_cmp_le_u32_e32 vcc, s42, v0
	v_addc_co_u32_e64 v11, s[26:27], 0, v4, s[26:27]
	v_cndmask_b32_e64 v0, 0, -1, vcc
	v_cmp_eq_u32_e32 vcc, s43, v1
	v_cmp_ne_u32_e64 s[26:27], 0, v5
	v_cndmask_b32_e32 v0, v7, v0, vcc
	v_cndmask_b32_e64 v5, v11, v9, s[26:27]
	v_cmp_ne_u32_e32 vcc, 0, v0
	v_cndmask_b32_e64 v1, v10, v8, s[26:27]
	v_cndmask_b32_e32 v0, v4, v5, vcc
	v_cndmask_b32_e32 v1, v3, v1, vcc
	v_xor_b32_e32 v3, s76, v6
	v_xor_b32_e32 v4, v0, v3
	;; [unrolled: 1-line block ×3, first 2 shown]
	v_sub_co_u32_e32 v0, vcc, v0, v3
	v_subb_co_u32_e32 v1, vcc, v4, v3, vcc
                                        ; implicit-def: $vgpr4
.LBB8_50:                               ;   in Loop: Header=BB8_47 Depth=1
	s_andn2_saveexec_b64 s[40:41], s[40:41]
	s_cbranch_execz .LBB8_52
; %bb.51:                               ;   in Loop: Header=BB8_47 Depth=1
	v_cvt_f32_u32_e32 v0, s52
	s_sub_i32 s26, 0, s52
	v_rcp_iflag_f32_e32 v0, v0
	v_mul_f32_e32 v0, 0x4f7ffffe, v0
	v_cvt_u32_f32_e32 v0, v0
	v_mul_lo_u32 v1, s26, v0
	v_mul_hi_u32 v1, v0, v1
	v_add_u32_e32 v0, v0, v1
	v_mul_hi_u32 v0, v4, v0
	v_mul_lo_u32 v1, v0, s52
	v_sub_u32_e32 v1, v4, v1
	v_cmp_le_u32_e32 vcc, s52, v1
	v_subrev_u32_e32 v3, s52, v1
	v_cndmask_b32_e32 v1, v1, v3, vcc
	v_cmp_le_u32_e64 s[26:27], s52, v1
	v_add_u32_e32 v1, 1, v0
	v_cndmask_b32_e32 v0, v0, v1, vcc
	v_add_u32_e32 v1, 1, v0
	v_cndmask_b32_e64 v0, v0, v1, s[26:27]
	v_mov_b32_e32 v1, v2
.LBB8_52:                               ;   in Loop: Header=BB8_47 Depth=1
	s_or_b64 exec, exec, s[40:41]
	v_add_co_u32_e32 v0, vcc, 7, v0
	v_addc_co_u32_e32 v1, vcc, 0, v1, vcc
	v_and_b32_e32 v0, -8, v0
	buffer_store_dword v0, off, s[0:3], s33 offset:328 ; 4-byte Folded Spill
	s_nop 0
	buffer_store_dword v1, off, s[0:3], s33 offset:332 ; 4-byte Folded Spill
.LBB8_53:                               ;   in Loop: Header=BB8_47 Depth=1
	s_or_b64 exec, exec, s[28:29]
	buffer_load_dword v3, off, s[0:3], s33 offset:328 ; 4-byte Folded Reload
	buffer_load_dword v4, off, s[0:3], s33 offset:332 ; 4-byte Folded Reload
	v_mov_b32_e32 v28, 0
	s_waitcnt vmcnt(0)
	v_mul_lo_u32 v1, v3, s68
	s_waitcnt vmcnt(0)
	v_mul_lo_u32 v0, v4, s67
	v_mad_u64_u32 v[6:7], s[26:27], v3, s67, 0
	v_add3_u32 v7, v7, v1, v0
	buffer_load_dword v0, off, s[0:3], s33 offset:376 ; 4-byte Folded Reload
	buffer_load_dword v1, off, s[0:3], s33 offset:380 ; 4-byte Folded Reload
	;; [unrolled: 1-line block ×4, first 2 shown]
	s_waitcnt vmcnt(0)
	v_add_co_u32_e32 v0, vcc, v8, v0
	s_waitcnt vmcnt(0)
	v_addc_co_u32_e32 v1, vcc, v9, v1, vcc
	buffer_store_dword v0, off, s[0:3], s33 offset:256 ; 4-byte Folded Spill
	s_nop 0
	buffer_store_dword v1, off, s[0:3], s33 offset:260 ; 4-byte Folded Spill
	buffer_load_dword v0, off, s[0:3], s33 offset:320 ; 4-byte Folded Reload
	s_nop 0
	buffer_load_dword v1, off, s[0:3], s33 offset:324 ; 4-byte Folded Reload
	s_waitcnt vmcnt(0)
	v_sub_co_u32_e32 v0, vcc, v0, v6
	s_waitcnt vmcnt(0)
	v_subb_co_u32_e32 v1, vcc, v1, v7, vcc
	v_cmp_lt_i64_e32 vcc, v[3:4], v[0:1]
	v_mov_b32_e32 v1, 0
	v_cndmask_b32_e32 v3, v0, v3, vcc
	v_max_i32_e32 v30, 0, v3
	v_add_u32_e32 v0, 31, v30
	v_lshrrev_b32_e32 v0, 1, v0
	v_and_b32_e32 v0, 0x3ffffff0, v0
	v_cmp_lt_i32_e32 vcc, 0, v3
	v_max_i32_e32 v0, s69, v0
	s_and_b64 s[26:27], s[74:75], vcc
	s_and_saveexec_b64 s[28:29], s[26:27]
	s_cbranch_execz .LBB8_224
; %bb.54:                               ;   in Loop: Header=BB8_47 Depth=1
	v_lshlrev_b64 v[34:35], 1, v[6:7]
	s_mov_b32 s46, 1
	s_mov_b64 s[42:43], -1
	v_mov_b32_e32 v28, 0
	s_mov_b64 s[40:41], 0
	buffer_store_dword v34, off, s[0:3], s33 offset:244 ; 4-byte Folded Spill
	s_nop 0
	buffer_store_dword v35, off, s[0:3], s33 offset:248 ; 4-byte Folded Spill
	s_branch .LBB8_57
.LBB8_55:                               ;   in Loop: Header=BB8_57 Depth=2
	s_or_b64 exec, exec, s[44:45]
	buffer_load_dword v3, off, s[0:3], s33 offset:148 ; 4-byte Folded Reload
	buffer_load_dword v4, off, s[0:3], s33 offset:152 ; 4-byte Folded Reload
	s_waitcnt vmcnt(0)
	v_add_co_u32_e32 v3, vcc, 2, v3
	v_addc_co_u32_e32 v4, vcc, 0, v4, vcc
	buffer_store_dword v3, off, s[0:3], s33 offset:148 ; 4-byte Folded Spill
	s_nop 0
	buffer_store_dword v4, off, s[0:3], s33 offset:152 ; 4-byte Folded Spill
	flat_store_dwordx2 v[40:41], v[3:4]
.LBB8_56:                               ;   in Loop: Header=BB8_57 Depth=2
	s_or_b64 exec, exec, s[26:27]
	v_add_u32_e32 v28, v0, v28
	v_cmp_ge_i32_e32 vcc, v28, v30
	s_xor_b64 s[26:27], s[42:43], -1
	s_or_b64 s[26:27], s[26:27], vcc
	s_and_b64 s[26:27], exec, s[26:27]
	s_or_b64 s[40:41], s[26:27], s[40:41]
	s_mov_b64 s[42:43], 0
	v_mov_b32_e32 v1, s46
	s_mov_b32 s46, 2
	s_andn2_b64 exec, exec, s[40:41]
	s_cbranch_execz .LBB8_223
.LBB8_57:                               ;   Parent Loop BB8_47 Depth=1
                                        ; =>  This Loop Header: Depth=2
                                        ;       Child Loop BB8_65 Depth 3
                                        ;       Child Loop BB8_89 Depth 3
	;; [unrolled: 1-line block ×9, first 2 shown]
	s_and_saveexec_b64 s[26:27], s[4:5]
	s_cbranch_execz .LBB8_59
; %bb.58:                               ;   in Loop: Header=BB8_57 Depth=2
	s_trap 2
	ds_read_b64 v[3:4], v0
	buffer_load_dword v5, off, s[0:3], s33 offset:256 ; 4-byte Folded Reload
	buffer_load_dword v6, off, s[0:3], s33 offset:260 ; 4-byte Folded Reload
	v_ashrrev_i32_e32 v29, 31, v28
	s_waitcnt vmcnt(0)
	v_lshlrev_b64 v[5:6], 1, v[5:6]
	s_waitcnt lgkmcnt(0)
	v_add_co_u32_e32 v1, vcc, v3, v5
	v_addc_co_u32_e32 v3, vcc, v4, v6, vcc
	v_add_co_u32_e32 v1, vcc, v1, v34
	v_addc_co_u32_e32 v5, vcc, v3, v35, vcc
	v_lshlrev_b64 v[3:4], 1, v[28:29]
	v_add_co_u32_e32 v3, vcc, v1, v3
	v_addc_co_u32_e32 v4, vcc, v5, v4, vcc
	ds_write_b64 v0, v[3:4]
	v_mov_b32_e32 v3, v2
	ds_write_b64 v0, v[2:3]
.LBB8_59:                               ;   in Loop: Header=BB8_57 Depth=2
	s_or_b64 exec, exec, s[26:27]
	v_sub_u32_e32 v1, v30, v28
	v_min_i32_e32 v0, v0, v1
	v_and_b32_e32 v1, 8, v56
	v_cmp_ne_u32_e32 vcc, 0, v1
	s_and_saveexec_b64 s[44:45], vcc
	s_cbranch_execz .LBB8_81
; %bb.60:                               ;   in Loop: Header=BB8_57 Depth=2
	buffer_load_dword v5, off, s[0:3], s33 offset:148 ; 4-byte Folded Reload
	buffer_load_dword v6, off, s[0:3], s33 offset:152 ; 4-byte Folded Reload
	s_waitcnt lgkmcnt(0)
	v_add_co_u32_e32 v3, vcc, 8, v46
	v_addc_co_u32_e32 v4, vcc, 0, v47, vcc
	s_waitcnt vmcnt(0)
	v_add_co_u32_e32 v8, vcc, 2, v5
	s_waitcnt vmcnt(0)
	v_addc_co_u32_e32 v9, vcc, 0, v6, vcc
	v_cmp_lt_u64_e32 vcc, v[3:4], v[8:9]
	s_and_saveexec_b64 s[78:79], vcc
	s_cbranch_execz .LBB8_72
; %bb.61:                               ;   in Loop: Header=BB8_57 Depth=2
	v_and_b32_e32 v1, 64, v56
	s_mov_b32 s47, 0
	v_cmp_eq_u32_e32 vcc, 0, v1
	s_mov_b64 s[88:89], 0
                                        ; implicit-def: $sgpr90_sgpr91
                                        ; implicit-def: $sgpr92_sgpr93
                                        ; implicit-def: $sgpr94_sgpr95
	s_branch .LBB8_65
.LBB8_62:                               ;   in Loop: Header=BB8_65 Depth=3
	s_waitcnt vmcnt(0) lgkmcnt(0)
	v_add_co_u32_e64 v3, s[26:27], 8, v46
	v_addc_co_u32_e64 v4, s[26:27], 0, v47, s[26:27]
	v_cmp_ge_u64_e64 s[26:27], v[3:4], v[8:9]
	s_or_b64 s[36:37], s[36:37], exec
	s_orn2_b64 s[34:35], s[26:27], exec
.LBB8_63:                               ;   in Loop: Header=BB8_65 Depth=3
	s_or_b64 exec, exec, s[48:49]
	s_andn2_b64 s[26:27], s[94:95], exec
	s_and_b64 s[94:95], s[36:37], exec
	s_or_b64 s[94:95], s[26:27], s[94:95]
	s_andn2_b64 s[26:27], s[92:93], exec
	s_and_b64 s[92:93], s[34:35], exec
	s_or_b64 s[92:93], s[26:27], s[92:93]
.LBB8_64:                               ;   in Loop: Header=BB8_65 Depth=3
	s_or_b64 exec, exec, s[30:31]
	s_and_b64 s[26:27], exec, s[92:93]
	s_or_b64 s[88:89], s[26:27], s[88:89]
	s_andn2_b64 s[26:27], s[90:91], exec
	s_and_b64 s[90:91], s[94:95], exec
	s_or_b64 s[90:91], s[26:27], s[90:91]
	s_andn2_b64 exec, exec, s[88:89]
	s_cbranch_execz .LBB8_69
.LBB8_65:                               ;   Parent Loop BB8_47 Depth=1
                                        ;     Parent Loop BB8_57 Depth=2
                                        ; =>    This Inner Loop Header: Depth=3
	s_sleep 1
	s_waitcnt vmcnt(0) lgkmcnt(0)
	flat_load_dwordx2 v[46:47], v[40:41] glc
	s_or_b64 s[94:95], s[94:95], exec
	s_or_b64 s[92:93], s[92:93], exec
                                        ; implicit-def: $vgpr1
	s_and_saveexec_b64 s[30:31], vcc
	s_cbranch_execz .LBB8_64
; %bb.66:                               ;   in Loop: Header=BB8_65 Depth=3
	s_cmpk_lt_i32 s47, 0x270f
	s_cselect_b64 s[38:39], -1, 0
	s_cmpk_gt_i32 s47, 0x270e
	s_mov_b64 s[34:35], -1
	s_cbranch_scc0 .LBB8_68
; %bb.67:                               ;   in Loop: Header=BB8_65 Depth=3
	s_trap 2
	ds_read_b64 v[3:4], v0
	s_andn2_b64 s[38:39], s[38:39], exec
	s_mov_b32 s47, 0
	s_mov_b64 s[36:37], 0
	s_waitcnt vmcnt(0) lgkmcnt(0)
	flat_load_dword v1, v[3:4] glc
	s_waitcnt vmcnt(0) lgkmcnt(0)
	buffer_wbinvl1_vol
	v_cmp_eq_u32_e64 s[26:27], 0, v1
	s_and_b64 s[26:27], s[26:27], exec
	s_or_b64 s[38:39], s[38:39], s[26:27]
	s_and_saveexec_b64 s[48:49], s[38:39]
	s_cbranch_execz .LBB8_63
	s_branch .LBB8_62
.LBB8_68:                               ;   in Loop: Header=BB8_65 Depth=3
	s_add_i32 s47, s47, 1
	s_mov_b64 s[36:37], -1
                                        ; implicit-def: $vgpr1
	s_and_saveexec_b64 s[48:49], s[38:39]
	s_cbranch_execz .LBB8_63
	s_branch .LBB8_62
.LBB8_69:                               ;   in Loop: Header=BB8_57 Depth=2
	s_or_b64 exec, exec, s[88:89]
	s_xor_b64 s[26:27], s[90:91], -1
	s_and_saveexec_b64 s[88:89], s[26:27]
	s_xor_b64 s[26:27], exec, s[88:89]
	s_cbranch_execz .LBB8_71
; %bb.70:                               ;   in Loop: Header=BB8_57 Depth=2
	v_or_b32_e32 v56, 64, v56
	s_waitcnt lgkmcnt(0)
	ds_write_b32 v0, v1
	s_trap 2
.LBB8_71:                               ;   in Loop: Header=BB8_57 Depth=2
	s_or_b64 exec, exec, s[26:27]
.LBB8_72:                               ;   in Loop: Header=BB8_57 Depth=2
	s_or_b64 exec, exec, s[78:79]
	;;#ASMSTART
	s_wakeup
	;;#ASMEND
	buffer_load_dword v3, off, s[0:3], s33 offset:148 ; 4-byte Folded Reload
	buffer_load_dword v4, off, s[0:3], s33 offset:152 ; 4-byte Folded Reload
	v_and_b32_e32 v1, 0x100, v56
	v_cmp_ne_u32_e32 vcc, 0, v1
	s_mov_b64 s[26:27], -1
	s_waitcnt vmcnt(0)
	v_and_b32_e32 v7, 7, v3
                                        ; implicit-def: $vgpr3_vgpr4
	s_and_saveexec_b64 s[78:79], vcc
	s_cbranch_execz .LBB8_76
; %bb.73:                               ;   in Loop: Header=BB8_57 Depth=2
	buffer_load_dword v3, off, s[0:3], s33 offset:204 ; 4-byte Folded Reload
	buffer_load_dword v4, off, s[0:3], s33 offset:208 ; 4-byte Folded Reload
	;; [unrolled: 1-line block ×4, first 2 shown]
	v_ashrrev_i32_e32 v1, 31, v0
	s_waitcnt vmcnt(0)
	v_mad_u64_u32 v[5:6], s[26:27], v7, 24, v[3:4]
	v_lshlrev_b64 v[3:4], 1, v[0:1]
	flat_load_dword v1, v[5:6]
	s_nop 0
	flat_store_dwordx2 v[5:6], v[3:4] offset:8
                                        ; implicit-def: $vgpr3_vgpr4
	s_waitcnt vmcnt(0) lgkmcnt(0)
	v_cmp_ne_u32_e32 vcc, 1, v1
	v_cmp_eq_u32_e64 s[26:27], 1, v1
	s_and_saveexec_b64 s[88:89], s[26:27]
	s_cbranch_execz .LBB8_75
; %bb.74:                               ;   in Loop: Header=BB8_57 Depth=2
	flat_load_dword v3, v[5:6] offset:4 glc
	s_waitcnt vmcnt(0) lgkmcnt(0)
	v_ashrrev_i32_e32 v4, 31, v3
	v_lshrrev_b64 v[3:4], 1, v[3:4]
.LBB8_75:                               ;   in Loop: Header=BB8_57 Depth=2
	s_or_b64 exec, exec, s[88:89]
	s_orn2_b64 s[26:27], vcc, exec
.LBB8_76:                               ;   in Loop: Header=BB8_57 Depth=2
	s_or_b64 exec, exec, s[78:79]
	s_and_saveexec_b64 s[78:79], s[26:27]
	s_cbranch_execz .LBB8_78
; %bb.77:                               ;   in Loop: Header=BB8_57 Depth=2
	buffer_load_dword v1, off, s[0:3], s33 offset:228 ; 4-byte Folded Reload
	s_waitcnt vmcnt(0)
	v_mad_i64_i32 v[3:4], s[26:27], v7, v1, 0
.LBB8_78:                               ;   in Loop: Header=BB8_57 Depth=2
	s_or_b64 exec, exec, s[78:79]
	buffer_load_dword v5, off, s[0:3], s33 offset:196 ; 4-byte Folded Reload
	buffer_load_dword v6, off, s[0:3], s33 offset:200 ; 4-byte Folded Reload
	v_lshlrev_b64 v[3:4], 1, v[3:4]
	v_and_b32_e32 v1, 0x2000, v56
	s_waitcnt vmcnt(0)
	v_add_co_u32_e32 v3, vcc, v5, v3
	v_addc_co_u32_e32 v4, vcc, v6, v4, vcc
	v_cmp_ne_u32_e32 vcc, 0, v1
	ds_write_b64 v0, v[3:4] offset:784
	s_and_saveexec_b64 s[26:27], vcc
	s_cbranch_execz .LBB8_80
; %bb.79:                               ;   in Loop: Header=BB8_57 Depth=2
	ds_read_b64 v[3:4], v0 offset:872
	s_waitcnt lgkmcnt(0)
	v_add_co_u32_e32 v3, vcc, 1, v3
	v_addc_co_u32_e32 v4, vcc, 0, v4, vcc
	ds_write_b64 v0, v[3:4] offset:872
.LBB8_80:                               ;   in Loop: Header=BB8_57 Depth=2
	s_or_b64 exec, exec, s[26:27]
	buffer_store_dword v8, off, s[0:3], s33 offset:148 ; 4-byte Folded Spill
	s_nop 0
	buffer_store_dword v9, off, s[0:3], s33 offset:152 ; 4-byte Folded Spill
.LBB8_81:                               ;   in Loop: Header=BB8_57 Depth=2
	s_or_b64 exec, exec, s[44:45]
	s_and_saveexec_b64 s[26:27], s[10:11]
	s_cbranch_execz .LBB8_100
; %bb.82:                               ;   in Loop: Header=BB8_57 Depth=2
	s_and_saveexec_b64 s[44:45], s[58:59]
	s_xor_b64 s[44:45], exec, s[44:45]
	s_cbranch_execz .LBB8_97
; %bb.83:                               ;   in Loop: Header=BB8_57 Depth=2
	s_and_saveexec_b64 s[78:79], s[16:17]
	s_cbranch_execz .LBB8_96
; %bb.84:                               ;   in Loop: Header=BB8_57 Depth=2
	s_mov_b64 s[90:91], exec
	v_mbcnt_lo_u32_b32 v1, s90, 0
	v_mbcnt_hi_u32_b32 v1, s91, v1
	v_cmp_eq_u32_e32 vcc, 0, v1
	s_waitcnt vmcnt(0) lgkmcnt(0)
	buffer_wbinvl1_vol
	s_and_saveexec_b64 s[88:89], vcc
	s_cbranch_execz .LBB8_86
; %bb.85:                               ;   in Loop: Header=BB8_57 Depth=2
	s_bcnt1_i32_b64 s47, s[90:91]
	v_mov_b32_e32 v3, s47
	v_mov_b32_e32 v4, v2
	ds_add_u64 v0, v[3:4]
	s_trap 2
.LBB8_86:                               ;   in Loop: Header=BB8_57 Depth=2
	s_or_b64 exec, exec, s[88:89]
	s_trap 2
	ds_read_b64 v[3:4], v0
	s_waitcnt lgkmcnt(0)
	buffer_load_dword v5, off, s[0:3], s33 offset:132 ; 4-byte Folded Reload
	buffer_load_dword v6, off, s[0:3], s33 offset:136 ; 4-byte Folded Reload
	s_waitcnt vmcnt(1)
	v_add_co_u32_e32 v5, vcc, v5, v52
	s_waitcnt vmcnt(0)
	v_addc_co_u32_e32 v6, vcc, 0, v6, vcc
	buffer_store_dword v5, off, s[0:3], s33 offset:132 ; 4-byte Folded Spill
	s_nop 0
	buffer_store_dword v6, off, s[0:3], s33 offset:136 ; 4-byte Folded Spill
	v_cmp_lt_u64_e32 vcc, v[3:4], v[5:6]
	s_and_saveexec_b64 s[88:89], vcc
	s_cbranch_execz .LBB8_95
; %bb.87:                               ;   in Loop: Header=BB8_57 Depth=2
	s_mov_b32 s47, 0
	s_mov_b64 s[90:91], 0
                                        ; implicit-def: $sgpr92_sgpr93
                                        ; implicit-def: $sgpr94_sgpr95
	s_branch .LBB8_89
.LBB8_88:                               ;   in Loop: Header=BB8_89 Depth=3
	s_or_b64 exec, exec, s[34:35]
	s_and_b64 vcc, exec, vcc
	s_or_b64 s[90:91], vcc, s[90:91]
	s_andn2_b64 s[92:93], s[92:93], exec
	s_and_b64 vcc, s[94:95], exec
	s_or_b64 s[92:93], s[92:93], vcc
	s_andn2_b64 exec, exec, s[90:91]
	s_cbranch_execz .LBB8_93
.LBB8_89:                               ;   Parent Loop BB8_47 Depth=1
                                        ;     Parent Loop BB8_57 Depth=2
                                        ; =>    This Inner Loop Header: Depth=3
	s_add_i32 s47, s47, 1
	s_cmpk_lg_i32 s47, 0x2710
	s_cselect_b64 s[30:31], -1, 0
	s_and_b64 vcc, exec, s[30:31]
	s_cbranch_vccz .LBB8_91
; %bb.90:                               ;   in Loop: Header=BB8_89 Depth=3
	s_mov_b64 vcc, -1
	s_or_b64 s[94:95], s[94:95], exec
	s_and_saveexec_b64 s[34:35], s[30:31]
	s_cbranch_execz .LBB8_88
	s_branch .LBB8_92
.LBB8_91:                               ;   in Loop: Header=BB8_89 Depth=3
	s_trap 2
	ds_read_b64 v[3:4], v0
	s_andn2_b64 s[30:31], s[30:31], exec
	s_mov_b32 s47, 0
	s_waitcnt vmcnt(0) lgkmcnt(0)
	flat_load_dword v1, v[3:4] glc
	s_waitcnt vmcnt(0) lgkmcnt(0)
	buffer_wbinvl1_vol
	v_cmp_eq_u32_e32 vcc, 0, v1
	s_and_b64 vcc, vcc, exec
	s_or_b64 s[30:31], s[30:31], vcc
	s_mov_b64 vcc, -1
	s_or_b64 s[94:95], s[94:95], exec
	s_and_saveexec_b64 s[34:35], s[30:31]
	s_cbranch_execz .LBB8_88
.LBB8_92:                               ;   in Loop: Header=BB8_89 Depth=3
	s_sleep 1
	s_trap 2
	ds_read_b64 v[3:4], v0
	s_waitcnt lgkmcnt(0)
	buffer_load_dword v5, off, s[0:3], s33 offset:132 ; 4-byte Folded Reload
	buffer_load_dword v6, off, s[0:3], s33 offset:136 ; 4-byte Folded Reload
	s_andn2_b64 s[94:95], s[94:95], exec
	s_waitcnt vmcnt(0)
	v_cmp_ge_u64_e32 vcc, v[3:4], v[5:6]
	s_orn2_b64 vcc, vcc, exec
	s_branch .LBB8_88
.LBB8_93:                               ;   in Loop: Header=BB8_57 Depth=2
	s_or_b64 exec, exec, s[90:91]
	s_and_saveexec_b64 s[90:91], s[92:93]
	s_xor_b64 s[90:91], exec, s[90:91]
	s_cbranch_execz .LBB8_95
; %bb.94:                               ;   in Loop: Header=BB8_57 Depth=2
	v_mov_b32_e32 v1, 1
	ds_write_b32 v0, v1
	s_trap 2
.LBB8_95:                               ;   in Loop: Header=BB8_57 Depth=2
	s_or_b64 exec, exec, s[88:89]
	;;#ASMSTART
	s_wakeup
	;;#ASMEND
.LBB8_96:                               ;   in Loop: Header=BB8_57 Depth=2
	s_or_b64 exec, exec, s[78:79]
.LBB8_97:                               ;   in Loop: Header=BB8_57 Depth=2
	s_andn2_saveexec_b64 s[44:45], s[44:45]
	s_cbranch_execz .LBB8_99
; %bb.98:                               ;   in Loop: Header=BB8_57 Depth=2
	s_waitcnt vmcnt(0) lgkmcnt(0)
	buffer_wbinvl1_vol
	s_barrier
.LBB8_99:                               ;   in Loop: Header=BB8_57 Depth=2
	s_or_b64 exec, exec, s[44:45]
.LBB8_100:                              ;   in Loop: Header=BB8_57 Depth=2
	s_or_b64 exec, exec, s[26:27]
	s_trap 2
	ds_read_b32 v1, v0
	v_and_b32_e32 v3, 0x4000, v56
	v_cmp_ne_u32_e32 vcc, 0, v3
	s_xor_b64 s[26:27], s[6:7], -1
	s_and_b64 s[44:45], s[26:27], vcc
	s_and_saveexec_b64 s[26:27], s[44:45]
	s_cbranch_execz .LBB8_119
; %bb.101:                              ;   in Loop: Header=BB8_57 Depth=2
	s_and_saveexec_b64 s[44:45], s[58:59]
	s_xor_b64 s[44:45], exec, s[44:45]
	s_cbranch_execz .LBB8_116
; %bb.102:                              ;   in Loop: Header=BB8_57 Depth=2
	s_and_saveexec_b64 s[78:79], s[16:17]
	s_cbranch_execz .LBB8_115
; %bb.103:                              ;   in Loop: Header=BB8_57 Depth=2
	s_mov_b64 s[90:91], exec
	v_mbcnt_lo_u32_b32 v3, s90, 0
	v_mbcnt_hi_u32_b32 v3, s91, v3
	v_cmp_eq_u32_e32 vcc, 0, v3
	s_waitcnt vmcnt(0) lgkmcnt(0)
	buffer_wbinvl1_vol
	s_and_saveexec_b64 s[88:89], vcc
	s_cbranch_execz .LBB8_105
; %bb.104:                              ;   in Loop: Header=BB8_57 Depth=2
	s_bcnt1_i32_b64 s47, s[90:91]
	v_mov_b32_e32 v3, s47
	v_mov_b32_e32 v4, v2
	ds_add_u64 v0, v[3:4]
	s_trap 2
.LBB8_105:                              ;   in Loop: Header=BB8_57 Depth=2
	s_or_b64 exec, exec, s[88:89]
	s_trap 2
	ds_read_b64 v[3:4], v0
	s_waitcnt lgkmcnt(0)
	buffer_load_dword v5, off, s[0:3], s33 offset:132 ; 4-byte Folded Reload
	buffer_load_dword v6, off, s[0:3], s33 offset:136 ; 4-byte Folded Reload
	s_waitcnt vmcnt(1)
	v_add_co_u32_e32 v5, vcc, v5, v52
	s_waitcnt vmcnt(0)
	v_addc_co_u32_e32 v6, vcc, 0, v6, vcc
	buffer_store_dword v5, off, s[0:3], s33 offset:132 ; 4-byte Folded Spill
	s_nop 0
	buffer_store_dword v6, off, s[0:3], s33 offset:136 ; 4-byte Folded Spill
	v_cmp_lt_u64_e32 vcc, v[3:4], v[5:6]
	s_and_saveexec_b64 s[88:89], vcc
	s_cbranch_execz .LBB8_114
; %bb.106:                              ;   in Loop: Header=BB8_57 Depth=2
	s_mov_b32 s47, 0
	s_mov_b64 s[90:91], 0
                                        ; implicit-def: $sgpr92_sgpr93
                                        ; implicit-def: $sgpr94_sgpr95
	s_branch .LBB8_108
.LBB8_107:                              ;   in Loop: Header=BB8_108 Depth=3
	s_or_b64 exec, exec, s[34:35]
	s_and_b64 vcc, exec, vcc
	s_or_b64 s[90:91], vcc, s[90:91]
	s_andn2_b64 s[92:93], s[92:93], exec
	s_and_b64 vcc, s[94:95], exec
	s_or_b64 s[92:93], s[92:93], vcc
	s_andn2_b64 exec, exec, s[90:91]
	s_cbranch_execz .LBB8_112
.LBB8_108:                              ;   Parent Loop BB8_47 Depth=1
                                        ;     Parent Loop BB8_57 Depth=2
                                        ; =>    This Inner Loop Header: Depth=3
	s_add_i32 s47, s47, 1
	s_cmpk_lg_i32 s47, 0x2710
	s_cselect_b64 s[30:31], -1, 0
	s_and_b64 vcc, exec, s[30:31]
	s_cbranch_vccz .LBB8_110
; %bb.109:                              ;   in Loop: Header=BB8_108 Depth=3
	s_mov_b64 vcc, -1
	s_or_b64 s[94:95], s[94:95], exec
	s_and_saveexec_b64 s[34:35], s[30:31]
	s_cbranch_execz .LBB8_107
	s_branch .LBB8_111
.LBB8_110:                              ;   in Loop: Header=BB8_108 Depth=3
	s_trap 2
	ds_read_b64 v[3:4], v0
	s_andn2_b64 s[30:31], s[30:31], exec
	s_mov_b32 s47, 0
	s_waitcnt vmcnt(0) lgkmcnt(0)
	flat_load_dword v3, v[3:4] glc
	s_waitcnt vmcnt(0) lgkmcnt(0)
	buffer_wbinvl1_vol
	v_cmp_eq_u32_e32 vcc, 0, v3
	s_and_b64 vcc, vcc, exec
	s_or_b64 s[30:31], s[30:31], vcc
	s_mov_b64 vcc, -1
	s_or_b64 s[94:95], s[94:95], exec
	s_and_saveexec_b64 s[34:35], s[30:31]
	s_cbranch_execz .LBB8_107
.LBB8_111:                              ;   in Loop: Header=BB8_108 Depth=3
	s_sleep 1
	s_trap 2
	ds_read_b64 v[3:4], v0
	s_waitcnt lgkmcnt(0)
	buffer_load_dword v5, off, s[0:3], s33 offset:132 ; 4-byte Folded Reload
	buffer_load_dword v6, off, s[0:3], s33 offset:136 ; 4-byte Folded Reload
	s_andn2_b64 s[94:95], s[94:95], exec
	s_waitcnt vmcnt(0)
	v_cmp_ge_u64_e32 vcc, v[3:4], v[5:6]
	s_orn2_b64 vcc, vcc, exec
	s_branch .LBB8_107
.LBB8_112:                              ;   in Loop: Header=BB8_57 Depth=2
	s_or_b64 exec, exec, s[90:91]
	s_and_saveexec_b64 s[90:91], s[92:93]
	s_xor_b64 s[90:91], exec, s[90:91]
	s_cbranch_execz .LBB8_114
; %bb.113:                              ;   in Loop: Header=BB8_57 Depth=2
	v_mov_b32_e32 v3, 1
	ds_write_b32 v0, v3
	s_trap 2
.LBB8_114:                              ;   in Loop: Header=BB8_57 Depth=2
	s_or_b64 exec, exec, s[88:89]
	;;#ASMSTART
	s_wakeup
	;;#ASMEND
.LBB8_115:                              ;   in Loop: Header=BB8_57 Depth=2
	s_or_b64 exec, exec, s[78:79]
.LBB8_116:                              ;   in Loop: Header=BB8_57 Depth=2
	s_andn2_saveexec_b64 s[44:45], s[44:45]
	s_cbranch_execz .LBB8_118
; %bb.117:                              ;   in Loop: Header=BB8_57 Depth=2
	s_waitcnt vmcnt(0) lgkmcnt(0)
	buffer_wbinvl1_vol
	s_barrier
.LBB8_118:                              ;   in Loop: Header=BB8_57 Depth=2
	s_or_b64 exec, exec, s[44:45]
.LBB8_119:                              ;   in Loop: Header=BB8_57 Depth=2
	s_or_b64 exec, exec, s[26:27]
	s_trap 2
	ds_read_b64 v[44:45], v0
	s_waitcnt lgkmcnt(0)
	v_cmp_eq_u64_e32 vcc, 0, v[44:45]
	s_cbranch_vccnz .LBB8_127
; %bb.120:                              ;   in Loop: Header=BB8_57 Depth=2
	s_trap 2
	ds_read_b64 v[58:59], v0
	s_waitcnt lgkmcnt(0)
	v_cmp_eq_u64_e32 vcc, 0, v[58:59]
	s_cbranch_vccnz .LBB8_127
; %bb.121:                              ;   in Loop: Header=BB8_57 Depth=2
	s_mov_b64 s[44:45], -1
	s_and_saveexec_b64 s[26:27], s[18:19]
	s_cbranch_execz .LBB8_123
; %bb.122:                              ;   in Loop: Header=BB8_57 Depth=2
	ds_read_b32 v3, v0 offset:720
	s_waitcnt lgkmcnt(0)
	v_and_b32_e32 v3, 15, v3
	v_cmp_eq_u32_e32 vcc, 0, v3
	s_orn2_b64 s[44:45], vcc, exec
.LBB8_123:                              ;   in Loop: Header=BB8_57 Depth=2
	s_or_b64 exec, exec, s[26:27]
	s_and_saveexec_b64 s[26:27], s[20:21]
	s_cbranch_execz .LBB8_125
; %bb.124:                              ;   in Loop: Header=BB8_57 Depth=2
	ds_read_b32 v3, v0 offset:784
	s_waitcnt lgkmcnt(0)
	v_and_b32_e32 v3, 15, v3
	v_cmp_eq_u32_e32 vcc, 0, v3
	s_and_b64 s[78:79], s[44:45], vcc
	s_andn2_b64 s[44:45], s[44:45], exec
	s_and_b64 s[78:79], s[78:79], exec
	s_or_b64 s[44:45], s[44:45], s[78:79]
.LBB8_125:                              ;   in Loop: Header=BB8_57 Depth=2
	s_or_b64 exec, exec, s[26:27]
	s_xor_b64 s[44:45], s[44:45], -1
	v_cmp_eq_u32_e64 s[26:27], 0, v1
	v_cndmask_b32_e64 v1, 0, 1, s[44:45]
	s_mov_b64 s[78:79], -1
	v_cmp_ne_u32_e32 vcc, 0, v1
	s_cbranch_vccz .LBB8_128
; %bb.126:                              ;   in Loop: Header=BB8_57 Depth=2
	s_mov_b64 s[78:79], 0
	s_mov_b64 s[44:45], -1
	s_branch .LBB8_129
.LBB8_127:                              ;   in Loop: Header=BB8_57 Depth=2
	s_mov_b64 s[26:27], 0
	s_and_saveexec_b64 s[44:45], s[10:11]
	s_cbranch_execnz .LBB8_179
	s_branch .LBB8_197
.LBB8_128:                              ;   in Loop: Header=BB8_57 Depth=2
	s_mov_b64 s[44:45], 0
.LBB8_129:                              ;   in Loop: Header=BB8_57 Depth=2
	v_cndmask_b32_e64 v1, 0, v0, s[26:27]
	v_lshlrev_b32_e32 v3, 1, v1
	s_andn2_b64 vcc, exec, s[78:79]
	v_mov_b32_e32 v4, 0
	s_cbranch_vccnz .LBB8_137
; %bb.130:                              ;   in Loop: Header=BB8_57 Depth=2
	buffer_load_dword v5, off, s[0:3], s33 offset:272 ; 4-byte Folded Reload
	v_ashrrev_i32_e32 v4, 31, v3
	v_lshrrev_b32_e32 v4, 20, v4
	v_add_u32_e32 v4, v3, v4
	v_ashrrev_i32_e32 v4, 12, v4
	s_mov_b64 s[78:79], 0
                                        ; implicit-def: $vgpr8_vgpr9
                                        ; implicit-def: $vgpr12_vgpr13
                                        ; implicit-def: $vgpr16_vgpr17
                                        ; implicit-def: $vgpr20_vgpr21
	s_waitcnt vmcnt(0)
	v_sub_u32_e32 v7, v4, v5
	buffer_load_dword v5, off, s[0:3], s33 offset:316 ; 4-byte Folded Reload
	s_waitcnt vmcnt(0)
	v_add_co_u32_e32 v42, vcc, v58, v5
	v_addc_co_u32_e32 v43, vcc, 0, v59, vcc
	v_cmp_lt_i32_e32 vcc, 0, v7
	s_and_saveexec_b64 s[26:27], vcc
	s_cbranch_execz .LBB8_139
; %bb.131:                              ;   in Loop: Header=BB8_57 Depth=2
	buffer_load_dword v5, off, s[0:3], s33 offset:316 ; 4-byte Folded Reload
	s_mov_b64 s[90:91], 0
                                        ; implicit-def: $sgpr88_sgpr89
                                        ; implicit-def: $vgpr8_vgpr9
                                        ; implicit-def: $vgpr12_vgpr13
                                        ; implicit-def: $vgpr16_vgpr17
                                        ; implicit-def: $vgpr20_vgpr21
	s_waitcnt vmcnt(0)
	v_add_co_u32_e32 v60, vcc, v44, v5
	v_addc_co_u32_e32 v61, vcc, 0, v45, vcc
	s_branch .LBB8_133
.LBB8_132:                              ;   in Loop: Header=BB8_133 Depth=3
	s_or_b64 exec, exec, s[92:93]
	global_store_dwordx4 v[42:43], v[24:27], off glc slc
	global_store_dwordx4 v[42:43], v[32:35], off offset:1024 glc slc
	global_store_dwordx4 v[42:43], v[36:39], off offset:2048 glc slc
	;; [unrolled: 1-line block ×3, first 2 shown]
	s_waitcnt vmcnt(5)
	v_add_co_u32_e32 v24, vcc, v42, v6
	s_waitcnt vmcnt(4)
	v_addc_co_u32_e32 v25, vcc, v43, v7, vcc
	v_add_co_u32_e32 v42, vcc, s54, v24
	v_addc_co_u32_e32 v43, vcc, 0, v25, vcc
	v_add_co_u32_e32 v60, vcc, v60, v6
	v_addc_co_u32_e32 v61, vcc, v61, v7, vcc
	v_sub_u32_e32 v7, v5, v29
	v_cmp_gt_i32_e32 vcc, 1, v7
	s_or_b64 s[78:79], vcc, s[78:79]
	s_andn2_b64 s[88:89], s[88:89], exec
	s_and_b64 s[92:93], s[90:91], exec
	s_or_b64 s[88:89], s[88:89], s[92:93]
	s_andn2_b64 exec, exec, s[78:79]
	s_cbranch_execz .LBB8_138
.LBB8_133:                              ;   Parent Loop BB8_47 Depth=1
                                        ;     Parent Loop BB8_57 Depth=2
                                        ; =>    This Inner Loop Header: Depth=3
	global_load_dwordx4 v[24:27], v[60:61], off glc slc
	global_load_dwordx4 v[32:35], v[60:61], off offset:1024 glc slc
	global_load_dwordx4 v[36:39], v[60:61], off offset:2048 glc slc
	;; [unrolled: 1-line block ×3, first 2 shown]
	s_and_saveexec_b64 s[92:93], s[90:91]
	s_cbranch_execz .LBB8_135
; %bb.134:                              ;   in Loop: Header=BB8_133 Depth=3
	global_store_dwordx4 v[42:43], v[8:11], off glc slc
	global_store_dwordx4 v[42:43], v[12:15], off offset:1024 glc slc
	global_store_dwordx4 v[42:43], v[16:19], off offset:2048 glc slc
	;; [unrolled: 1-line block ×3, first 2 shown]
	buffer_load_dword v5, off, s[0:3], s33 offset:188 ; 4-byte Folded Reload
	s_waitcnt vmcnt(0)
	v_add_co_u32_e32 v42, vcc, v42, v5
	buffer_load_dword v5, off, s[0:3], s33 offset:192 ; 4-byte Folded Reload
	s_waitcnt vmcnt(0)
	v_addc_co_u32_e32 v43, vcc, v43, v5, vcc
.LBB8_135:                              ;   in Loop: Header=BB8_133 Depth=3
	s_or_b64 exec, exec, s[92:93]
	buffer_load_dword v5, off, s[0:3], s33 offset:188 ; 4-byte Folded Reload
	v_mov_b32_e32 v29, 0
	s_waitcnt vmcnt(0)
	v_add_co_u32_e32 v60, vcc, v60, v5
	buffer_load_dword v5, off, s[0:3], s33 offset:192 ; 4-byte Folded Reload
	s_waitcnt vmcnt(0)
	v_addc_co_u32_e32 v61, vcc, v61, v5, vcc
	v_sub_u32_e32 v5, v7, v52
	v_mov_b32_e32 v6, 0
	v_mov_b32_e32 v7, 0
	v_cmp_lt_i32_e64 s[90:91], 0, v5
	s_and_saveexec_b64 s[92:93], s[90:91]
	s_cbranch_execz .LBB8_132
; %bb.136:                              ;   in Loop: Header=BB8_133 Depth=3
	global_load_dwordx4 v[8:11], v[60:61], off glc slc
	global_load_dwordx4 v[12:15], v[60:61], off offset:1024 glc slc
	global_load_dwordx4 v[16:19], v[60:61], off offset:2048 glc slc
	;; [unrolled: 1-line block ×3, first 2 shown]
	buffer_load_dword v6, off, s[0:3], s33 offset:236 ; 4-byte Folded Reload
	buffer_load_dword v7, off, s[0:3], s33 offset:240 ; 4-byte Folded Reload
	v_add_co_u32_e32 v60, vcc, 0x1000, v60
	v_addc_co_u32_e32 v61, vcc, 0, v61, vcc
	v_mov_b32_e32 v29, v52
	s_branch .LBB8_132
.LBB8_137:                              ;   in Loop: Header=BB8_57 Depth=2
	buffer_load_dword v8, off, s[0:3], s33 offset:268 ; 4-byte Folded Reload
	buffer_load_dword v5, off, s[0:3], s33 offset:252 ; 4-byte Folded Reload
	s_and_saveexec_b64 s[26:27], s[44:45]
	s_cbranch_execnz .LBB8_158
	s_branch .LBB8_178
.LBB8_138:                              ;   in Loop: Header=BB8_57 Depth=2
	s_or_b64 exec, exec, s[78:79]
	buffer_load_dword v34, off, s[0:3], s33 offset:244 ; 4-byte Folded Reload
	buffer_load_dword v35, off, s[0:3], s33 offset:248 ; 4-byte Folded Reload
	s_and_b64 s[78:79], s[88:89], exec
.LBB8_139:                              ;   in Loop: Header=BB8_57 Depth=2
	s_or_b64 exec, exec, s[26:27]
	s_and_saveexec_b64 s[26:27], s[78:79]
	s_cbranch_execz .LBB8_141
; %bb.140:                              ;   in Loop: Header=BB8_57 Depth=2
	global_store_dwordx4 v[42:43], v[8:11], off glc slc
	global_store_dwordx4 v[42:43], v[12:15], off offset:1024 glc slc
	global_store_dwordx4 v[42:43], v[16:19], off offset:2048 glc slc
	global_store_dwordx4 v[42:43], v[20:23], off offset:3072 glc slc
.LBB8_141:                              ;   in Loop: Header=BB8_57 Depth=2
	s_or_b64 exec, exec, s[26:27]
	v_lshlrev_b32_e32 v6, 12, v4
	v_cmp_ne_u32_e32 vcc, v3, v6
                                        ; implicit-def: $vgpr4
                                        ; implicit-def: $vgpr8
                                        ; implicit-def: $vgpr5
	s_and_saveexec_b64 s[78:79], vcc
	s_cbranch_execz .LBB8_157
; %bb.142:                              ;   in Loop: Header=BB8_57 Depth=2
	buffer_load_dword v5, off, s[0:3], s33 offset:252 ; 4-byte Folded Reload
	v_lshlrev_b32_e32 v4, 6, v7
	v_sub_u32_e32 v8, v3, v6
	v_ashrrev_i32_e32 v10, 31, v8
	v_lshrrev_b32_e32 v10, 22, v10
	v_add_u32_e32 v10, v8, v10
	v_and_b32_e32 v20, 0xfffffc00, v10
	v_sub_u32_e32 v22, v8, v20
	v_ashrrev_i32_e32 v11, 10, v10
	v_cmp_lt_i32_e64 s[26:27], 15, v22
	s_mov_b64 s[90:91], 0
	s_waitcnt vmcnt(0)
	v_sub_u32_e32 v4, v5, v4
	v_ashrrev_i32_e32 v5, 31, v4
	v_lshrrev_b32_e32 v5, 26, v5
	v_add_u32_e32 v5, v4, v5
	v_ashrrev_i32_e32 v9, 6, v5
	v_and_b32_e32 v5, 0xffffffc0, v5
	v_sub_u32_e32 v7, v4, v5
	v_lshlrev_b32_e32 v4, 4, v7
	v_lshl_add_u32 v4, v9, 10, v4
	v_add_u32_e32 v5, v4, v6
	v_sub_u32_e32 v4, v8, v4
	v_addc_co_u32_e64 v8, vcc, 0, v11, s[26:27]
	v_ashrrev_i32_e32 v10, 31, v5
	v_add_co_u32_e32 v16, vcc, v5, v58
	v_addc_co_u32_e32 v17, vcc, v10, v59, vcc
	v_sub_u32_e32 v21, v8, v9
	v_cmp_lt_i32_e32 vcc, 15, v4
                                        ; implicit-def: $vgpr8_vgpr9
	s_and_saveexec_b64 s[88:89], vcc
	s_cbranch_execz .LBB8_152
; %bb.143:                              ;   in Loop: Header=BB8_57 Depth=2
	v_add_co_u32_e32 v18, vcc, v5, v44
	v_addc_co_u32_e32 v19, vcc, v10, v45, vcc
	s_mov_b64 s[94:95], 0
                                        ; implicit-def: $sgpr92_sgpr93
                                        ; implicit-def: $vgpr8_vgpr9
	s_branch .LBB8_145
.LBB8_144:                              ;   in Loop: Header=BB8_145 Depth=3
	s_or_b64 exec, exec, s[30:31]
	v_cmp_gt_i32_e32 vcc, 16, v4
	s_or_b64 s[90:91], vcc, s[90:91]
	s_andn2_b64 s[92:93], s[92:93], exec
	s_and_b64 vcc, s[94:95], exec
	s_or_b64 s[92:93], s[92:93], vcc
	s_andn2_b64 exec, exec, s[90:91]
	s_cbranch_execz .LBB8_151
.LBB8_145:                              ;   Parent Loop BB8_47 Depth=1
                                        ;     Parent Loop BB8_57 Depth=2
                                        ; =>    This Inner Loop Header: Depth=3
	global_load_dwordx4 v[12:15], v[18:19], off glc slc
	s_and_saveexec_b64 s[30:31], s[94:95]
	s_cbranch_execz .LBB8_147
; %bb.146:                              ;   in Loop: Header=BB8_145 Depth=3
	buffer_load_dword v5, off, s[0:3], s33 offset:128 ; 4-byte Folded Reload
	s_waitcnt vmcnt(0)
	v_add_co_u32_e32 v23, vcc, v16, v5
	v_addc_co_u32_e32 v24, vcc, v17, v53, vcc
	global_store_dwordx4 v[16:17], v[8:11], off glc slc
	v_mov_b32_e32 v16, v23
	v_mov_b32_e32 v17, v24
.LBB8_147:                              ;   in Loop: Header=BB8_145 Depth=3
	s_or_b64 exec, exec, s[30:31]
	buffer_load_dword v5, off, s[0:3], s33 offset:128 ; 4-byte Folded Reload
	s_waitcnt vmcnt(0)
	v_add_co_u32_e32 v18, vcc, v18, v5
	buffer_load_dword v5, off, s[0:3], s33 offset:168 ; 4-byte Folded Reload
	v_addc_co_u32_e32 v19, vcc, v19, v53, vcc
	s_waitcnt vmcnt(0)
	v_sub_u32_e32 v4, v4, v5
	v_cmp_lt_i32_e64 s[94:95], 15, v4
	s_and_saveexec_b64 s[30:31], s[94:95]
	s_cbranch_execz .LBB8_149
; %bb.148:                              ;   in Loop: Header=BB8_145 Depth=3
	global_load_dwordx4 v[8:11], v[18:19], off glc slc
	v_add_co_u32_e32 v18, vcc, 0x400, v18
	v_addc_co_u32_e32 v19, vcc, 0, v19, vcc
.LBB8_149:                              ;   in Loop: Header=BB8_145 Depth=3
	s_or_b64 exec, exec, s[30:31]
	global_store_dwordx4 v[16:17], v[12:15], off glc slc
	v_add_co_u32_e32 v16, vcc, 0x400, v16
	v_sub_u32_e32 v21, v21, v52
	v_addc_co_u32_e32 v17, vcc, 0, v17, vcc
	s_and_saveexec_b64 s[30:31], s[94:95]
	s_cbranch_execz .LBB8_144
; %bb.150:                              ;   in Loop: Header=BB8_145 Depth=3
	buffer_load_dword v5, off, s[0:3], s33 offset:168 ; 4-byte Folded Reload
	v_add_co_u32_e32 v18, vcc, v18, v54
	v_addc_co_u32_e32 v19, vcc, v19, v55, vcc
	v_add_co_u32_e32 v16, vcc, v16, v54
	v_sub_u32_e32 v21, v21, v52
	v_addc_co_u32_e32 v17, vcc, v17, v55, vcc
	s_waitcnt vmcnt(0)
	v_sub_u32_e32 v4, v4, v5
	s_branch .LBB8_144
.LBB8_151:                              ;   in Loop: Header=BB8_57 Depth=2
	s_or_b64 exec, exec, s[90:91]
	s_and_b64 s[90:91], s[92:93], exec
.LBB8_152:                              ;   in Loop: Header=BB8_57 Depth=2
	s_or_b64 exec, exec, s[88:89]
	s_and_saveexec_b64 s[88:89], s[90:91]
	s_cbranch_execz .LBB8_154
; %bb.153:                              ;   in Loop: Header=BB8_57 Depth=2
	s_waitcnt vmcnt(1)
	global_store_dwordx4 v[16:17], v[8:11], off glc slc
.LBB8_154:                              ;   in Loop: Header=BB8_57 Depth=2
	s_or_b64 exec, exec, s[88:89]
	s_waitcnt vmcnt(1)
	v_and_b32_e32 v9, 14, v3
	v_cndmask_b32_e64 v3, v22, v9, s[26:27]
	v_cmp_ne_u32_e32 vcc, 0, v3
	s_mov_b64 s[90:91], s[44:45]
                                        ; implicit-def: $vgpr4
                                        ; implicit-def: $vgpr8
                                        ; implicit-def: $vgpr5
	s_and_saveexec_b64 s[88:89], vcc
	s_cbranch_execz .LBB8_156
; %bb.155:                              ;   in Loop: Header=BB8_57 Depth=2
	v_cmp_lt_i32_e32 vcc, 0, v21
	v_cndmask_b32_e32 v5, 0, v52, vcc
	v_sub_u32_e32 v5, v5, v21
	v_lshl_add_u32 v8, v5, 6, v7
	v_ashrrev_i32_e32 v5, 31, v8
	v_lshrrev_b32_e32 v5, 26, v5
	v_sub_u32_e32 v4, v22, v9
	v_add_u32_e32 v5, v8, v5
	v_cndmask_b32_e64 v4, 0, v4, s[26:27]
	v_and_b32_e32 v5, 0xffffffc0, v5
	v_add3_u32 v4, v20, v6, v4
	v_sub_u32_e32 v5, v8, v5
	s_or_b64 s[90:91], s[44:45], exec
.LBB8_156:                              ;   in Loop: Header=BB8_57 Depth=2
	s_or_b64 exec, exec, s[88:89]
	s_andn2_b64 s[26:27], s[44:45], exec
	s_and_b64 s[44:45], s[90:91], exec
	s_or_b64 s[44:45], s[26:27], s[44:45]
.LBB8_157:                              ;   in Loop: Header=BB8_57 Depth=2
	s_or_b64 exec, exec, s[78:79]
	s_and_saveexec_b64 s[26:27], s[44:45]
	s_cbranch_execz .LBB8_178
.LBB8_158:                              ;   in Loop: Header=BB8_57 Depth=2
	s_waitcnt vmcnt(0)
	v_ashrrev_i32_e32 v6, 31, v8
	v_lshrrev_b32_e32 v6, 26, v6
	v_add_u32_e32 v6, v8, v6
	v_ashrrev_i32_e32 v7, 6, v6
	v_lshlrev_b32_e32 v6, 10, v7
	s_waitcnt vmcnt(0)
	v_lshlrev_b32_e32 v8, 1, v5
	v_add3_u32 v10, v4, v8, v6
	v_ashrrev_i32_e32 v6, 31, v3
	v_lshrrev_b32_e32 v6, 22, v6
	v_add_u32_e32 v6, v3, v6
	v_ashrrev_i32_e32 v6, 10, v6
	v_ashrrev_i32_e32 v11, 31, v10
	v_add_co_u32_e32 v8, vcc, v58, v10
	v_sub_u32_e32 v12, v6, v7
	v_addc_co_u32_e32 v9, vcc, v59, v11, vcc
	v_cmp_lt_i32_e32 vcc, 0, v12
	s_mov_b64 s[78:79], 0
                                        ; implicit-def: $vgpr7
                                        ; implicit-def: $vgpr14
                                        ; implicit-def: $vgpr15
                                        ; implicit-def: $vgpr16
                                        ; implicit-def: $vgpr17
                                        ; implicit-def: $vgpr18
                                        ; implicit-def: $vgpr19
                                        ; implicit-def: $vgpr20
	s_and_saveexec_b64 s[44:45], vcc
	s_cbranch_execz .LBB8_166
; %bb.159:                              ;   in Loop: Header=BB8_57 Depth=2
	v_add_co_u32_e32 v10, vcc, v10, v44
	v_addc_co_u32_e32 v11, vcc, v11, v45, vcc
	s_mov_b64 s[90:91], 0
                                        ; implicit-def: $sgpr88_sgpr89
                                        ; implicit-def: $vgpr7
                                        ; implicit-def: $vgpr14
                                        ; implicit-def: $vgpr15
                                        ; implicit-def: $vgpr16
                                        ; implicit-def: $vgpr17
                                        ; implicit-def: $vgpr18
                                        ; implicit-def: $vgpr19
                                        ; implicit-def: $vgpr20
	s_branch .LBB8_161
.LBB8_160:                              ;   in Loop: Header=BB8_161 Depth=3
	s_or_b64 exec, exec, s[92:93]
	s_waitcnt lgkmcnt(0)
	flat_store_short v[8:9], v21 glc slc
	flat_store_short v[8:9], v22 offset:128 glc slc
	flat_store_short v[8:9], v23 offset:256 glc slc
	;; [unrolled: 1-line block ×7, first 2 shown]
	v_add_co_u32_e32 v8, vcc, v8, v12
	v_addc_co_u32_e32 v9, vcc, v9, v13, vcc
	v_add_co_u32_e32 v8, vcc, s55, v8
	v_addc_co_u32_e32 v9, vcc, 0, v9, vcc
	v_add_co_u32_e32 v10, vcc, v10, v12
	v_addc_co_u32_e32 v11, vcc, v11, v13, vcc
	v_sub_u32_e32 v12, v32, v33
	v_cmp_gt_i32_e32 vcc, 1, v12
	s_or_b64 s[78:79], vcc, s[78:79]
	s_andn2_b64 s[88:89], s[88:89], exec
	s_and_b64 s[92:93], s[90:91], exec
	s_or_b64 s[88:89], s[88:89], s[92:93]
	s_andn2_b64 exec, exec, s[78:79]
	s_cbranch_execz .LBB8_165
.LBB8_161:                              ;   Parent Loop BB8_47 Depth=1
                                        ;     Parent Loop BB8_57 Depth=2
                                        ; =>    This Inner Loop Header: Depth=3
	flat_load_ushort v21, v[10:11] glc slc
	flat_load_ushort v22, v[10:11] offset:128 glc slc
	flat_load_ushort v23, v[10:11] offset:256 glc slc
	;; [unrolled: 1-line block ×7, first 2 shown]
	s_and_saveexec_b64 s[92:93], s[90:91]
	s_cbranch_execz .LBB8_163
; %bb.162:                              ;   in Loop: Header=BB8_161 Depth=3
	s_waitcnt vmcnt(0)
	flat_store_short v[8:9], v7 glc slc
	flat_store_short v[8:9], v14 offset:128 glc slc
	flat_store_short v[8:9], v15 offset:256 glc slc
	;; [unrolled: 1-line block ×7, first 2 shown]
	buffer_load_dword v13, off, s[0:3], s33 offset:128 ; 4-byte Folded Reload
	s_waitcnt vmcnt(0)
	v_add_co_u32_e32 v8, vcc, v8, v13
	v_addc_co_u32_e32 v9, vcc, v9, v53, vcc
.LBB8_163:                              ;   in Loop: Header=BB8_161 Depth=3
	s_or_b64 exec, exec, s[92:93]
	buffer_load_dword v13, off, s[0:3], s33 offset:128 ; 4-byte Folded Reload
	v_sub_u32_e32 v32, v12, v52
	v_mov_b32_e32 v33, 0
	v_cmp_lt_i32_e64 s[90:91], 0, v32
	s_waitcnt vmcnt(0)
	v_add_co_u32_e32 v10, vcc, v10, v13
	v_mov_b32_e32 v12, 0
	v_addc_co_u32_e32 v11, vcc, v11, v53, vcc
	v_mov_b32_e32 v13, 0
	s_and_saveexec_b64 s[92:93], s[90:91]
	s_cbranch_execz .LBB8_160
; %bb.164:                              ;   in Loop: Header=BB8_161 Depth=3
	flat_load_ushort v7, v[10:11] glc slc
	flat_load_ushort v14, v[10:11] offset:128 glc slc
	flat_load_ushort v15, v[10:11] offset:256 glc slc
	;; [unrolled: 1-line block ×7, first 2 shown]
	v_add_co_u32_e32 v10, vcc, 0x400, v10
	v_mov_b32_e32 v12, v54
	v_addc_co_u32_e32 v11, vcc, 0, v11, vcc
	v_mov_b32_e32 v33, v52
	v_mov_b32_e32 v13, v55
	s_branch .LBB8_160
.LBB8_165:                              ;   in Loop: Header=BB8_57 Depth=2
	s_or_b64 exec, exec, s[78:79]
	s_and_b64 s[78:79], s[88:89], exec
.LBB8_166:                              ;   in Loop: Header=BB8_57 Depth=2
	s_or_b64 exec, exec, s[44:45]
	s_and_saveexec_b64 s[44:45], s[78:79]
	s_cbranch_execz .LBB8_168
; %bb.167:                              ;   in Loop: Header=BB8_57 Depth=2
	s_waitcnt vmcnt(0)
	flat_store_short v[8:9], v7 glc slc
	flat_store_short v[8:9], v14 offset:128 glc slc
	flat_store_short v[8:9], v15 offset:256 glc slc
	;; [unrolled: 1-line block ×7, first 2 shown]
.LBB8_168:                              ;   in Loop: Header=BB8_57 Depth=2
	s_or_b64 exec, exec, s[44:45]
	v_lshlrev_b32_e32 v6, 10, v6
	v_cmp_ne_u32_e32 vcc, v3, v6
	s_and_b64 exec, exec, vcc
	s_cbranch_execz .LBB8_178
; %bb.169:                              ;   in Loop: Header=BB8_57 Depth=2
	s_waitcnt vmcnt(0)
	v_lshlrev_b32_e32 v7, 6, v12
	v_sub_u32_e32 v5, v5, v7
	v_ashrrev_i32_e32 v7, 31, v5
	v_lshrrev_b32_e32 v7, 26, v7
	v_add_u32_e32 v7, v5, v7
	v_and_b32_e32 v8, 0x7fffffc0, v7
	v_sub_u32_e32 v5, v5, v8
	v_lshlrev_b32_e32 v7, 1, v7
	v_and_b32_e32 v7, 0xffffff80, v7
	v_lshlrev_b32_e32 v5, 1, v5
	v_add3_u32 v6, v7, v5, v6
	v_sub_u32_e32 v5, v3, v6
	v_cmp_lt_i32_e32 vcc, 1, v5
	s_and_b64 exec, exec, vcc
	s_cbranch_execz .LBB8_178
; %bb.170:                              ;   in Loop: Header=BB8_57 Depth=2
	v_add_u32_e32 v3, v6, v4
	v_ashrrev_i32_e32 v4, 31, v3
	v_add_co_u32_e32 v8, vcc, v58, v3
	v_addc_co_u32_e32 v9, vcc, v59, v4, vcc
	v_add_co_u32_e32 v10, vcc, v3, v44
	v_addc_co_u32_e32 v11, vcc, v4, v45, vcc
	s_mov_b64 s[88:89], 0
	s_mov_b64 s[44:45], 0
                                        ; implicit-def: $sgpr78_sgpr79
                                        ; implicit-def: $vgpr3
	s_branch .LBB8_172
.LBB8_171:                              ;   in Loop: Header=BB8_172 Depth=3
	s_or_b64 exec, exec, s[90:91]
	s_waitcnt lgkmcnt(0)
	flat_store_short v[8:9], v4 glc slc
	s_waitcnt vmcnt(0)
	v_add_co_u32_e32 v4, vcc, v8, v10
	v_addc_co_u32_e32 v9, vcc, v9, v11, vcc
	v_add_co_u32_e32 v10, vcc, v6, v10
	v_addc_co_u32_e32 v11, vcc, v7, v11, vcc
	;; [unrolled: 2-line block ×3, first 2 shown]
	v_sub_u32_e32 v5, v5, v12
	v_cmp_gt_i32_e32 vcc, 2, v5
	s_or_b64 s[44:45], vcc, s[44:45]
	s_andn2_b64 s[78:79], s[78:79], exec
	s_and_b64 s[90:91], s[88:89], exec
	s_or_b64 s[78:79], s[78:79], s[90:91]
	s_andn2_b64 exec, exec, s[44:45]
	s_cbranch_execz .LBB8_176
.LBB8_172:                              ;   Parent Loop BB8_47 Depth=1
                                        ;     Parent Loop BB8_57 Depth=2
                                        ; =>    This Inner Loop Header: Depth=3
	flat_load_ushort v4, v[10:11] glc slc
	s_and_saveexec_b64 s[90:91], s[88:89]
	s_cbranch_execz .LBB8_174
; %bb.173:                              ;   in Loop: Header=BB8_172 Depth=3
	buffer_load_dword v6, off, s[0:3], s33 offset:180 ; 4-byte Folded Reload
	buffer_load_dword v7, off, s[0:3], s33 offset:184 ; 4-byte Folded Reload
	s_waitcnt vmcnt(0)
	v_add_co_u32_e32 v6, vcc, v8, v6
	v_addc_co_u32_e32 v7, vcc, v9, v7, vcc
	flat_store_short v[8:9], v3 glc slc
	v_mov_b32_e32 v9, v7
	v_mov_b32_e32 v8, v6
.LBB8_174:                              ;   in Loop: Header=BB8_172 Depth=3
	s_or_b64 exec, exec, s[90:91]
	buffer_load_dword v6, off, s[0:3], s33 offset:180 ; 4-byte Folded Reload
	buffer_load_dword v7, off, s[0:3], s33 offset:184 ; 4-byte Folded Reload
	v_mov_b32_e32 v12, 0
	s_waitcnt vmcnt(0)
	v_add_co_u32_e32 v6, vcc, v10, v6
	buffer_load_dword v10, off, s[0:3], s33 offset:156 ; 4-byte Folded Reload
	v_addc_co_u32_e32 v7, vcc, v11, v7, vcc
	s_waitcnt vmcnt(0)
	v_sub_u32_e32 v5, v5, v10
	v_mov_b32_e32 v10, 0
	v_cmp_lt_i32_e64 s[88:89], 1, v5
	v_mov_b32_e32 v11, 0
	s_and_saveexec_b64 s[90:91], s[88:89]
	s_cbranch_execz .LBB8_171
; %bb.175:                              ;   in Loop: Header=BB8_172 Depth=3
	flat_load_ushort v3, v[6:7] glc slc
	buffer_load_dword v12, off, s[0:3], s33 offset:156 ; 4-byte Folded Reload
	buffer_load_dword v10, off, s[0:3], s33 offset:172 ; 4-byte Folded Reload
	;; [unrolled: 1-line block ×3, first 2 shown]
	v_add_co_u32_e32 v6, vcc, 0x80, v6
	v_addc_co_u32_e32 v7, vcc, 0, v7, vcc
	s_branch .LBB8_171
.LBB8_176:                              ;   in Loop: Header=BB8_57 Depth=2
	s_or_b64 exec, exec, s[44:45]
	s_and_b64 exec, exec, s[78:79]
	s_cbranch_execz .LBB8_178
; %bb.177:                              ;   in Loop: Header=BB8_57 Depth=2
	flat_store_short v[8:9], v3 glc slc
.LBB8_178:                              ;   in Loop: Header=BB8_57 Depth=2
	s_or_b64 exec, exec, s[26:27]
	v_cmp_lt_i32_e64 s[26:27], 0, v1
	s_and_saveexec_b64 s[44:45], s[10:11]
	s_cbranch_execz .LBB8_197
.LBB8_179:                              ;   in Loop: Header=BB8_57 Depth=2
	s_and_saveexec_b64 s[78:79], s[58:59]
	s_xor_b64 s[78:79], exec, s[78:79]
	s_cbranch_execz .LBB8_194
; %bb.180:                              ;   in Loop: Header=BB8_57 Depth=2
	s_and_saveexec_b64 s[88:89], s[16:17]
	s_cbranch_execz .LBB8_193
; %bb.181:                              ;   in Loop: Header=BB8_57 Depth=2
	s_mov_b64 s[92:93], exec
	v_mbcnt_lo_u32_b32 v1, s92, 0
	v_mbcnt_hi_u32_b32 v1, s93, v1
	v_cmp_eq_u32_e32 vcc, 0, v1
	s_waitcnt vmcnt(0) lgkmcnt(0)
	buffer_wbinvl1_vol
	s_and_saveexec_b64 s[90:91], vcc
	s_cbranch_execz .LBB8_183
; %bb.182:                              ;   in Loop: Header=BB8_57 Depth=2
	s_bcnt1_i32_b64 s47, s[92:93]
	v_mov_b32_e32 v3, s47
	v_mov_b32_e32 v4, v2
	ds_add_u64 v0, v[3:4]
	s_trap 2
.LBB8_183:                              ;   in Loop: Header=BB8_57 Depth=2
	s_or_b64 exec, exec, s[90:91]
	s_trap 2
	ds_read_b64 v[3:4], v0
	s_waitcnt lgkmcnt(0)
	buffer_load_dword v5, off, s[0:3], s33 offset:132 ; 4-byte Folded Reload
	buffer_load_dword v6, off, s[0:3], s33 offset:136 ; 4-byte Folded Reload
	s_waitcnt vmcnt(1)
	v_add_co_u32_e32 v5, vcc, v5, v52
	s_waitcnt vmcnt(0)
	v_addc_co_u32_e32 v6, vcc, 0, v6, vcc
	buffer_store_dword v5, off, s[0:3], s33 offset:132 ; 4-byte Folded Spill
	s_nop 0
	buffer_store_dword v6, off, s[0:3], s33 offset:136 ; 4-byte Folded Spill
	v_cmp_lt_u64_e32 vcc, v[3:4], v[5:6]
	s_and_saveexec_b64 s[90:91], vcc
	s_cbranch_execz .LBB8_192
; %bb.184:                              ;   in Loop: Header=BB8_57 Depth=2
	s_mov_b32 s47, 0
	s_mov_b64 s[92:93], 0
                                        ; implicit-def: $sgpr94_sgpr95
                                        ; implicit-def: $sgpr30_sgpr31
	s_branch .LBB8_186
.LBB8_185:                              ;   in Loop: Header=BB8_186 Depth=3
	s_or_b64 exec, exec, s[36:37]
	s_and_b64 vcc, exec, vcc
	s_or_b64 s[92:93], vcc, s[92:93]
	s_andn2_b64 s[94:95], s[94:95], exec
	s_and_b64 vcc, s[30:31], exec
	s_or_b64 s[94:95], s[94:95], vcc
	s_andn2_b64 exec, exec, s[92:93]
	s_cbranch_execz .LBB8_190
.LBB8_186:                              ;   Parent Loop BB8_47 Depth=1
                                        ;     Parent Loop BB8_57 Depth=2
                                        ; =>    This Inner Loop Header: Depth=3
	s_add_i32 s47, s47, 1
	s_cmpk_lg_i32 s47, 0x2710
	s_cselect_b64 s[34:35], -1, 0
	s_and_b64 vcc, exec, s[34:35]
	s_cbranch_vccz .LBB8_188
; %bb.187:                              ;   in Loop: Header=BB8_186 Depth=3
	s_mov_b64 vcc, -1
	s_or_b64 s[30:31], s[30:31], exec
	s_and_saveexec_b64 s[36:37], s[34:35]
	s_cbranch_execz .LBB8_185
	s_branch .LBB8_189
.LBB8_188:                              ;   in Loop: Header=BB8_186 Depth=3
	s_trap 2
	ds_read_b64 v[3:4], v0
	s_andn2_b64 s[34:35], s[34:35], exec
	s_mov_b32 s47, 0
	s_waitcnt vmcnt(0) lgkmcnt(0)
	flat_load_dword v1, v[3:4] glc
	s_waitcnt vmcnt(0) lgkmcnt(0)
	buffer_wbinvl1_vol
	v_cmp_eq_u32_e32 vcc, 0, v1
	s_and_b64 vcc, vcc, exec
	s_or_b64 s[34:35], s[34:35], vcc
	s_mov_b64 vcc, -1
	s_or_b64 s[30:31], s[30:31], exec
	s_and_saveexec_b64 s[36:37], s[34:35]
	s_cbranch_execz .LBB8_185
.LBB8_189:                              ;   in Loop: Header=BB8_186 Depth=3
	s_sleep 1
	s_trap 2
	ds_read_b64 v[3:4], v0
	s_waitcnt lgkmcnt(0)
	buffer_load_dword v5, off, s[0:3], s33 offset:132 ; 4-byte Folded Reload
	buffer_load_dword v6, off, s[0:3], s33 offset:136 ; 4-byte Folded Reload
	s_andn2_b64 s[30:31], s[30:31], exec
	s_waitcnt vmcnt(0)
	v_cmp_ge_u64_e32 vcc, v[3:4], v[5:6]
	s_orn2_b64 vcc, vcc, exec
	s_branch .LBB8_185
.LBB8_190:                              ;   in Loop: Header=BB8_57 Depth=2
	s_or_b64 exec, exec, s[92:93]
	s_and_saveexec_b64 s[92:93], s[94:95]
	s_xor_b64 s[92:93], exec, s[92:93]
	s_cbranch_execz .LBB8_192
; %bb.191:                              ;   in Loop: Header=BB8_57 Depth=2
	v_mov_b32_e32 v1, 1
	ds_write_b32 v0, v1
	s_trap 2
.LBB8_192:                              ;   in Loop: Header=BB8_57 Depth=2
	s_or_b64 exec, exec, s[90:91]
	;;#ASMSTART
	s_wakeup
	;;#ASMEND
.LBB8_193:                              ;   in Loop: Header=BB8_57 Depth=2
	s_or_b64 exec, exec, s[88:89]
.LBB8_194:                              ;   in Loop: Header=BB8_57 Depth=2
	s_andn2_saveexec_b64 s[78:79], s[78:79]
	s_cbranch_execz .LBB8_196
; %bb.195:                              ;   in Loop: Header=BB8_57 Depth=2
	s_waitcnt vmcnt(0) lgkmcnt(0)
	buffer_wbinvl1_vol
	s_barrier
.LBB8_196:                              ;   in Loop: Header=BB8_57 Depth=2
	s_or_b64 exec, exec, s[78:79]
.LBB8_197:                              ;   in Loop: Header=BB8_57 Depth=2
	s_or_b64 exec, exec, s[44:45]
	v_and_b32_e32 v1, 16, v56
	s_and_saveexec_b64 s[44:45], s[24:25]
	s_xor_b64 s[44:45], exec, s[44:45]
	s_cbranch_execz .LBB8_202
; %bb.198:                              ;   in Loop: Header=BB8_57 Depth=2
	v_and_b32_e32 v3, 16, v56
	v_cmp_ne_u32_e32 vcc, 0, v3
	v_and_b32_e32 v1, 16, v56
	s_and_b64 s[78:79], vcc, s[26:27]
	s_and_saveexec_b64 s[26:27], s[78:79]
	s_cbranch_execz .LBB8_200
; %bb.199:                              ;   in Loop: Header=BB8_57 Depth=2
	v_mov_b32_e32 v1, 1
	s_waitcnt vmcnt(0) lgkmcnt(0)
	buffer_wbinvl1_vol
.LBB8_200:                              ;   in Loop: Header=BB8_57 Depth=2
	s_or_b64 exec, exec, s[26:27]
	s_andn2_saveexec_b64 s[26:27], s[44:45]
	s_cbranch_execnz .LBB8_203
.LBB8_201:                              ;   in Loop: Header=BB8_57 Depth=2
	s_or_b64 exec, exec, s[26:27]
	v_cmp_ne_u32_e32 vcc, 0, v1
	s_and_saveexec_b64 s[26:27], vcc
	s_cbranch_execz .LBB8_56
	s_branch .LBB8_221
.LBB8_202:                              ;   in Loop: Header=BB8_57 Depth=2
	s_andn2_saveexec_b64 s[26:27], s[44:45]
	s_cbranch_execz .LBB8_201
.LBB8_203:                              ;   in Loop: Header=BB8_57 Depth=2
	s_and_saveexec_b64 s[44:45], s[58:59]
	s_xor_b64 s[44:45], exec, s[44:45]
	s_cbranch_execz .LBB8_218
; %bb.204:                              ;   in Loop: Header=BB8_57 Depth=2
	s_and_saveexec_b64 s[78:79], s[16:17]
	s_cbranch_execz .LBB8_217
; %bb.205:                              ;   in Loop: Header=BB8_57 Depth=2
	s_mov_b64 s[90:91], exec
	v_mbcnt_lo_u32_b32 v3, s90, 0
	v_mbcnt_hi_u32_b32 v3, s91, v3
	v_cmp_eq_u32_e32 vcc, 0, v3
	;;#ASMSTART
	s_waitcnt lgkmcnt(0) vmcnt(0)
	;;#ASMEND
	s_and_saveexec_b64 s[88:89], vcc
	s_cbranch_execz .LBB8_207
; %bb.206:                              ;   in Loop: Header=BB8_57 Depth=2
	s_bcnt1_i32_b64 s47, s[90:91]
	v_mov_b32_e32 v3, s47
	v_mov_b32_e32 v4, v2
	s_waitcnt lgkmcnt(0)
	ds_add_u64 v0, v[3:4]
	s_trap 2
.LBB8_207:                              ;   in Loop: Header=BB8_57 Depth=2
	s_or_b64 exec, exec, s[88:89]
	s_trap 2
	ds_read_b64 v[3:4], v0
	s_waitcnt lgkmcnt(0)
	buffer_load_dword v5, off, s[0:3], s33 offset:132 ; 4-byte Folded Reload
	buffer_load_dword v6, off, s[0:3], s33 offset:136 ; 4-byte Folded Reload
	s_waitcnt vmcnt(0)
	v_add_co_u32_e32 v5, vcc, v5, v52
	v_addc_co_u32_e32 v6, vcc, 0, v6, vcc
	buffer_store_dword v5, off, s[0:3], s33 offset:132 ; 4-byte Folded Spill
	s_nop 0
	buffer_store_dword v6, off, s[0:3], s33 offset:136 ; 4-byte Folded Spill
	v_cmp_lt_u64_e32 vcc, v[3:4], v[5:6]
	s_and_saveexec_b64 s[88:89], vcc
	s_cbranch_execz .LBB8_216
; %bb.208:                              ;   in Loop: Header=BB8_57 Depth=2
	s_mov_b32 s47, 0
	s_mov_b64 s[90:91], 0
                                        ; implicit-def: $sgpr92_sgpr93
                                        ; implicit-def: $sgpr94_sgpr95
	s_branch .LBB8_210
.LBB8_209:                              ;   in Loop: Header=BB8_210 Depth=3
	s_or_b64 exec, exec, s[34:35]
	s_and_b64 vcc, exec, vcc
	s_or_b64 s[90:91], vcc, s[90:91]
	s_andn2_b64 s[92:93], s[92:93], exec
	s_and_b64 vcc, s[94:95], exec
	s_or_b64 s[92:93], s[92:93], vcc
	s_andn2_b64 exec, exec, s[90:91]
	s_cbranch_execz .LBB8_214
.LBB8_210:                              ;   Parent Loop BB8_47 Depth=1
                                        ;     Parent Loop BB8_57 Depth=2
                                        ; =>    This Inner Loop Header: Depth=3
	s_add_i32 s47, s47, 1
	s_cmpk_lg_i32 s47, 0x2710
	s_cselect_b64 s[30:31], -1, 0
	s_and_b64 vcc, exec, s[30:31]
	s_cbranch_vccz .LBB8_212
; %bb.211:                              ;   in Loop: Header=BB8_210 Depth=3
	s_mov_b64 vcc, -1
	s_or_b64 s[94:95], s[94:95], exec
	s_and_saveexec_b64 s[34:35], s[30:31]
	s_cbranch_execz .LBB8_209
	s_branch .LBB8_213
.LBB8_212:                              ;   in Loop: Header=BB8_210 Depth=3
	s_trap 2
	ds_read_b64 v[3:4], v0
	s_andn2_b64 s[30:31], s[30:31], exec
	s_mov_b32 s47, 0
	s_waitcnt vmcnt(0) lgkmcnt(0)
	flat_load_dword v3, v[3:4] glc
	s_waitcnt vmcnt(0) lgkmcnt(0)
	buffer_wbinvl1_vol
	v_cmp_eq_u32_e32 vcc, 0, v3
	s_and_b64 vcc, vcc, exec
	s_or_b64 s[30:31], s[30:31], vcc
	s_mov_b64 vcc, -1
	s_or_b64 s[94:95], s[94:95], exec
	s_and_saveexec_b64 s[34:35], s[30:31]
	s_cbranch_execz .LBB8_209
.LBB8_213:                              ;   in Loop: Header=BB8_210 Depth=3
	s_sleep 1
	s_trap 2
	ds_read_b64 v[3:4], v0
	s_waitcnt lgkmcnt(0)
	buffer_load_dword v5, off, s[0:3], s33 offset:132 ; 4-byte Folded Reload
	buffer_load_dword v6, off, s[0:3], s33 offset:136 ; 4-byte Folded Reload
	s_andn2_b64 s[94:95], s[94:95], exec
	s_waitcnt vmcnt(0)
	v_cmp_ge_u64_e32 vcc, v[3:4], v[5:6]
	s_orn2_b64 vcc, vcc, exec
	s_branch .LBB8_209
.LBB8_214:                              ;   in Loop: Header=BB8_57 Depth=2
	s_or_b64 exec, exec, s[90:91]
	s_and_saveexec_b64 s[90:91], s[92:93]
	s_xor_b64 s[90:91], exec, s[90:91]
	s_cbranch_execz .LBB8_216
; %bb.215:                              ;   in Loop: Header=BB8_57 Depth=2
	v_mov_b32_e32 v3, 1
	ds_write_b32 v0, v3
	s_trap 2
.LBB8_216:                              ;   in Loop: Header=BB8_57 Depth=2
	s_or_b64 exec, exec, s[88:89]
	;;#ASMSTART
	s_wakeup
	;;#ASMEND
.LBB8_217:                              ;   in Loop: Header=BB8_57 Depth=2
	s_or_b64 exec, exec, s[78:79]
.LBB8_218:                              ;   in Loop: Header=BB8_57 Depth=2
	s_andn2_saveexec_b64 s[44:45], s[44:45]
	s_cbranch_execz .LBB8_220
; %bb.219:                              ;   in Loop: Header=BB8_57 Depth=2
	;;#ASMSTART
	s_waitcnt lgkmcnt(0) vmcnt(0)
	;;#ASMEND
	s_waitcnt vmcnt(0) lgkmcnt(0)
	s_barrier
.LBB8_220:                              ;   in Loop: Header=BB8_57 Depth=2
	s_or_b64 exec, exec, s[44:45]
	s_or_b64 exec, exec, s[26:27]
	v_cmp_ne_u32_e32 vcc, 0, v1
	s_and_saveexec_b64 s[26:27], vcc
	s_cbranch_execz .LBB8_56
.LBB8_221:                              ;   in Loop: Header=BB8_57 Depth=2
	s_and_saveexec_b64 s[44:45], s[14:15]
	s_cbranch_execz .LBB8_55
; %bb.222:                              ;   in Loop: Header=BB8_57 Depth=2
	buffer_load_dword v3, off, s[0:3], s33 offset:220 ; 4-byte Folded Reload
	buffer_load_dword v4, off, s[0:3], s33 offset:224 ; 4-byte Folded Reload
	v_mov_b32_e32 v1, 1
	s_waitcnt vmcnt(0)
	flat_store_dword v[3:4], v1
	s_branch .LBB8_55
.LBB8_223:                              ;   in Loop: Header=BB8_47 Depth=1
	s_or_b64 exec, exec, s[40:41]
.LBB8_224:                              ;   in Loop: Header=BB8_47 Depth=1
	s_or_b64 exec, exec, s[28:29]
	v_cmp_gt_i32_e32 vcc, 2, v1
	s_and_saveexec_b64 s[28:29], vcc
	s_cbranch_execz .LBB8_296
; %bb.225:                              ;   in Loop: Header=BB8_47 Depth=1
	v_cmp_eq_u32_e64 s[42:43], 0, v1
	s_mov_b64 s[40:41], 0
	s_branch .LBB8_228
.LBB8_226:                              ;   in Loop: Header=BB8_228 Depth=2
	s_or_b64 exec, exec, s[42:43]
	buffer_load_dword v3, off, s[0:3], s33 offset:148 ; 4-byte Folded Reload
	buffer_load_dword v4, off, s[0:3], s33 offset:152 ; 4-byte Folded Reload
	s_waitcnt vmcnt(0)
	v_add_co_u32_e32 v3, vcc, 2, v3
	v_addc_co_u32_e32 v4, vcc, 0, v4, vcc
	buffer_store_dword v3, off, s[0:3], s33 offset:148 ; 4-byte Folded Spill
	s_nop 0
	buffer_store_dword v4, off, s[0:3], s33 offset:152 ; 4-byte Folded Spill
	flat_store_dwordx2 v[40:41], v[3:4]
.LBB8_227:                              ;   in Loop: Header=BB8_228 Depth=2
	s_or_b64 exec, exec, s[26:27]
	v_add_u32_e32 v28, v0, v28
	s_mov_b64 s[42:43], 0
	s_andn2_b64 exec, exec, s[40:41]
	s_cbranch_execz .LBB8_295
.LBB8_228:                              ;   Parent Loop BB8_47 Depth=1
                                        ; =>  This Loop Header: Depth=2
                                        ;       Child Loop BB8_234 Depth 3
                                        ;       Child Loop BB8_258 Depth 3
	;; [unrolled: 1-line block ×3, first 2 shown]
	v_sub_u32_e32 v1, v30, v28
	v_min_i32_e32 v0, v0, v1
	v_and_b32_e32 v1, 8, v56
	v_cmp_ne_u32_e32 vcc, 0, v1
	s_and_saveexec_b64 s[44:45], vcc
	s_cbranch_execz .LBB8_250
; %bb.229:                              ;   in Loop: Header=BB8_228 Depth=2
	buffer_load_dword v6, off, s[0:3], s33 offset:148 ; 4-byte Folded Reload
	buffer_load_dword v7, off, s[0:3], s33 offset:152 ; 4-byte Folded Reload
	s_waitcnt lgkmcnt(0)
	v_add_co_u32_e32 v3, vcc, 8, v46
	v_addc_co_u32_e32 v4, vcc, 0, v47, vcc
	s_waitcnt vmcnt(0)
	v_add_co_u32_e32 v6, vcc, 2, v6
	v_addc_co_u32_e32 v7, vcc, 0, v7, vcc
	v_cmp_lt_u64_e32 vcc, v[3:4], v[6:7]
	s_and_saveexec_b64 s[78:79], vcc
	s_cbranch_execz .LBB8_241
; %bb.230:                              ;   in Loop: Header=BB8_228 Depth=2
	v_and_b32_e32 v1, 64, v56
	s_mov_b32 s46, 0
	v_cmp_eq_u32_e32 vcc, 0, v1
	s_mov_b64 s[88:89], 0
                                        ; implicit-def: $sgpr90_sgpr91
                                        ; implicit-def: $sgpr92_sgpr93
                                        ; implicit-def: $sgpr94_sgpr95
	s_branch .LBB8_234
.LBB8_231:                              ;   in Loop: Header=BB8_234 Depth=3
	s_waitcnt vmcnt(0) lgkmcnt(0)
	v_add_co_u32_e64 v3, s[26:27], 8, v46
	v_addc_co_u32_e64 v4, s[26:27], 0, v47, s[26:27]
	v_cmp_ge_u64_e64 s[26:27], v[3:4], v[6:7]
	s_or_b64 s[36:37], s[36:37], exec
	s_orn2_b64 s[34:35], s[26:27], exec
.LBB8_232:                              ;   in Loop: Header=BB8_234 Depth=3
	s_or_b64 exec, exec, s[48:49]
	s_andn2_b64 s[26:27], s[94:95], exec
	s_and_b64 s[94:95], s[36:37], exec
	s_or_b64 s[94:95], s[26:27], s[94:95]
	s_andn2_b64 s[26:27], s[92:93], exec
	s_and_b64 s[92:93], s[34:35], exec
	s_or_b64 s[92:93], s[26:27], s[92:93]
.LBB8_233:                              ;   in Loop: Header=BB8_234 Depth=3
	s_or_b64 exec, exec, s[30:31]
	s_and_b64 s[26:27], exec, s[92:93]
	s_or_b64 s[88:89], s[26:27], s[88:89]
	s_andn2_b64 s[26:27], s[90:91], exec
	s_and_b64 s[90:91], s[94:95], exec
	s_or_b64 s[90:91], s[26:27], s[90:91]
	s_andn2_b64 exec, exec, s[88:89]
	s_cbranch_execz .LBB8_238
.LBB8_234:                              ;   Parent Loop BB8_47 Depth=1
                                        ;     Parent Loop BB8_228 Depth=2
                                        ; =>    This Inner Loop Header: Depth=3
	s_sleep 1
	s_waitcnt vmcnt(0) lgkmcnt(0)
	flat_load_dwordx2 v[46:47], v[40:41] glc
	s_or_b64 s[94:95], s[94:95], exec
	s_or_b64 s[92:93], s[92:93], exec
                                        ; implicit-def: $vgpr1
	s_and_saveexec_b64 s[30:31], vcc
	s_cbranch_execz .LBB8_233
; %bb.235:                              ;   in Loop: Header=BB8_234 Depth=3
	s_cmpk_lt_i32 s46, 0x270f
	s_cselect_b64 s[38:39], -1, 0
	s_cmpk_gt_i32 s46, 0x270e
	s_mov_b64 s[34:35], -1
	s_cbranch_scc0 .LBB8_237
; %bb.236:                              ;   in Loop: Header=BB8_234 Depth=3
	s_trap 2
	ds_read_b64 v[3:4], v0
	s_andn2_b64 s[38:39], s[38:39], exec
	s_mov_b32 s46, 0
	s_mov_b64 s[36:37], 0
	s_waitcnt vmcnt(0) lgkmcnt(0)
	flat_load_dword v1, v[3:4] glc
	s_waitcnt vmcnt(0) lgkmcnt(0)
	buffer_wbinvl1_vol
	v_cmp_eq_u32_e64 s[26:27], 0, v1
	s_and_b64 s[26:27], s[26:27], exec
	s_or_b64 s[38:39], s[38:39], s[26:27]
	s_and_saveexec_b64 s[48:49], s[38:39]
	s_cbranch_execz .LBB8_232
	s_branch .LBB8_231
.LBB8_237:                              ;   in Loop: Header=BB8_234 Depth=3
	s_add_i32 s46, s46, 1
	s_mov_b64 s[36:37], -1
                                        ; implicit-def: $vgpr1
	s_and_saveexec_b64 s[48:49], s[38:39]
	s_cbranch_execz .LBB8_232
	s_branch .LBB8_231
.LBB8_238:                              ;   in Loop: Header=BB8_228 Depth=2
	s_or_b64 exec, exec, s[88:89]
	s_xor_b64 s[26:27], s[90:91], -1
	s_and_saveexec_b64 s[46:47], s[26:27]
	s_xor_b64 s[26:27], exec, s[46:47]
	s_cbranch_execz .LBB8_240
; %bb.239:                              ;   in Loop: Header=BB8_228 Depth=2
	v_or_b32_e32 v56, 64, v56
	s_waitcnt lgkmcnt(0)
	ds_write_b32 v0, v1
	s_trap 2
.LBB8_240:                              ;   in Loop: Header=BB8_228 Depth=2
	s_or_b64 exec, exec, s[26:27]
.LBB8_241:                              ;   in Loop: Header=BB8_228 Depth=2
	s_or_b64 exec, exec, s[78:79]
	;;#ASMSTART
	s_wakeup
	;;#ASMEND
	buffer_load_dword v3, off, s[0:3], s33 offset:148 ; 4-byte Folded Reload
	buffer_load_dword v4, off, s[0:3], s33 offset:152 ; 4-byte Folded Reload
	v_and_b32_e32 v1, 0x100, v56
	v_cmp_ne_u32_e32 vcc, 0, v1
	s_mov_b64 s[26:27], -1
	s_waitcnt vmcnt(0)
	v_and_b32_e32 v5, 7, v3
                                        ; implicit-def: $vgpr3_vgpr4
	s_and_saveexec_b64 s[78:79], vcc
	s_cbranch_execz .LBB8_245
; %bb.242:                              ;   in Loop: Header=BB8_228 Depth=2
	buffer_load_dword v8, off, s[0:3], s33 offset:204 ; 4-byte Folded Reload
	buffer_load_dword v9, off, s[0:3], s33 offset:208 ; 4-byte Folded Reload
	;; [unrolled: 1-line block ×4, first 2 shown]
	v_ashrrev_i32_e32 v1, 31, v0
	v_lshlrev_b64 v[3:4], 1, v[0:1]
	s_waitcnt vmcnt(0)
	v_mad_u64_u32 v[8:9], s[26:27], v5, 24, v[8:9]
	flat_load_dword v1, v[8:9]
	s_nop 0
	flat_store_dwordx2 v[8:9], v[3:4] offset:8
                                        ; implicit-def: $vgpr3_vgpr4
	s_waitcnt vmcnt(0) lgkmcnt(0)
	v_cmp_ne_u32_e32 vcc, 1, v1
	v_cmp_eq_u32_e64 s[26:27], 1, v1
	s_and_saveexec_b64 s[88:89], s[26:27]
	s_cbranch_execz .LBB8_244
; %bb.243:                              ;   in Loop: Header=BB8_228 Depth=2
	flat_load_dword v3, v[8:9] offset:4 glc
	s_waitcnt vmcnt(0) lgkmcnt(0)
	v_ashrrev_i32_e32 v4, 31, v3
	v_lshrrev_b64 v[3:4], 1, v[3:4]
.LBB8_244:                              ;   in Loop: Header=BB8_228 Depth=2
	s_or_b64 exec, exec, s[88:89]
	s_orn2_b64 s[26:27], vcc, exec
.LBB8_245:                              ;   in Loop: Header=BB8_228 Depth=2
	s_or_b64 exec, exec, s[78:79]
	s_and_saveexec_b64 s[78:79], s[26:27]
	s_cbranch_execz .LBB8_247
; %bb.246:                              ;   in Loop: Header=BB8_228 Depth=2
	buffer_load_dword v1, off, s[0:3], s33 offset:228 ; 4-byte Folded Reload
	s_waitcnt vmcnt(0)
	v_mad_i64_i32 v[3:4], s[26:27], v5, v1, 0
.LBB8_247:                              ;   in Loop: Header=BB8_228 Depth=2
	s_or_b64 exec, exec, s[78:79]
	buffer_load_dword v8, off, s[0:3], s33 offset:196 ; 4-byte Folded Reload
	buffer_load_dword v9, off, s[0:3], s33 offset:200 ; 4-byte Folded Reload
	v_lshlrev_b64 v[3:4], 1, v[3:4]
	v_and_b32_e32 v1, 0x2000, v56
	s_waitcnt vmcnt(0)
	v_add_co_u32_e32 v3, vcc, v8, v3
	v_addc_co_u32_e32 v4, vcc, v9, v4, vcc
	v_cmp_ne_u32_e32 vcc, 0, v1
	ds_write_b64 v0, v[3:4] offset:784
	s_and_saveexec_b64 s[26:27], vcc
	s_cbranch_execz .LBB8_249
; %bb.248:                              ;   in Loop: Header=BB8_228 Depth=2
	ds_read_b64 v[3:4], v0 offset:872
	s_waitcnt lgkmcnt(0)
	v_add_co_u32_e32 v3, vcc, 1, v3
	v_addc_co_u32_e32 v4, vcc, 0, v4, vcc
	ds_write_b64 v0, v[3:4] offset:872
.LBB8_249:                              ;   in Loop: Header=BB8_228 Depth=2
	s_or_b64 exec, exec, s[26:27]
	buffer_store_dword v6, off, s[0:3], s33 offset:148 ; 4-byte Folded Spill
	s_nop 0
	buffer_store_dword v7, off, s[0:3], s33 offset:152 ; 4-byte Folded Spill
.LBB8_250:                              ;   in Loop: Header=BB8_228 Depth=2
	s_or_b64 exec, exec, s[44:45]
	s_xor_b64 s[26:27], s[42:43], -1
	s_and_b64 s[26:27], exec, s[26:27]
	s_or_b64 s[40:41], s[26:27], s[40:41]
	s_and_saveexec_b64 s[26:27], s[10:11]
	s_cbranch_execz .LBB8_269
; %bb.251:                              ;   in Loop: Header=BB8_228 Depth=2
	s_and_saveexec_b64 s[42:43], s[58:59]
	s_xor_b64 s[42:43], exec, s[42:43]
	s_cbranch_execz .LBB8_266
; %bb.252:                              ;   in Loop: Header=BB8_228 Depth=2
	s_and_saveexec_b64 s[44:45], s[16:17]
	s_cbranch_execz .LBB8_265
; %bb.253:                              ;   in Loop: Header=BB8_228 Depth=2
	s_mov_b64 s[88:89], exec
	v_mbcnt_lo_u32_b32 v1, s88, 0
	v_mbcnt_hi_u32_b32 v1, s89, v1
	v_cmp_eq_u32_e32 vcc, 0, v1
	s_waitcnt vmcnt(0) lgkmcnt(0)
	buffer_wbinvl1_vol
	s_and_saveexec_b64 s[78:79], vcc
	s_cbranch_execz .LBB8_255
; %bb.254:                              ;   in Loop: Header=BB8_228 Depth=2
	s_bcnt1_i32_b64 s46, s[88:89]
	v_mov_b32_e32 v3, s46
	v_mov_b32_e32 v4, v2
	ds_add_u64 v0, v[3:4]
	s_trap 2
.LBB8_255:                              ;   in Loop: Header=BB8_228 Depth=2
	s_or_b64 exec, exec, s[78:79]
	s_trap 2
	ds_read_b64 v[3:4], v0
	s_waitcnt lgkmcnt(0)
	buffer_load_dword v5, off, s[0:3], s33 offset:132 ; 4-byte Folded Reload
	buffer_load_dword v6, off, s[0:3], s33 offset:136 ; 4-byte Folded Reload
	s_waitcnt vmcnt(1)
	v_add_co_u32_e32 v5, vcc, v5, v52
	s_waitcnt vmcnt(0)
	v_addc_co_u32_e32 v6, vcc, 0, v6, vcc
	buffer_store_dword v5, off, s[0:3], s33 offset:132 ; 4-byte Folded Spill
	s_nop 0
	buffer_store_dword v6, off, s[0:3], s33 offset:136 ; 4-byte Folded Spill
	v_cmp_lt_u64_e32 vcc, v[3:4], v[5:6]
	s_and_saveexec_b64 s[78:79], vcc
	s_cbranch_execz .LBB8_264
; %bb.256:                              ;   in Loop: Header=BB8_228 Depth=2
	s_mov_b32 s46, 0
	s_mov_b64 s[88:89], 0
                                        ; implicit-def: $sgpr90_sgpr91
                                        ; implicit-def: $sgpr92_sgpr93
	s_branch .LBB8_258
.LBB8_257:                              ;   in Loop: Header=BB8_258 Depth=3
	s_or_b64 exec, exec, s[30:31]
	s_and_b64 s[94:95], exec, vcc
	s_or_b64 s[88:89], s[94:95], s[88:89]
	s_andn2_b64 s[90:91], s[90:91], exec
	s_and_b64 s[94:95], s[92:93], exec
	s_or_b64 s[90:91], s[90:91], s[94:95]
	s_andn2_b64 exec, exec, s[88:89]
	s_cbranch_execz .LBB8_262
.LBB8_258:                              ;   Parent Loop BB8_47 Depth=1
                                        ;     Parent Loop BB8_228 Depth=2
                                        ; =>    This Inner Loop Header: Depth=3
	s_add_i32 s46, s46, 1
	s_cmpk_lg_i32 s46, 0x2710
	s_cselect_b64 s[94:95], -1, 0
	s_and_b64 vcc, exec, s[94:95]
	s_cbranch_vccz .LBB8_260
; %bb.259:                              ;   in Loop: Header=BB8_258 Depth=3
	s_mov_b64 vcc, -1
	s_or_b64 s[92:93], s[92:93], exec
	s_and_saveexec_b64 s[30:31], s[94:95]
	s_cbranch_execz .LBB8_257
	s_branch .LBB8_261
.LBB8_260:                              ;   in Loop: Header=BB8_258 Depth=3
	s_trap 2
	ds_read_b64 v[3:4], v0
	s_andn2_b64 s[94:95], s[94:95], exec
	s_mov_b32 s46, 0
	s_waitcnt vmcnt(0) lgkmcnt(0)
	flat_load_dword v1, v[3:4] glc
	s_waitcnt vmcnt(0) lgkmcnt(0)
	buffer_wbinvl1_vol
	v_cmp_eq_u32_e32 vcc, 0, v1
	s_and_b64 vcc, vcc, exec
	s_or_b64 s[94:95], s[94:95], vcc
	s_mov_b64 vcc, -1
	s_or_b64 s[92:93], s[92:93], exec
	s_and_saveexec_b64 s[30:31], s[94:95]
	s_cbranch_execz .LBB8_257
.LBB8_261:                              ;   in Loop: Header=BB8_258 Depth=3
	s_sleep 1
	s_trap 2
	ds_read_b64 v[3:4], v0
	s_waitcnt lgkmcnt(0)
	buffer_load_dword v5, off, s[0:3], s33 offset:132 ; 4-byte Folded Reload
	buffer_load_dword v6, off, s[0:3], s33 offset:136 ; 4-byte Folded Reload
	s_andn2_b64 s[92:93], s[92:93], exec
	s_waitcnt vmcnt(0)
	v_cmp_ge_u64_e32 vcc, v[3:4], v[5:6]
	s_orn2_b64 vcc, vcc, exec
	s_branch .LBB8_257
.LBB8_262:                              ;   in Loop: Header=BB8_228 Depth=2
	s_or_b64 exec, exec, s[88:89]
	s_and_saveexec_b64 s[46:47], s[90:91]
	s_xor_b64 s[46:47], exec, s[46:47]
	s_cbranch_execz .LBB8_264
; %bb.263:                              ;   in Loop: Header=BB8_228 Depth=2
	v_mov_b32_e32 v1, 1
	ds_write_b32 v0, v1
	s_trap 2
.LBB8_264:                              ;   in Loop: Header=BB8_228 Depth=2
	s_or_b64 exec, exec, s[78:79]
	;;#ASMSTART
	s_wakeup
	;;#ASMEND
.LBB8_265:                              ;   in Loop: Header=BB8_228 Depth=2
	s_or_b64 exec, exec, s[44:45]
.LBB8_266:                              ;   in Loop: Header=BB8_228 Depth=2
	s_andn2_saveexec_b64 s[42:43], s[42:43]
	s_cbranch_execz .LBB8_268
; %bb.267:                              ;   in Loop: Header=BB8_228 Depth=2
	s_waitcnt vmcnt(0) lgkmcnt(0)
	buffer_wbinvl1_vol
	s_barrier
.LBB8_268:                              ;   in Loop: Header=BB8_228 Depth=2
	s_or_b64 exec, exec, s[42:43]
.LBB8_269:                              ;   in Loop: Header=BB8_228 Depth=2
	s_or_b64 exec, exec, s[26:27]
	v_and_b32_e32 v1, 16, v56
	s_and_saveexec_b64 s[26:27], s[24:25]
	s_xor_b64 s[26:27], exec, s[26:27]
	s_cbranch_execz .LBB8_274
; %bb.270:                              ;   in Loop: Header=BB8_228 Depth=2
	s_trap 2
	ds_read_b32 v1, v0
	v_cmp_lt_i32_e32 vcc, 0, v0
	v_and_b32_e32 v3, 16, v56
	s_waitcnt lgkmcnt(0)
	v_readfirstlane_b32 s42, v1
	s_cmp_eq_u32 s42, 0
	s_cselect_b64 s[42:43], -1, 0
	s_and_b64 s[42:43], vcc, s[42:43]
	v_cmp_ne_u32_e32 vcc, 0, v3
	v_and_b32_e32 v1, 16, v56
	s_and_b64 s[44:45], vcc, s[42:43]
	s_and_saveexec_b64 s[42:43], s[44:45]
	s_cbranch_execz .LBB8_272
; %bb.271:                              ;   in Loop: Header=BB8_228 Depth=2
	v_mov_b32_e32 v1, 1
	s_waitcnt vmcnt(0)
	buffer_wbinvl1_vol
.LBB8_272:                              ;   in Loop: Header=BB8_228 Depth=2
	s_or_b64 exec, exec, s[42:43]
	s_andn2_saveexec_b64 s[26:27], s[26:27]
	s_cbranch_execnz .LBB8_275
.LBB8_273:                              ;   in Loop: Header=BB8_228 Depth=2
	s_or_b64 exec, exec, s[26:27]
	v_cmp_ne_u32_e32 vcc, 0, v1
	s_and_saveexec_b64 s[26:27], vcc
	s_cbranch_execz .LBB8_227
	s_branch .LBB8_293
.LBB8_274:                              ;   in Loop: Header=BB8_228 Depth=2
	s_andn2_saveexec_b64 s[26:27], s[26:27]
	s_cbranch_execz .LBB8_273
.LBB8_275:                              ;   in Loop: Header=BB8_228 Depth=2
	s_and_saveexec_b64 s[42:43], s[58:59]
	s_xor_b64 s[42:43], exec, s[42:43]
	s_cbranch_execz .LBB8_290
; %bb.276:                              ;   in Loop: Header=BB8_228 Depth=2
	s_and_saveexec_b64 s[44:45], s[16:17]
	s_cbranch_execz .LBB8_289
; %bb.277:                              ;   in Loop: Header=BB8_228 Depth=2
	s_mov_b64 s[88:89], exec
	v_mbcnt_lo_u32_b32 v3, s88, 0
	v_mbcnt_hi_u32_b32 v3, s89, v3
	v_cmp_eq_u32_e32 vcc, 0, v3
	;;#ASMSTART
	s_waitcnt lgkmcnt(0) vmcnt(0)
	;;#ASMEND
	s_and_saveexec_b64 s[78:79], vcc
	s_cbranch_execz .LBB8_279
; %bb.278:                              ;   in Loop: Header=BB8_228 Depth=2
	s_bcnt1_i32_b64 s46, s[88:89]
	v_mov_b32_e32 v3, s46
	v_mov_b32_e32 v4, v2
	s_waitcnt lgkmcnt(0)
	ds_add_u64 v0, v[3:4]
	s_trap 2
.LBB8_279:                              ;   in Loop: Header=BB8_228 Depth=2
	s_or_b64 exec, exec, s[78:79]
	s_trap 2
	ds_read_b64 v[3:4], v0
	s_waitcnt lgkmcnt(0)
	buffer_load_dword v5, off, s[0:3], s33 offset:132 ; 4-byte Folded Reload
	buffer_load_dword v6, off, s[0:3], s33 offset:136 ; 4-byte Folded Reload
	s_waitcnt vmcnt(0)
	v_add_co_u32_e32 v5, vcc, v5, v52
	v_addc_co_u32_e32 v6, vcc, 0, v6, vcc
	buffer_store_dword v5, off, s[0:3], s33 offset:132 ; 4-byte Folded Spill
	s_nop 0
	buffer_store_dword v6, off, s[0:3], s33 offset:136 ; 4-byte Folded Spill
	v_cmp_lt_u64_e32 vcc, v[3:4], v[5:6]
	s_and_saveexec_b64 s[78:79], vcc
	s_cbranch_execz .LBB8_288
; %bb.280:                              ;   in Loop: Header=BB8_228 Depth=2
	s_mov_b32 s46, 0
	s_mov_b64 s[88:89], 0
                                        ; implicit-def: $sgpr90_sgpr91
                                        ; implicit-def: $sgpr92_sgpr93
	s_branch .LBB8_282
.LBB8_281:                              ;   in Loop: Header=BB8_282 Depth=3
	s_or_b64 exec, exec, s[30:31]
	s_and_b64 s[94:95], exec, vcc
	s_or_b64 s[88:89], s[94:95], s[88:89]
	s_andn2_b64 s[90:91], s[90:91], exec
	s_and_b64 s[94:95], s[92:93], exec
	s_or_b64 s[90:91], s[90:91], s[94:95]
	s_andn2_b64 exec, exec, s[88:89]
	s_cbranch_execz .LBB8_286
.LBB8_282:                              ;   Parent Loop BB8_47 Depth=1
                                        ;     Parent Loop BB8_228 Depth=2
                                        ; =>    This Inner Loop Header: Depth=3
	s_add_i32 s46, s46, 1
	s_cmpk_lg_i32 s46, 0x2710
	s_cselect_b64 s[94:95], -1, 0
	s_and_b64 vcc, exec, s[94:95]
	s_cbranch_vccz .LBB8_284
; %bb.283:                              ;   in Loop: Header=BB8_282 Depth=3
	s_mov_b64 vcc, -1
	s_or_b64 s[92:93], s[92:93], exec
	s_and_saveexec_b64 s[30:31], s[94:95]
	s_cbranch_execz .LBB8_281
	s_branch .LBB8_285
.LBB8_284:                              ;   in Loop: Header=BB8_282 Depth=3
	s_trap 2
	ds_read_b64 v[3:4], v0
	s_andn2_b64 s[94:95], s[94:95], exec
	s_mov_b32 s46, 0
	s_waitcnt vmcnt(0) lgkmcnt(0)
	flat_load_dword v3, v[3:4] glc
	s_waitcnt vmcnt(0) lgkmcnt(0)
	buffer_wbinvl1_vol
	v_cmp_eq_u32_e32 vcc, 0, v3
	s_and_b64 vcc, vcc, exec
	s_or_b64 s[94:95], s[94:95], vcc
	s_mov_b64 vcc, -1
	s_or_b64 s[92:93], s[92:93], exec
	s_and_saveexec_b64 s[30:31], s[94:95]
	s_cbranch_execz .LBB8_281
.LBB8_285:                              ;   in Loop: Header=BB8_282 Depth=3
	s_sleep 1
	s_trap 2
	ds_read_b64 v[3:4], v0
	s_waitcnt lgkmcnt(0)
	buffer_load_dword v5, off, s[0:3], s33 offset:132 ; 4-byte Folded Reload
	buffer_load_dword v6, off, s[0:3], s33 offset:136 ; 4-byte Folded Reload
	s_andn2_b64 s[92:93], s[92:93], exec
	s_waitcnt vmcnt(0)
	v_cmp_ge_u64_e32 vcc, v[3:4], v[5:6]
	s_orn2_b64 vcc, vcc, exec
	s_branch .LBB8_281
.LBB8_286:                              ;   in Loop: Header=BB8_228 Depth=2
	s_or_b64 exec, exec, s[88:89]
	s_and_saveexec_b64 s[46:47], s[90:91]
	s_xor_b64 s[46:47], exec, s[46:47]
	s_cbranch_execz .LBB8_288
; %bb.287:                              ;   in Loop: Header=BB8_228 Depth=2
	v_mov_b32_e32 v3, 1
	ds_write_b32 v0, v3
	s_trap 2
.LBB8_288:                              ;   in Loop: Header=BB8_228 Depth=2
	s_or_b64 exec, exec, s[78:79]
	;;#ASMSTART
	s_wakeup
	;;#ASMEND
.LBB8_289:                              ;   in Loop: Header=BB8_228 Depth=2
	s_or_b64 exec, exec, s[44:45]
.LBB8_290:                              ;   in Loop: Header=BB8_228 Depth=2
	s_andn2_saveexec_b64 s[42:43], s[42:43]
	s_cbranch_execz .LBB8_292
; %bb.291:                              ;   in Loop: Header=BB8_228 Depth=2
	;;#ASMSTART
	s_waitcnt lgkmcnt(0) vmcnt(0)
	;;#ASMEND
	s_waitcnt vmcnt(0) lgkmcnt(0)
	s_barrier
.LBB8_292:                              ;   in Loop: Header=BB8_228 Depth=2
	s_or_b64 exec, exec, s[42:43]
	s_or_b64 exec, exec, s[26:27]
	v_cmp_ne_u32_e32 vcc, 0, v1
	s_and_saveexec_b64 s[26:27], vcc
	s_cbranch_execz .LBB8_227
.LBB8_293:                              ;   in Loop: Header=BB8_228 Depth=2
	s_and_saveexec_b64 s[42:43], s[14:15]
	s_cbranch_execz .LBB8_226
; %bb.294:                              ;   in Loop: Header=BB8_228 Depth=2
	buffer_load_dword v3, off, s[0:3], s33 offset:220 ; 4-byte Folded Reload
	buffer_load_dword v4, off, s[0:3], s33 offset:224 ; 4-byte Folded Reload
	v_mov_b32_e32 v1, 1
	s_waitcnt vmcnt(0)
	flat_store_dword v[3:4], v1
	s_branch .LBB8_226
.LBB8_295:                              ;   in Loop: Header=BB8_47 Depth=1
	s_or_b64 exec, exec, s[40:41]
.LBB8_296:                              ;   in Loop: Header=BB8_47 Depth=1
	s_or_b64 exec, exec, s[28:29]
	v_cndmask_b32_e64 v0, 0, 1, s[62:63]
	v_cmp_ne_u32_e64 s[26:27], 1, v0
	s_andn2_b64 vcc, exec, s[62:63]
	s_cbranch_vccnz .LBB8_952
; %bb.297:                              ;   in Loop: Header=BB8_47 Depth=1
	s_mov_b32 s57, 2
	s_branch .LBB8_300
.LBB8_298:                              ;   in Loop: Header=BB8_300 Depth=2
	s_or_b64 exec, exec, s[42:43]
.LBB8_299:                              ;   in Loop: Header=BB8_300 Depth=2
	s_or_b64 exec, exec, s[40:41]
	s_add_i32 s57, s57, 1
	s_cmp_eq_u32 s57, s52
	s_cbranch_scc1 .LBB8_952
.LBB8_300:                              ;   Parent Loop BB8_47 Depth=1
                                        ; =>  This Loop Header: Depth=2
                                        ;       Child Loop BB8_303 Depth 3
                                        ;         Child Loop BB8_311 Depth 4
                                        ;         Child Loop BB8_339 Depth 4
                                        ;         Child Loop BB8_358 Depth 4
                                        ;         Child Loop BB8_387 Depth 4
                                        ;         Child Loop BB8_591 Depth 4
                                        ;           Child Loop BB8_592 Depth 5
                                        ;           Child Loop BB8_629 Depth 5
                                        ;         Child Loop BB8_706 Depth 4
                                        ;         Child Loop BB8_813 Depth 4
                                        ;           Child Loop BB8_814 Depth 5
                                        ;           Child Loop BB8_823 Depth 5
                                        ;         Child Loop BB8_842 Depth 4
                                        ;         Child Loop BB8_861 Depth 4
                                        ;       Child Loop BB8_880 Depth 3
                                        ;         Child Loop BB8_886 Depth 4
                                        ;         Child Loop BB8_914 Depth 4
	;; [unrolled: 1-line block ×3, first 2 shown]
	buffer_load_dword v3, off, s[0:3], s33 offset:328 ; 4-byte Folded Reload
	buffer_load_dword v4, off, s[0:3], s33 offset:332 ; 4-byte Folded Reload
	s_sub_i32 s28, s66, s57
	s_cmp_ge_i32 s28, s52
	s_cselect_b32 s29, s52, 0
	s_sub_i32 s28, s28, s29
	s_ashr_i32 s40, s28, 31
	s_waitcnt vmcnt(0)
	v_mul_lo_u32 v1, v3, s40
	v_mul_lo_u32 v0, v4, s28
	v_mad_u64_u32 v[6:7], s[28:29], v3, s28, 0
	v_add3_u32 v7, v7, v1, v0
	buffer_load_dword v0, off, s[0:3], s33 offset:320 ; 4-byte Folded Reload
	buffer_load_dword v1, off, s[0:3], s33 offset:324 ; 4-byte Folded Reload
	s_waitcnt vmcnt(0)
	v_sub_co_u32_e32 v0, vcc, v0, v6
	v_subb_co_u32_e32 v1, vcc, v1, v7, vcc
	v_cmp_lt_i64_e32 vcc, v[3:4], v[0:1]
	v_cndmask_b32_e32 v0, v0, v3, vcc
	v_max_i32_e32 v27, 0, v0
	v_add_u32_e32 v1, 31, v27
	v_lshrrev_b32_e32 v1, 1, v1
	v_and_b32_e32 v1, 0x3ffffff0, v1
	v_cmp_lt_i32_e32 vcc, 0, v0
	v_max_i32_e32 v58, s69, v1
	s_and_b64 s[28:29], s[74:75], vcc
	v_mov_b32_e32 v1, 0
	v_mov_b32_e32 v0, 0
	s_and_saveexec_b64 s[44:45], s[28:29]
	s_cbranch_execz .LBB8_877
; %bb.301:                              ;   in Loop: Header=BB8_300 Depth=2
	s_mov_b32 s77, 1
	s_mov_b64 s[88:89], -1
	v_mov_b32_e32 v0, 0
	v_lshlrev_b64 v[30:31], 1, v[6:7]
	s_mov_b64 s[78:79], 0
	buffer_store_dword v27, off, s[0:3], s33 offset:276 ; 4-byte Folded Spill
	buffer_store_dword v30, off, s[0:3], s33 offset:284 ; 4-byte Folded Spill
	s_nop 0
	buffer_store_dword v31, off, s[0:3], s33 offset:288 ; 4-byte Folded Spill
	s_branch .LBB8_303
.LBB8_302:                              ;   in Loop: Header=BB8_303 Depth=3
	s_or_b64 exec, exec, s[28:29]
	v_add_u32_e32 v0, v58, v0
	v_cmp_ge_i32_e32 vcc, v0, v27
	s_xor_b64 s[28:29], s[88:89], -1
	s_or_b64 s[28:29], s[28:29], vcc
	s_and_b64 s[28:29], exec, s[28:29]
	s_or_b64 s[78:79], s[28:29], s[78:79]
	s_mov_b64 s[88:89], 0
	v_mov_b32_e32 v1, s77
	s_mov_b32 s77, 2
	s_andn2_b64 exec, exec, s[78:79]
	s_cbranch_execz .LBB8_876
.LBB8_303:                              ;   Parent Loop BB8_47 Depth=1
                                        ;     Parent Loop BB8_300 Depth=2
                                        ; =>    This Loop Header: Depth=3
                                        ;         Child Loop BB8_311 Depth 4
                                        ;         Child Loop BB8_339 Depth 4
	;; [unrolled: 1-line block ×5, first 2 shown]
                                        ;           Child Loop BB8_592 Depth 5
                                        ;           Child Loop BB8_629 Depth 5
                                        ;         Child Loop BB8_706 Depth 4
                                        ;         Child Loop BB8_813 Depth 4
                                        ;           Child Loop BB8_814 Depth 5
                                        ;           Child Loop BB8_823 Depth 5
                                        ;         Child Loop BB8_842 Depth 4
                                        ;         Child Loop BB8_861 Depth 4
	s_and_saveexec_b64 s[28:29], s[4:5]
	s_cbranch_execz .LBB8_305
; %bb.304:                              ;   in Loop: Header=BB8_303 Depth=3
	s_trap 2
	ds_read_b64 v[3:4], v0
	buffer_load_dword v5, off, s[0:3], s33 offset:256 ; 4-byte Folded Reload
	buffer_load_dword v6, off, s[0:3], s33 offset:260 ; 4-byte Folded Reload
	s_waitcnt vmcnt(0)
	v_lshlrev_b64 v[5:6], 1, v[5:6]
	s_waitcnt lgkmcnt(0)
	v_add_co_u32_e32 v1, vcc, v3, v5
	v_addc_co_u32_e32 v3, vcc, v4, v6, vcc
	v_add_co_u32_e32 v5, vcc, v1, v30
	v_ashrrev_i32_e32 v1, 31, v0
	v_addc_co_u32_e32 v6, vcc, v3, v31, vcc
	v_lshlrev_b64 v[3:4], 1, v[0:1]
	v_add_co_u32_e32 v3, vcc, v5, v3
	v_addc_co_u32_e32 v4, vcc, v6, v4, vcc
	ds_write_b64 v0, v[3:4]
	v_mov_b32_e32 v3, v2
	ds_write_b64 v0, v[2:3]
.LBB8_305:                              ;   in Loop: Header=BB8_303 Depth=3
	s_or_b64 exec, exec, s[28:29]
	v_sub_u32_e32 v1, v27, v0
	v_min_i32_e32 v58, v58, v1
	v_and_b32_e32 v1, 12, v56
	v_cmp_ne_u32_e32 vcc, 0, v1
	s_and_saveexec_b64 s[40:41], vcc
	s_cbranch_execz .LBB8_331
; %bb.306:                              ;   in Loop: Header=BB8_303 Depth=3
	buffer_load_dword v6, off, s[0:3], s33 offset:148 ; 4-byte Folded Reload
	buffer_load_dword v7, off, s[0:3], s33 offset:152 ; 4-byte Folded Reload
	v_and_b32_e32 v1, 8, v56
	s_waitcnt lgkmcnt(0)
	v_add_co_u32_e32 v3, vcc, v46, v1
	v_addc_co_u32_e32 v4, vcc, 0, v47, vcc
	s_waitcnt vmcnt(0)
	v_add_co_u32_e32 v6, vcc, 2, v6
	s_waitcnt vmcnt(0)
	v_addc_co_u32_e32 v7, vcc, 0, v7, vcc
	v_cmp_lt_u64_e32 vcc, v[3:4], v[6:7]
	s_and_saveexec_b64 s[42:43], vcc
	s_cbranch_execz .LBB8_318
; %bb.307:                              ;   in Loop: Header=BB8_303 Depth=3
	v_and_b32_e32 v3, 64, v56
	s_mov_b32 s46, 0
	v_cmp_eq_u32_e32 vcc, 0, v3
	s_mov_b64 s[90:91], 0
                                        ; implicit-def: $sgpr92_sgpr93
                                        ; implicit-def: $sgpr94_sgpr95
                                        ; implicit-def: $sgpr30_sgpr31
	s_branch .LBB8_311
.LBB8_308:                              ;   in Loop: Header=BB8_311 Depth=4
	s_waitcnt vmcnt(0) lgkmcnt(0)
	v_add_co_u32_e64 v4, s[28:29], v46, v1
	v_addc_co_u32_e64 v5, s[28:29], 0, v47, s[28:29]
	v_cmp_ge_u64_e64 s[28:29], v[4:5], v[6:7]
	s_or_b64 s[38:39], s[38:39], exec
	s_orn2_b64 s[36:37], s[28:29], exec
.LBB8_309:                              ;   in Loop: Header=BB8_311 Depth=4
	s_or_b64 exec, exec, s[50:51]
	s_andn2_b64 s[28:29], s[30:31], exec
	s_and_b64 s[30:31], s[38:39], exec
	s_or_b64 s[30:31], s[28:29], s[30:31]
	s_andn2_b64 s[28:29], s[94:95], exec
	s_and_b64 s[94:95], s[36:37], exec
	s_or_b64 s[94:95], s[28:29], s[94:95]
.LBB8_310:                              ;   in Loop: Header=BB8_311 Depth=4
	s_or_b64 exec, exec, s[34:35]
	s_and_b64 s[28:29], exec, s[94:95]
	s_or_b64 s[90:91], s[28:29], s[90:91]
	s_andn2_b64 s[28:29], s[92:93], exec
	s_and_b64 s[92:93], s[30:31], exec
	s_or_b64 s[92:93], s[28:29], s[92:93]
	s_andn2_b64 exec, exec, s[90:91]
	s_cbranch_execz .LBB8_315
.LBB8_311:                              ;   Parent Loop BB8_47 Depth=1
                                        ;     Parent Loop BB8_300 Depth=2
                                        ;       Parent Loop BB8_303 Depth=3
                                        ; =>      This Inner Loop Header: Depth=4
	s_sleep 1
	s_waitcnt vmcnt(0) lgkmcnt(0)
	flat_load_dwordx2 v[46:47], v[40:41] glc
	s_or_b64 s[30:31], s[30:31], exec
	s_or_b64 s[94:95], s[94:95], exec
                                        ; implicit-def: $vgpr3
	s_and_saveexec_b64 s[34:35], vcc
	s_cbranch_execz .LBB8_310
; %bb.312:                              ;   in Loop: Header=BB8_311 Depth=4
	s_cmpk_lt_i32 s46, 0x270f
	s_cselect_b64 s[48:49], -1, 0
	s_cmpk_gt_i32 s46, 0x270e
	s_mov_b64 s[36:37], -1
	s_cbranch_scc0 .LBB8_314
; %bb.313:                              ;   in Loop: Header=BB8_311 Depth=4
	s_trap 2
	ds_read_b64 v[3:4], v0
	s_andn2_b64 s[48:49], s[48:49], exec
	s_mov_b32 s46, 0
	s_mov_b64 s[38:39], 0
	s_waitcnt vmcnt(0) lgkmcnt(0)
	flat_load_dword v3, v[3:4] glc
	s_waitcnt vmcnt(0) lgkmcnt(0)
	buffer_wbinvl1_vol
	v_cmp_eq_u32_e64 s[28:29], 0, v3
	s_and_b64 s[28:29], s[28:29], exec
	s_or_b64 s[48:49], s[48:49], s[28:29]
	s_and_saveexec_b64 s[50:51], s[48:49]
	s_cbranch_execz .LBB8_309
	s_branch .LBB8_308
.LBB8_314:                              ;   in Loop: Header=BB8_311 Depth=4
	s_add_i32 s46, s46, 1
	s_mov_b64 s[38:39], -1
                                        ; implicit-def: $vgpr3
	s_and_saveexec_b64 s[50:51], s[48:49]
	s_cbranch_execz .LBB8_309
	s_branch .LBB8_308
.LBB8_315:                              ;   in Loop: Header=BB8_303 Depth=3
	s_or_b64 exec, exec, s[90:91]
	s_xor_b64 s[28:29], s[92:93], -1
	s_and_saveexec_b64 s[46:47], s[28:29]
	s_xor_b64 s[28:29], exec, s[46:47]
	s_cbranch_execz .LBB8_317
; %bb.316:                              ;   in Loop: Header=BB8_303 Depth=3
	v_or_b32_e32 v56, 64, v56
	s_waitcnt lgkmcnt(0)
	ds_write_b32 v0, v3
	s_trap 2
.LBB8_317:                              ;   in Loop: Header=BB8_303 Depth=3
	s_or_b64 exec, exec, s[28:29]
.LBB8_318:                              ;   in Loop: Header=BB8_303 Depth=3
	s_or_b64 exec, exec, s[42:43]
	v_and_b32_e32 v3, 0x108, v56
	v_cmp_ne_u32_e32 vcc, s87, v3
	;;#ASMSTART
	s_wakeup
	;;#ASMEND
                                        ; implicit-def: $vgpr8_vgpr9
	s_and_saveexec_b64 s[28:29], vcc
	s_xor_b64 s[28:29], exec, s[28:29]
	s_cbranch_execz .LBB8_320
; %bb.319:                              ;   in Loop: Header=BB8_303 Depth=3
	buffer_load_dword v3, off, s[0:3], s33 offset:148 ; 4-byte Folded Reload
	buffer_load_dword v4, off, s[0:3], s33 offset:152 ; 4-byte Folded Reload
	v_mov_b32_e32 v9, v2
	s_waitcnt vmcnt(0)
	v_and_b32_e32 v8, 7, v3
                                        ; implicit-def: $vgpr3_vgpr4
                                        ; kill: killed $vgpr3_vgpr4
.LBB8_320:                              ;   in Loop: Header=BB8_303 Depth=3
	s_andn2_saveexec_b64 s[28:29], s[28:29]
	s_cbranch_execz .LBB8_322
; %bb.321:                              ;   in Loop: Header=BB8_303 Depth=3
	buffer_load_dword v3, off, s[0:3], s33 offset:148 ; 4-byte Folded Reload
	buffer_load_dword v4, off, s[0:3], s33 offset:152 ; 4-byte Folded Reload
	buffer_load_dword v9, off, s[0:3], s33 offset:204 ; 4-byte Folded Reload
	buffer_load_dword v10, off, s[0:3], s33 offset:208 ; 4-byte Folded Reload
	buffer_load_dword v11, off, s[0:3], s33 offset:212 ; 4-byte Folded Reload
	buffer_load_dword v12, off, s[0:3], s33 offset:216 ; 4-byte Folded Reload
	v_ashrrev_i32_e32 v59, 31, v58
	s_waitcnt vmcnt(0)
	v_and_b32_e32 v8, 7, v3
	v_mad_u64_u32 v[3:4], s[42:43], v8, 24, v[9:10]
	v_lshlrev_b64 v[10:11], 1, v[58:59]
	v_mov_b32_e32 v9, v2
	flat_store_dwordx2 v[3:4], v[10:11] offset:8
.LBB8_322:                              ;   in Loop: Header=BB8_303 Depth=3
	s_or_b64 exec, exec, s[28:29]
	v_and_b32_e32 v3, 0x100, v56
	v_cmp_ne_u32_e32 vcc, 0, v3
	s_mov_b64 s[28:29], -1
                                        ; implicit-def: $vgpr3_vgpr4
	s_and_saveexec_b64 s[42:43], vcc
	s_cbranch_execz .LBB8_326
; %bb.323:                              ;   in Loop: Header=BB8_303 Depth=3
	buffer_load_dword v10, off, s[0:3], s33 offset:204 ; 4-byte Folded Reload
	buffer_load_dword v11, off, s[0:3], s33 offset:208 ; 4-byte Folded Reload
	;; [unrolled: 1-line block ×4, first 2 shown]
	s_waitcnt vmcnt(0)
	v_mad_u64_u32 v[10:11], s[28:29], v8, 24, v[10:11]
	v_mov_b32_e32 v3, v11
	v_mad_u64_u32 v[3:4], s[28:29], v9, 24, v[3:4]
	v_mov_b32_e32 v11, v3
	flat_load_dword v3, v[10:11]
	s_waitcnt vmcnt(0) lgkmcnt(0)
	v_cmp_ne_u32_e32 vcc, 1, v3
	v_cmp_eq_u32_e64 s[28:29], 1, v3
                                        ; implicit-def: $vgpr3_vgpr4
	s_and_saveexec_b64 s[90:91], s[28:29]
	s_cbranch_execz .LBB8_325
; %bb.324:                              ;   in Loop: Header=BB8_303 Depth=3
	flat_load_dword v3, v[10:11] offset:4 glc
	s_waitcnt vmcnt(0) lgkmcnt(0)
	v_ashrrev_i32_e32 v4, 31, v3
	v_lshrrev_b64 v[3:4], 1, v[3:4]
.LBB8_325:                              ;   in Loop: Header=BB8_303 Depth=3
	s_or_b64 exec, exec, s[90:91]
	s_orn2_b64 s[28:29], vcc, exec
.LBB8_326:                              ;   in Loop: Header=BB8_303 Depth=3
	s_or_b64 exec, exec, s[42:43]
	s_and_saveexec_b64 s[42:43], s[28:29]
	s_cbranch_execz .LBB8_328
; %bb.327:                              ;   in Loop: Header=BB8_303 Depth=3
	buffer_load_dword v3, off, s[0:3], s33 offset:228 ; 4-byte Folded Reload
	buffer_load_dword v4, off, s[0:3], s33 offset:232 ; 4-byte Folded Reload
	s_waitcnt vmcnt(0)
	v_mul_lo_u32 v5, v9, v3
	v_mul_lo_u32 v9, v8, v4
	v_mad_u64_u32 v[3:4], s[28:29], v8, v3, 0
	v_add3_u32 v4, v4, v9, v5
.LBB8_328:                              ;   in Loop: Header=BB8_303 Depth=3
	s_or_b64 exec, exec, s[42:43]
	buffer_load_dword v8, off, s[0:3], s33 offset:196 ; 4-byte Folded Reload
	buffer_load_dword v9, off, s[0:3], s33 offset:200 ; 4-byte Folded Reload
	v_lshlrev_b64 v[3:4], 1, v[3:4]
	v_cmp_eq_u32_e32 vcc, 0, v1
	v_mov_b32_e32 v1, 0xc8
	v_mov_b32_e32 v5, 0x90
	v_cndmask_b32_e32 v1, v1, v5, vcc
	v_add_u32_e32 v1, v0, v1
	s_waitcnt vmcnt(0)
	v_add_co_u32_e32 v3, vcc, v8, v3
	v_addc_co_u32_e32 v4, vcc, v9, v4, vcc
	ds_write_b64 v1, v[3:4] offset:584
	v_and_b32_e32 v1, 0x2000, v56
	v_cmp_ne_u32_e32 vcc, 0, v1
	s_and_saveexec_b64 s[28:29], vcc
	s_cbranch_execz .LBB8_330
; %bb.329:                              ;   in Loop: Header=BB8_303 Depth=3
	ds_read_b64 v[3:4], v0 offset:872
	s_waitcnt lgkmcnt(0)
	v_add_co_u32_e32 v3, vcc, 1, v3
	v_addc_co_u32_e32 v4, vcc, 0, v4, vcc
	ds_write_b64 v0, v[3:4] offset:872
.LBB8_330:                              ;   in Loop: Header=BB8_303 Depth=3
	s_or_b64 exec, exec, s[28:29]
	buffer_store_dword v6, off, s[0:3], s33 offset:148 ; 4-byte Folded Spill
	s_nop 0
	buffer_store_dword v7, off, s[0:3], s33 offset:152 ; 4-byte Folded Spill
.LBB8_331:                              ;   in Loop: Header=BB8_303 Depth=3
	s_or_b64 exec, exec, s[40:41]
	s_and_saveexec_b64 s[28:29], s[10:11]
	s_cbranch_execz .LBB8_350
; %bb.332:                              ;   in Loop: Header=BB8_303 Depth=3
	s_and_saveexec_b64 s[40:41], s[58:59]
	s_xor_b64 s[40:41], exec, s[40:41]
	s_cbranch_execz .LBB8_347
; %bb.333:                              ;   in Loop: Header=BB8_303 Depth=3
	s_and_saveexec_b64 s[42:43], s[16:17]
	s_cbranch_execz .LBB8_346
; %bb.334:                              ;   in Loop: Header=BB8_303 Depth=3
	s_mov_b64 s[92:93], exec
	v_mbcnt_lo_u32_b32 v1, s92, 0
	v_mbcnt_hi_u32_b32 v1, s93, v1
	v_cmp_eq_u32_e32 vcc, 0, v1
	s_waitcnt vmcnt(0) lgkmcnt(0)
	buffer_wbinvl1_vol
	s_and_saveexec_b64 s[90:91], vcc
	s_cbranch_execz .LBB8_336
; %bb.335:                              ;   in Loop: Header=BB8_303 Depth=3
	s_bcnt1_i32_b64 s46, s[92:93]
	v_mov_b32_e32 v3, s46
	v_mov_b32_e32 v4, v2
	ds_add_u64 v0, v[3:4]
	s_trap 2
.LBB8_336:                              ;   in Loop: Header=BB8_303 Depth=3
	s_or_b64 exec, exec, s[90:91]
	s_trap 2
	ds_read_b64 v[3:4], v0
	s_waitcnt lgkmcnt(0)
	buffer_load_dword v5, off, s[0:3], s33 offset:132 ; 4-byte Folded Reload
	buffer_load_dword v6, off, s[0:3], s33 offset:136 ; 4-byte Folded Reload
	s_waitcnt vmcnt(1)
	v_add_co_u32_e32 v5, vcc, v5, v52
	s_waitcnt vmcnt(0)
	v_addc_co_u32_e32 v6, vcc, 0, v6, vcc
	buffer_store_dword v5, off, s[0:3], s33 offset:132 ; 4-byte Folded Spill
	s_nop 0
	buffer_store_dword v6, off, s[0:3], s33 offset:136 ; 4-byte Folded Spill
	v_cmp_lt_u64_e32 vcc, v[3:4], v[5:6]
	s_and_saveexec_b64 s[90:91], vcc
	s_cbranch_execz .LBB8_345
; %bb.337:                              ;   in Loop: Header=BB8_303 Depth=3
	s_mov_b32 s46, 0
	s_mov_b64 s[92:93], 0
                                        ; implicit-def: $sgpr94_sgpr95
                                        ; implicit-def: $sgpr30_sgpr31
	s_branch .LBB8_339
.LBB8_338:                              ;   in Loop: Header=BB8_339 Depth=4
	s_or_b64 exec, exec, s[36:37]
	s_and_b64 vcc, exec, vcc
	s_or_b64 s[92:93], vcc, s[92:93]
	s_andn2_b64 s[94:95], s[94:95], exec
	s_and_b64 vcc, s[30:31], exec
	s_or_b64 s[94:95], s[94:95], vcc
	s_andn2_b64 exec, exec, s[92:93]
	s_cbranch_execz .LBB8_343
.LBB8_339:                              ;   Parent Loop BB8_47 Depth=1
                                        ;     Parent Loop BB8_300 Depth=2
                                        ;       Parent Loop BB8_303 Depth=3
                                        ; =>      This Inner Loop Header: Depth=4
	s_add_i32 s46, s46, 1
	s_cmpk_lg_i32 s46, 0x2710
	s_cselect_b64 s[34:35], -1, 0
	s_and_b64 vcc, exec, s[34:35]
	s_cbranch_vccz .LBB8_341
; %bb.340:                              ;   in Loop: Header=BB8_339 Depth=4
	s_mov_b64 vcc, -1
	s_or_b64 s[30:31], s[30:31], exec
	s_and_saveexec_b64 s[36:37], s[34:35]
	s_cbranch_execz .LBB8_338
	s_branch .LBB8_342
.LBB8_341:                              ;   in Loop: Header=BB8_339 Depth=4
	s_trap 2
	ds_read_b64 v[3:4], v0
	s_andn2_b64 s[34:35], s[34:35], exec
	s_mov_b32 s46, 0
	s_waitcnt vmcnt(0) lgkmcnt(0)
	flat_load_dword v1, v[3:4] glc
	s_waitcnt vmcnt(0) lgkmcnt(0)
	buffer_wbinvl1_vol
	v_cmp_eq_u32_e32 vcc, 0, v1
	s_and_b64 vcc, vcc, exec
	s_or_b64 s[34:35], s[34:35], vcc
	s_mov_b64 vcc, -1
	s_or_b64 s[30:31], s[30:31], exec
	s_and_saveexec_b64 s[36:37], s[34:35]
	s_cbranch_execz .LBB8_338
.LBB8_342:                              ;   in Loop: Header=BB8_339 Depth=4
	s_sleep 1
	s_trap 2
	ds_read_b64 v[3:4], v0
	s_waitcnt lgkmcnt(0)
	buffer_load_dword v5, off, s[0:3], s33 offset:132 ; 4-byte Folded Reload
	buffer_load_dword v6, off, s[0:3], s33 offset:136 ; 4-byte Folded Reload
	s_andn2_b64 s[30:31], s[30:31], exec
	s_waitcnt vmcnt(0)
	v_cmp_ge_u64_e32 vcc, v[3:4], v[5:6]
	s_orn2_b64 vcc, vcc, exec
	s_branch .LBB8_338
.LBB8_343:                              ;   in Loop: Header=BB8_303 Depth=3
	s_or_b64 exec, exec, s[92:93]
	s_and_saveexec_b64 s[46:47], s[94:95]
	s_xor_b64 s[46:47], exec, s[46:47]
	s_cbranch_execz .LBB8_345
; %bb.344:                              ;   in Loop: Header=BB8_303 Depth=3
	v_mov_b32_e32 v1, 1
	ds_write_b32 v0, v1
	s_trap 2
.LBB8_345:                              ;   in Loop: Header=BB8_303 Depth=3
	s_or_b64 exec, exec, s[90:91]
	;;#ASMSTART
	s_wakeup
	;;#ASMEND
.LBB8_346:                              ;   in Loop: Header=BB8_303 Depth=3
	s_or_b64 exec, exec, s[42:43]
.LBB8_347:                              ;   in Loop: Header=BB8_303 Depth=3
	s_andn2_saveexec_b64 s[40:41], s[40:41]
	s_cbranch_execz .LBB8_349
; %bb.348:                              ;   in Loop: Header=BB8_303 Depth=3
	s_waitcnt vmcnt(0) lgkmcnt(0)
	buffer_wbinvl1_vol
	s_barrier
.LBB8_349:                              ;   in Loop: Header=BB8_303 Depth=3
	s_or_b64 exec, exec, s[40:41]
.LBB8_350:                              ;   in Loop: Header=BB8_303 Depth=3
	s_or_b64 exec, exec, s[28:29]
	s_trap 2
	ds_read_b32 v1, v0
	v_and_b32_e32 v3, 0x4000, v56
	v_cmp_ne_u32_e32 vcc, 0, v3
	s_xor_b64 s[28:29], s[6:7], -1
	s_and_b64 s[40:41], s[28:29], vcc
	s_and_saveexec_b64 s[28:29], s[40:41]
	s_cbranch_execz .LBB8_369
; %bb.351:                              ;   in Loop: Header=BB8_303 Depth=3
	s_and_saveexec_b64 s[40:41], s[58:59]
	s_xor_b64 s[40:41], exec, s[40:41]
	s_cbranch_execz .LBB8_366
; %bb.352:                              ;   in Loop: Header=BB8_303 Depth=3
	s_and_saveexec_b64 s[42:43], s[16:17]
	s_cbranch_execz .LBB8_365
; %bb.353:                              ;   in Loop: Header=BB8_303 Depth=3
	s_mov_b64 s[92:93], exec
	v_mbcnt_lo_u32_b32 v3, s92, 0
	v_mbcnt_hi_u32_b32 v3, s93, v3
	v_cmp_eq_u32_e32 vcc, 0, v3
	s_waitcnt vmcnt(0) lgkmcnt(0)
	buffer_wbinvl1_vol
	s_and_saveexec_b64 s[90:91], vcc
	s_cbranch_execz .LBB8_355
; %bb.354:                              ;   in Loop: Header=BB8_303 Depth=3
	s_bcnt1_i32_b64 s46, s[92:93]
	v_mov_b32_e32 v3, s46
	v_mov_b32_e32 v4, v2
	ds_add_u64 v0, v[3:4]
	s_trap 2
.LBB8_355:                              ;   in Loop: Header=BB8_303 Depth=3
	s_or_b64 exec, exec, s[90:91]
	s_trap 2
	ds_read_b64 v[3:4], v0
	s_waitcnt lgkmcnt(0)
	buffer_load_dword v5, off, s[0:3], s33 offset:132 ; 4-byte Folded Reload
	buffer_load_dword v6, off, s[0:3], s33 offset:136 ; 4-byte Folded Reload
	s_waitcnt vmcnt(1)
	v_add_co_u32_e32 v5, vcc, v5, v52
	s_waitcnt vmcnt(0)
	v_addc_co_u32_e32 v6, vcc, 0, v6, vcc
	buffer_store_dword v5, off, s[0:3], s33 offset:132 ; 4-byte Folded Spill
	s_nop 0
	buffer_store_dword v6, off, s[0:3], s33 offset:136 ; 4-byte Folded Spill
	v_cmp_lt_u64_e32 vcc, v[3:4], v[5:6]
	s_and_saveexec_b64 s[90:91], vcc
	s_cbranch_execz .LBB8_364
; %bb.356:                              ;   in Loop: Header=BB8_303 Depth=3
	s_mov_b32 s46, 0
	s_mov_b64 s[92:93], 0
                                        ; implicit-def: $sgpr94_sgpr95
                                        ; implicit-def: $sgpr30_sgpr31
	s_branch .LBB8_358
.LBB8_357:                              ;   in Loop: Header=BB8_358 Depth=4
	s_or_b64 exec, exec, s[36:37]
	s_and_b64 vcc, exec, vcc
	s_or_b64 s[92:93], vcc, s[92:93]
	s_andn2_b64 s[94:95], s[94:95], exec
	s_and_b64 vcc, s[30:31], exec
	s_or_b64 s[94:95], s[94:95], vcc
	s_andn2_b64 exec, exec, s[92:93]
	s_cbranch_execz .LBB8_362
.LBB8_358:                              ;   Parent Loop BB8_47 Depth=1
                                        ;     Parent Loop BB8_300 Depth=2
                                        ;       Parent Loop BB8_303 Depth=3
                                        ; =>      This Inner Loop Header: Depth=4
	s_add_i32 s46, s46, 1
	s_cmpk_lg_i32 s46, 0x2710
	s_cselect_b64 s[34:35], -1, 0
	s_and_b64 vcc, exec, s[34:35]
	s_cbranch_vccz .LBB8_360
; %bb.359:                              ;   in Loop: Header=BB8_358 Depth=4
	s_mov_b64 vcc, -1
	s_or_b64 s[30:31], s[30:31], exec
	s_and_saveexec_b64 s[36:37], s[34:35]
	s_cbranch_execz .LBB8_357
	s_branch .LBB8_361
.LBB8_360:                              ;   in Loop: Header=BB8_358 Depth=4
	s_trap 2
	ds_read_b64 v[3:4], v0
	s_andn2_b64 s[34:35], s[34:35], exec
	s_mov_b32 s46, 0
	s_waitcnt vmcnt(0) lgkmcnt(0)
	flat_load_dword v3, v[3:4] glc
	s_waitcnt vmcnt(0) lgkmcnt(0)
	buffer_wbinvl1_vol
	v_cmp_eq_u32_e32 vcc, 0, v3
	s_and_b64 vcc, vcc, exec
	s_or_b64 s[34:35], s[34:35], vcc
	s_mov_b64 vcc, -1
	s_or_b64 s[30:31], s[30:31], exec
	s_and_saveexec_b64 s[36:37], s[34:35]
	s_cbranch_execz .LBB8_357
.LBB8_361:                              ;   in Loop: Header=BB8_358 Depth=4
	s_sleep 1
	s_trap 2
	ds_read_b64 v[3:4], v0
	s_waitcnt lgkmcnt(0)
	buffer_load_dword v5, off, s[0:3], s33 offset:132 ; 4-byte Folded Reload
	buffer_load_dword v6, off, s[0:3], s33 offset:136 ; 4-byte Folded Reload
	s_andn2_b64 s[30:31], s[30:31], exec
	s_waitcnt vmcnt(0)
	v_cmp_ge_u64_e32 vcc, v[3:4], v[5:6]
	s_orn2_b64 vcc, vcc, exec
	s_branch .LBB8_357
.LBB8_362:                              ;   in Loop: Header=BB8_303 Depth=3
	s_or_b64 exec, exec, s[92:93]
	s_and_saveexec_b64 s[46:47], s[94:95]
	s_xor_b64 s[46:47], exec, s[46:47]
	s_cbranch_execz .LBB8_364
; %bb.363:                              ;   in Loop: Header=BB8_303 Depth=3
	v_mov_b32_e32 v3, 1
	ds_write_b32 v0, v3
	s_trap 2
.LBB8_364:                              ;   in Loop: Header=BB8_303 Depth=3
	s_or_b64 exec, exec, s[90:91]
	;;#ASMSTART
	s_wakeup
	;;#ASMEND
.LBB8_365:                              ;   in Loop: Header=BB8_303 Depth=3
	s_or_b64 exec, exec, s[42:43]
.LBB8_366:                              ;   in Loop: Header=BB8_303 Depth=3
	s_andn2_saveexec_b64 s[40:41], s[40:41]
	s_cbranch_execz .LBB8_368
; %bb.367:                              ;   in Loop: Header=BB8_303 Depth=3
	s_waitcnt vmcnt(0) lgkmcnt(0)
	buffer_wbinvl1_vol
	s_barrier
.LBB8_368:                              ;   in Loop: Header=BB8_303 Depth=3
	s_or_b64 exec, exec, s[40:41]
.LBB8_369:                              ;   in Loop: Header=BB8_303 Depth=3
	s_or_b64 exec, exec, s[28:29]
	s_trap 2
	ds_read_b64 v[3:4], v0
	s_waitcnt lgkmcnt(0)
	v_cmp_eq_u64_e32 vcc, 0, v[3:4]
	s_cbranch_vccnz .LBB8_377
; %bb.370:                              ;   in Loop: Header=BB8_303 Depth=3
	s_trap 2
	ds_read_b64 v[35:36], v0
	s_waitcnt lgkmcnt(0)
	v_cmp_eq_u64_e32 vcc, 0, v[35:36]
	s_cbranch_vccnz .LBB8_377
; %bb.371:                              ;   in Loop: Header=BB8_303 Depth=3
	buffer_store_dword v3, off, s[0:3], s33 offset:244 ; 4-byte Folded Spill
	s_nop 0
	buffer_store_dword v4, off, s[0:3], s33 offset:248 ; 4-byte Folded Spill
	s_trap 2
	ds_read_b64 v[3:4], v0
	s_mov_b64 s[40:41], -1
	s_waitcnt lgkmcnt(0)
	v_readfirstlane_b32 s47, v3
	s_and_saveexec_b64 s[28:29], s[22:23]
	s_cbranch_execz .LBB8_373
; %bb.372:                              ;   in Loop: Header=BB8_303 Depth=3
	ds_read_b32 v3, v0 offset:720
	s_waitcnt lgkmcnt(0)
	v_and_b32_e32 v3, 15, v3
	v_cmp_eq_u32_e32 vcc, 0, v3
	s_orn2_b64 s[40:41], vcc, exec
.LBB8_373:                              ;   in Loop: Header=BB8_303 Depth=3
	s_or_b64 exec, exec, s[28:29]
	s_and_saveexec_b64 s[28:29], s[20:21]
	s_cbranch_execz .LBB8_375
; %bb.374:                              ;   in Loop: Header=BB8_303 Depth=3
	ds_read_b32 v3, v0 offset:784
	s_waitcnt lgkmcnt(0)
	v_and_b32_e32 v3, 15, v3
	v_cmp_eq_u32_e32 vcc, 0, v3
	s_and_b64 s[42:43], s[40:41], vcc
	s_andn2_b64 s[40:41], s[40:41], exec
	s_and_b64 s[42:43], s[42:43], exec
	s_or_b64 s[40:41], s[40:41], s[42:43]
.LBB8_375:                              ;   in Loop: Header=BB8_303 Depth=3
	s_or_b64 exec, exec, s[28:29]
	s_xor_b64 s[40:41], s[40:41], -1
	v_cmp_eq_u32_e64 s[28:29], 0, v1
	v_cndmask_b32_e64 v1, 0, 1, s[40:41]
	s_mov_b64 s[42:43], -1
	v_cmp_ne_u32_e32 vcc, 0, v1
	s_cbranch_vccz .LBB8_382
; %bb.376:                              ;   in Loop: Header=BB8_303 Depth=3
	s_and_b32 s46, s47, 1
	s_mov_b64 s[42:43], 0
	s_mov_b64 s[90:91], -1
	s_branch .LBB8_383
.LBB8_377:                              ;   in Loop: Header=BB8_303 Depth=3
	s_mov_b64 s[28:29], 0
	s_and_saveexec_b64 s[40:41], s[10:11]
	s_cbranch_execnz .LBB8_835
.LBB8_378:                              ;   in Loop: Header=BB8_303 Depth=3
	s_or_b64 exec, exec, s[40:41]
                                        ; implicit-def: $vgpr1
	s_and_saveexec_b64 s[40:41], s[24:25]
	s_xor_b64 s[40:41], exec, s[40:41]
	s_cbranch_execz .LBB8_853
.LBB8_379:                              ;   in Loop: Header=BB8_303 Depth=3
	v_and_b32_e32 v3, 16, v56
	v_cmp_ne_u32_e32 vcc, 0, v3
	s_waitcnt vmcnt(0)
	v_and_b32_e32 v1, 16, v56
	s_and_b64 s[42:43], vcc, s[28:29]
	s_and_saveexec_b64 s[28:29], s[42:43]
	s_cbranch_execz .LBB8_381
; %bb.380:                              ;   in Loop: Header=BB8_303 Depth=3
	v_mov_b32_e32 v1, 1
	s_waitcnt lgkmcnt(0)
	buffer_wbinvl1_vol
.LBB8_381:                              ;   in Loop: Header=BB8_303 Depth=3
	s_or_b64 exec, exec, s[28:29]
	s_andn2_saveexec_b64 s[28:29], s[40:41]
	s_cbranch_execz .LBB8_872
	s_branch .LBB8_854
.LBB8_382:                              ;   in Loop: Header=BB8_303 Depth=3
	s_mov_b64 s[90:91], 0
                                        ; implicit-def: $sgpr46
.LBB8_383:                              ;   in Loop: Header=BB8_303 Depth=3
	v_cndmask_b32_e64 v32, 0, v58, s[28:29]
	v_lshlrev_b32_e32 v37, 1, v32
	s_andn2_b64 vcc, exec, s[42:43]
	v_mov_b32_e32 v12, 0
	s_cbranch_vccnz .LBB8_519
; %bb.384:                              ;   in Loop: Header=BB8_303 Depth=3
	v_ashrrev_i32_e32 v1, 31, v37
	v_lshrrev_b32_e32 v1, 21, v1
	v_add_u32_e32 v1, v37, v1
	v_ashrrev_i32_e32 v24, 11, v1
	buffer_load_dword v1, off, s[0:3], s33 offset:272 ; 4-byte Folded Reload
	s_and_b32 s46, s47, 1
	s_mov_b64 s[28:29], 0
                                        ; implicit-def: $vgpr20_vgpr21
                                        ; implicit-def: $vgpr12_vgpr13
                                        ; implicit-def: $vgpr16_vgpr17
                                        ; implicit-def: $vgpr8_vgpr9
	s_waitcnt vmcnt(0)
	v_sub_u32_e32 v5, v24, v1
	buffer_load_dword v1, off, s[0:3], s33 offset:264 ; 4-byte Folded Reload
	s_waitcnt vmcnt(0)
	v_add_co_u32_e32 v6, vcc, v35, v1
	v_addc_co_u32_e32 v7, vcc, 0, v36, vcc
	v_cmp_lt_i32_e32 vcc, 0, v5
	s_and_saveexec_b64 s[40:41], vcc
	s_cbranch_execz .LBB8_521
; %bb.385:                              ;   in Loop: Header=BB8_303 Depth=3
	buffer_store_dword v24, off, s[0:3], s33 offset:312 ; 4-byte Folded Spill
	buffer_store_dword v37, off, s[0:3], s33 offset:304 ; 4-byte Folded Spill
	;; [unrolled: 1-line block ×3, first 2 shown]
	s_nop 0
	buffer_store_dword v36, off, s[0:3], s33 offset:300 ; 4-byte Folded Spill
	buffer_store_dword v32, off, s[0:3], s33 offset:292 ; 4-byte Folded Spill
	s_trap 2
	ds_read_b64 v[3:4], v0
	buffer_load_dword v1, off, s[0:3], s33 offset:264 ; 4-byte Folded Reload
	buffer_load_dword v8, off, s[0:3], s33 offset:244 ; 4-byte Folded Reload
	;; [unrolled: 1-line block ×3, first 2 shown]
	s_and_b32 s28, 0xffff, s46
	s_cmp_eq_u32 s28, 0
	s_mov_b64 s[94:95], 0
	s_mov_b64 s[42:43], 0
	s_cselect_b64 s[28:29], -1, 0
                                        ; implicit-def: $sgpr92_sgpr93
                                        ; implicit-def: $vgpr20_vgpr21
                                        ; implicit-def: $vgpr12_vgpr13
                                        ; implicit-def: $vgpr16_vgpr17
	s_waitcnt vmcnt(1)
	v_add_co_u32_e32 v42, vcc, v8, v1
	s_waitcnt vmcnt(0)
	v_addc_co_u32_e32 v43, vcc, 0, v9, vcc
	s_waitcnt lgkmcnt(0)
	v_add_co_u32_e32 v28, vcc, v3, v1
	v_addc_co_u32_e32 v29, vcc, 0, v4, vcc
                                        ; implicit-def: $vgpr8_vgpr9
	s_branch .LBB8_387
.LBB8_386:                              ;   in Loop: Header=BB8_387 Depth=4
	s_or_b64 exec, exec, s[30:31]
	v_lshrrev_b32_e32 v1, 16, v1
	v_and_or_b32 v36, v36, s56, v1
	v_lshrrev_b32_e32 v1, 16, v3
	v_and_or_b32 v38, v38, s56, v1
	;; [unrolled: 2-line block ×4, first 2 shown]
	v_lshrrev_b32_e32 v1, 16, v49
	v_lshrrev_b32_e32 v4, 16, v4
	v_and_or_b32 v24, v24, s56, v1
	v_lshrrev_b32_e32 v1, 16, v33
	v_and_or_b32 v37, v37, s56, v4
	v_and_or_b32 v26, v26, s56, v1
	v_lshrrev_b32_e32 v1, 16, v34
	v_and_or_b32 v27, v27, s56, v1
	global_store_dwordx4 v[6:7], v[36:39], off glc slc
	global_store_dwordx4 v[6:7], v[24:27], off offset:1024 glc slc
	buffer_load_dword v24, off, s[0:3], s33 offset:160 ; 4-byte Folded Reload
	s_nop 0
	buffer_load_dword v25, off, s[0:3], s33 offset:164 ; 4-byte Folded Reload
	v_mov_b32_e32 v27, 0x800
	buffer_load_dword v26, off, s[0:3], s33 offset:140 ; 4-byte Folded Reload
	s_waitcnt vmcnt(2)
	v_add_co_u32_e32 v1, vcc, v42, v24
	s_waitcnt vmcnt(1)
	v_addc_co_u32_e32 v3, vcc, v43, v25, vcc
	v_add_co_u32_e32 v4, vcc, v28, v24
	v_addc_co_u32_e32 v24, vcc, v29, v25, vcc
	buffer_load_dword v25, off, s[0:3], s33 offset:144 ; 4-byte Folded Reload
	v_cndmask_b32_e64 v42, v42, v1, s[94:95]
	v_cndmask_b32_e64 v1, 0, v52, s[94:95]
	v_sub_u32_e32 v5, v5, v1
	v_cndmask_b32_e64 v43, v43, v3, s[94:95]
	v_cndmask_b32_e64 v29, v29, v24, s[94:95]
	;; [unrolled: 1-line block ×3, first 2 shown]
	s_waitcnt vmcnt(1)
	v_cndmask_b32_e64 v26, v27, v26, s[94:95]
	v_add_co_u32_e32 v6, vcc, v6, v26
	s_waitcnt vmcnt(0)
	v_cndmask_b32_e64 v25, 0, v25, s[94:95]
	v_addc_co_u32_e32 v7, vcc, v7, v25, vcc
	v_cmp_gt_i32_e32 vcc, 1, v5
	s_or_b64 s[42:43], vcc, s[42:43]
	s_andn2_b64 s[92:93], s[92:93], exec
	s_and_b64 vcc, s[94:95], exec
	s_or_b64 s[92:93], s[92:93], vcc
	s_andn2_b64 exec, exec, s[42:43]
	s_cbranch_execz .LBB8_520
.LBB8_387:                              ;   Parent Loop BB8_47 Depth=1
                                        ;     Parent Loop BB8_300 Depth=2
                                        ;       Parent Loop BB8_303 Depth=3
                                        ; =>      This Inner Loop Header: Depth=4
	global_load_dwordx4 v[36:39], v[42:43], off glc slc
	global_load_dwordx4 v[24:27], v[42:43], off offset:1024 glc slc
	global_load_dwordx4 v[48:51], v[28:29], off glc slc
	global_load_dwordx4 v[32:35], v[28:29], off offset:1024 glc slc
	s_and_saveexec_b64 s[30:31], s[94:95]
	s_cbranch_execz .LBB8_453
; %bb.388:                              ;   in Loop: Header=BB8_387 Depth=4
	v_lshlrev_b32_e32 v1, 16, v20
	v_lshlrev_b32_e32 v3, 16, v16
	v_max_f32_e32 v3, v3, v3
	v_max_f32_e32 v1, v1, v1
	v_min_f32_e32 v4, v1, v3
	v_max_f32_e32 v1, v1, v3
	v_cndmask_b32_e64 v3, v1, v4, s[28:29]
	v_and_b32_e32 v1, 0x7f800000, v3
	v_cmp_ne_u32_e32 vcc, s96, v1
                                        ; implicit-def: $vgpr1
	s_and_saveexec_b64 s[94:95], vcc
	s_xor_b64 s[94:95], exec, s[94:95]
; %bb.389:                              ;   in Loop: Header=BB8_387 Depth=4
	v_bfe_u32 v1, v3, 16, 1
	v_add3_u32 v1, v3, v1, s97
                                        ; implicit-def: $vgpr3
; %bb.390:                              ;   in Loop: Header=BB8_387 Depth=4
	s_andn2_saveexec_b64 s[94:95], s[94:95]
; %bb.391:                              ;   in Loop: Header=BB8_387 Depth=4
	v_or_b32_e32 v1, 0x10000, v3
	v_cmp_eq_u32_sdwa vcc, v3, v2 src0_sel:WORD_0 src1_sel:DWORD
	v_cndmask_b32_e32 v1, v1, v3, vcc
; %bb.392:                              ;   in Loop: Header=BB8_387 Depth=4
	s_or_b64 exec, exec, s[94:95]
	v_and_b32_e32 v3, 0xffff0000, v20
	v_and_b32_e32 v4, 0xffff0000, v16
	v_max_f32_e32 v4, v4, v4
	v_max_f32_e32 v3, v3, v3
	v_min_f32_e32 v20, v3, v4
	v_max_f32_e32 v3, v3, v4
	v_cndmask_b32_e64 v3, v3, v20, s[28:29]
	v_and_b32_e32 v4, 0x7f800000, v3
	v_cmp_ne_u32_e32 vcc, s96, v4
                                        ; implicit-def: $vgpr20
	s_and_saveexec_b64 s[94:95], vcc
	s_xor_b64 s[94:95], exec, s[94:95]
; %bb.393:                              ;   in Loop: Header=BB8_387 Depth=4
	v_bfe_u32 v4, v3, 16, 1
	v_add3_u32 v20, v3, v4, s97
                                        ; implicit-def: $vgpr3
; %bb.394:                              ;   in Loop: Header=BB8_387 Depth=4
	s_andn2_saveexec_b64 s[94:95], s[94:95]
; %bb.395:                              ;   in Loop: Header=BB8_387 Depth=4
	v_or_b32_e32 v4, 0x10000, v3
	v_cmp_eq_u32_sdwa vcc, v3, v2 src0_sel:WORD_0 src1_sel:DWORD
	v_cndmask_b32_e32 v20, v4, v3, vcc
; %bb.396:                              ;   in Loop: Header=BB8_387 Depth=4
	s_or_b64 exec, exec, s[94:95]
	v_lshlrev_b32_e32 v3, 16, v21
	v_lshlrev_b32_e32 v4, 16, v17
	v_max_f32_e32 v4, v4, v4
	v_max_f32_e32 v3, v3, v3
	v_min_f32_e32 v44, v3, v4
	v_max_f32_e32 v3, v3, v4
	v_cndmask_b32_e64 v3, v3, v44, s[28:29]
	v_and_b32_e32 v4, 0x7f800000, v3
	v_cmp_ne_u32_e32 vcc, s96, v4
                                        ; implicit-def: $vgpr4
	s_and_saveexec_b64 s[94:95], vcc
	s_xor_b64 s[94:95], exec, s[94:95]
; %bb.397:                              ;   in Loop: Header=BB8_387 Depth=4
	v_bfe_u32 v4, v3, 16, 1
	v_add3_u32 v4, v3, v4, s97
                                        ; implicit-def: $vgpr3
; %bb.398:                              ;   in Loop: Header=BB8_387 Depth=4
	s_andn2_saveexec_b64 s[94:95], s[94:95]
; %bb.399:                              ;   in Loop: Header=BB8_387 Depth=4
	v_or_b32_e32 v4, 0x10000, v3
	v_cmp_eq_u32_sdwa vcc, v3, v2 src0_sel:WORD_0 src1_sel:DWORD
	v_cndmask_b32_e32 v4, v4, v3, vcc
; %bb.400:                              ;   in Loop: Header=BB8_387 Depth=4
	s_or_b64 exec, exec, s[94:95]
	v_and_b32_e32 v3, 0xffff0000, v21
	v_and_b32_e32 v21, 0xffff0000, v17
	v_max_f32_e32 v21, v21, v21
	v_max_f32_e32 v3, v3, v3
	v_min_f32_e32 v44, v3, v21
	v_max_f32_e32 v3, v3, v21
	v_cndmask_b32_e64 v3, v3, v44, s[28:29]
	v_and_b32_e32 v21, 0x7f800000, v3
	v_cmp_ne_u32_e32 vcc, s96, v21
                                        ; implicit-def: $vgpr21
	s_and_saveexec_b64 s[94:95], vcc
	s_xor_b64 s[94:95], exec, s[94:95]
; %bb.401:                              ;   in Loop: Header=BB8_387 Depth=4
	v_bfe_u32 v21, v3, 16, 1
	v_add3_u32 v21, v3, v21, s97
                                        ; implicit-def: $vgpr3
; %bb.402:                              ;   in Loop: Header=BB8_387 Depth=4
	s_andn2_saveexec_b64 s[94:95], s[94:95]
; %bb.403:                              ;   in Loop: Header=BB8_387 Depth=4
	v_or_b32_e32 v21, 0x10000, v3
	v_cmp_eq_u32_sdwa vcc, v3, v2 src0_sel:WORD_0 src1_sel:DWORD
	v_cndmask_b32_e32 v21, v21, v3, vcc
; %bb.404:                              ;   in Loop: Header=BB8_387 Depth=4
	s_or_b64 exec, exec, s[94:95]
	v_lshlrev_b32_e32 v3, 16, v22
	v_lshlrev_b32_e32 v44, 16, v18
	v_max_f32_e32 v44, v44, v44
	v_max_f32_e32 v3, v3, v3
	v_min_f32_e32 v45, v3, v44
	v_max_f32_e32 v3, v3, v44
	v_cndmask_b32_e64 v44, v3, v45, s[28:29]
	v_and_b32_e32 v3, 0x7f800000, v44
	v_cmp_ne_u32_e32 vcc, s96, v3
                                        ; implicit-def: $vgpr3
	s_and_saveexec_b64 s[94:95], vcc
	s_xor_b64 s[94:95], exec, s[94:95]
; %bb.405:                              ;   in Loop: Header=BB8_387 Depth=4
	v_bfe_u32 v3, v44, 16, 1
	v_add3_u32 v3, v44, v3, s97
                                        ; implicit-def: $vgpr44
; %bb.406:                              ;   in Loop: Header=BB8_387 Depth=4
	s_andn2_saveexec_b64 s[94:95], s[94:95]
; %bb.407:                              ;   in Loop: Header=BB8_387 Depth=4
	v_or_b32_e32 v3, 0x10000, v44
	v_cmp_eq_u32_sdwa vcc, v44, v2 src0_sel:WORD_0 src1_sel:DWORD
	v_cndmask_b32_e32 v3, v3, v44, vcc
; %bb.408:                              ;   in Loop: Header=BB8_387 Depth=4
	s_or_b64 exec, exec, s[94:95]
	v_and_b32_e32 v22, 0xffff0000, v22
	v_and_b32_e32 v44, 0xffff0000, v18
	v_max_f32_e32 v44, v44, v44
	v_max_f32_e32 v22, v22, v22
	v_min_f32_e32 v45, v22, v44
	v_max_f32_e32 v22, v22, v44
	v_cndmask_b32_e64 v44, v22, v45, s[28:29]
	v_and_b32_e32 v22, 0x7f800000, v44
	v_cmp_ne_u32_e32 vcc, s96, v22
                                        ; implicit-def: $vgpr22
	s_and_saveexec_b64 s[94:95], vcc
	s_xor_b64 s[94:95], exec, s[94:95]
; %bb.409:                              ;   in Loop: Header=BB8_387 Depth=4
	v_bfe_u32 v22, v44, 16, 1
	v_add3_u32 v22, v44, v22, s97
                                        ; implicit-def: $vgpr44
; %bb.410:                              ;   in Loop: Header=BB8_387 Depth=4
	s_andn2_saveexec_b64 s[94:95], s[94:95]
; %bb.411:                              ;   in Loop: Header=BB8_387 Depth=4
	v_or_b32_e32 v22, 0x10000, v44
	v_cmp_eq_u32_sdwa vcc, v44, v2 src0_sel:WORD_0 src1_sel:DWORD
	v_cndmask_b32_e32 v22, v22, v44, vcc
; %bb.412:                              ;   in Loop: Header=BB8_387 Depth=4
	s_or_b64 exec, exec, s[94:95]
	v_lshlrev_b32_e32 v44, 16, v23
	v_lshlrev_b32_e32 v45, 16, v19
	v_max_f32_e32 v45, v45, v45
	v_max_f32_e32 v44, v44, v44
	v_min_f32_e32 v57, v44, v45
	v_max_f32_e32 v44, v44, v45
	v_cndmask_b32_e64 v44, v44, v57, s[28:29]
	v_and_b32_e32 v45, 0x7f800000, v44
	v_cmp_ne_u32_e32 vcc, s96, v45
                                        ; implicit-def: $vgpr61
	s_and_saveexec_b64 s[94:95], vcc
	s_xor_b64 s[94:95], exec, s[94:95]
; %bb.413:                              ;   in Loop: Header=BB8_387 Depth=4
	v_bfe_u32 v45, v44, 16, 1
	v_add3_u32 v61, v44, v45, s97
                                        ; implicit-def: $vgpr44
; %bb.414:                              ;   in Loop: Header=BB8_387 Depth=4
	s_andn2_saveexec_b64 s[94:95], s[94:95]
; %bb.415:                              ;   in Loop: Header=BB8_387 Depth=4
	v_or_b32_e32 v45, 0x10000, v44
	v_cmp_eq_u32_sdwa vcc, v44, v2 src0_sel:WORD_0 src1_sel:DWORD
	v_cndmask_b32_e32 v61, v45, v44, vcc
; %bb.416:                              ;   in Loop: Header=BB8_387 Depth=4
	s_or_b64 exec, exec, s[94:95]
	v_and_b32_e32 v23, 0xffff0000, v23
	v_and_b32_e32 v44, 0xffff0000, v19
	v_max_f32_e32 v44, v44, v44
	v_max_f32_e32 v23, v23, v23
	v_min_f32_e32 v45, v23, v44
	v_max_f32_e32 v23, v23, v44
	v_cndmask_b32_e64 v44, v23, v45, s[28:29]
	v_and_b32_e32 v23, 0x7f800000, v44
	v_cmp_ne_u32_e32 vcc, s96, v23
                                        ; implicit-def: $vgpr23
	s_and_saveexec_b64 s[94:95], vcc
	s_xor_b64 s[94:95], exec, s[94:95]
; %bb.417:                              ;   in Loop: Header=BB8_387 Depth=4
	v_bfe_u32 v23, v44, 16, 1
	v_add3_u32 v23, v44, v23, s97
                                        ; implicit-def: $vgpr44
; %bb.418:                              ;   in Loop: Header=BB8_387 Depth=4
	s_andn2_saveexec_b64 s[94:95], s[94:95]
; %bb.419:                              ;   in Loop: Header=BB8_387 Depth=4
	v_or_b32_e32 v23, 0x10000, v44
	v_cmp_eq_u32_sdwa vcc, v44, v2 src0_sel:WORD_0 src1_sel:DWORD
	v_cndmask_b32_e32 v23, v23, v44, vcc
; %bb.420:                              ;   in Loop: Header=BB8_387 Depth=4
	s_or_b64 exec, exec, s[94:95]
	v_lshlrev_b32_e32 v44, 16, v12
	v_lshlrev_b32_e32 v45, 16, v8
	v_max_f32_e32 v45, v45, v45
	v_max_f32_e32 v44, v44, v44
	v_min_f32_e32 v57, v44, v45
	v_max_f32_e32 v44, v44, v45
	v_cndmask_b32_e64 v45, v44, v57, s[28:29]
	v_and_b32_e32 v44, 0x7f800000, v45
	v_cmp_ne_u32_e32 vcc, s96, v44
                                        ; implicit-def: $vgpr44
	s_and_saveexec_b64 s[94:95], vcc
	s_xor_b64 s[94:95], exec, s[94:95]
; %bb.421:                              ;   in Loop: Header=BB8_387 Depth=4
	v_bfe_u32 v44, v45, 16, 1
	v_add3_u32 v44, v45, v44, s97
                                        ; implicit-def: $vgpr45
; %bb.422:                              ;   in Loop: Header=BB8_387 Depth=4
	s_andn2_saveexec_b64 s[94:95], s[94:95]
; %bb.423:                              ;   in Loop: Header=BB8_387 Depth=4
	v_or_b32_e32 v44, 0x10000, v45
	v_cmp_eq_u32_sdwa vcc, v45, v2 src0_sel:WORD_0 src1_sel:DWORD
	v_cndmask_b32_e32 v44, v44, v45, vcc
; %bb.424:                              ;   in Loop: Header=BB8_387 Depth=4
	s_or_b64 exec, exec, s[94:95]
	v_and_b32_e32 v12, 0xffff0000, v12
	v_and_b32_e32 v45, 0xffff0000, v8
	v_max_f32_e32 v45, v45, v45
	v_max_f32_e32 v12, v12, v12
	v_min_f32_e32 v57, v12, v45
	v_max_f32_e32 v12, v12, v45
	v_cndmask_b32_e64 v45, v12, v57, s[28:29]
	v_and_b32_e32 v12, 0x7f800000, v45
	v_cmp_ne_u32_e32 vcc, s96, v12
                                        ; implicit-def: $vgpr12
	s_and_saveexec_b64 s[94:95], vcc
	s_xor_b64 s[94:95], exec, s[94:95]
; %bb.425:                              ;   in Loop: Header=BB8_387 Depth=4
	v_bfe_u32 v12, v45, 16, 1
	v_add3_u32 v12, v45, v12, s97
                                        ; implicit-def: $vgpr45
; %bb.426:                              ;   in Loop: Header=BB8_387 Depth=4
	s_andn2_saveexec_b64 s[94:95], s[94:95]
; %bb.427:                              ;   in Loop: Header=BB8_387 Depth=4
	v_or_b32_e32 v12, 0x10000, v45
	v_cmp_eq_u32_sdwa vcc, v45, v2 src0_sel:WORD_0 src1_sel:DWORD
	v_cndmask_b32_e32 v12, v12, v45, vcc
; %bb.428:                              ;   in Loop: Header=BB8_387 Depth=4
	s_or_b64 exec, exec, s[94:95]
	v_lshlrev_b32_e32 v45, 16, v13
	v_lshlrev_b32_e32 v57, 16, v9
	v_max_f32_e32 v57, v57, v57
	v_max_f32_e32 v45, v45, v45
	v_min_f32_e32 v59, v45, v57
	v_max_f32_e32 v45, v45, v57
	v_cndmask_b32_e64 v59, v45, v59, s[28:29]
	v_and_b32_e32 v45, 0x7f800000, v59
	v_cmp_ne_u32_e32 vcc, s96, v45
                                        ; implicit-def: $vgpr45
	s_and_saveexec_b64 s[94:95], vcc
	s_xor_b64 s[94:95], exec, s[94:95]
; %bb.429:                              ;   in Loop: Header=BB8_387 Depth=4
	v_bfe_u32 v45, v59, 16, 1
	v_add3_u32 v45, v59, v45, s97
                                        ; implicit-def: $vgpr59
; %bb.430:                              ;   in Loop: Header=BB8_387 Depth=4
	s_andn2_saveexec_b64 s[94:95], s[94:95]
; %bb.431:                              ;   in Loop: Header=BB8_387 Depth=4
	v_or_b32_e32 v45, 0x10000, v59
	v_cmp_eq_u32_sdwa vcc, v59, v2 src0_sel:WORD_0 src1_sel:DWORD
	v_cndmask_b32_e32 v45, v45, v59, vcc
; %bb.432:                              ;   in Loop: Header=BB8_387 Depth=4
	s_or_b64 exec, exec, s[94:95]
	v_and_b32_e32 v13, 0xffff0000, v13
	v_and_b32_e32 v57, 0xffff0000, v9
	v_max_f32_e32 v57, v57, v57
	v_max_f32_e32 v13, v13, v13
	v_min_f32_e32 v59, v13, v57
	v_max_f32_e32 v13, v13, v57
	v_cndmask_b32_e64 v59, v13, v59, s[28:29]
	v_and_b32_e32 v13, 0x7f800000, v59
	v_cmp_ne_u32_e32 vcc, s96, v13
                                        ; implicit-def: $vgpr13
	s_and_saveexec_b64 s[94:95], vcc
	s_xor_b64 s[94:95], exec, s[94:95]
; %bb.433:                              ;   in Loop: Header=BB8_387 Depth=4
	v_bfe_u32 v13, v59, 16, 1
	v_add3_u32 v13, v59, v13, s97
                                        ; implicit-def: $vgpr59
; %bb.434:                              ;   in Loop: Header=BB8_387 Depth=4
	s_andn2_saveexec_b64 s[94:95], s[94:95]
; %bb.435:                              ;   in Loop: Header=BB8_387 Depth=4
	v_or_b32_e32 v13, 0x10000, v59
	v_cmp_eq_u32_sdwa vcc, v59, v2 src0_sel:WORD_0 src1_sel:DWORD
	v_cndmask_b32_e32 v13, v13, v59, vcc
; %bb.436:                              ;   in Loop: Header=BB8_387 Depth=4
	s_or_b64 exec, exec, s[94:95]
	v_lshlrev_b32_e32 v57, 16, v14
	v_lshlrev_b32_e32 v59, 16, v10
	v_max_f32_e32 v59, v59, v59
	v_max_f32_e32 v57, v57, v57
	v_min_f32_e32 v60, v57, v59
	v_max_f32_e32 v57, v57, v59
	v_cndmask_b32_e64 v60, v57, v60, s[28:29]
	v_and_b32_e32 v57, 0x7f800000, v60
	v_cmp_ne_u32_e32 vcc, s96, v57
                                        ; implicit-def: $vgpr59
	s_and_saveexec_b64 s[94:95], vcc
	s_xor_b64 s[94:95], exec, s[94:95]
; %bb.437:                              ;   in Loop: Header=BB8_387 Depth=4
	v_bfe_u32 v57, v60, 16, 1
	v_add3_u32 v59, v60, v57, s97
                                        ; implicit-def: $vgpr60
; %bb.438:                              ;   in Loop: Header=BB8_387 Depth=4
	s_andn2_saveexec_b64 s[94:95], s[94:95]
; %bb.439:                              ;   in Loop: Header=BB8_387 Depth=4
	v_or_b32_e32 v57, 0x10000, v60
	v_cmp_eq_u32_sdwa vcc, v60, v2 src0_sel:WORD_0 src1_sel:DWORD
	v_cndmask_b32_e32 v59, v57, v60, vcc
; %bb.440:                              ;   in Loop: Header=BB8_387 Depth=4
	s_or_b64 exec, exec, s[94:95]
	v_and_b32_e32 v14, 0xffff0000, v14
	v_and_b32_e32 v57, 0xffff0000, v10
	v_max_f32_e32 v57, v57, v57
	v_max_f32_e32 v14, v14, v14
	v_min_f32_e32 v60, v14, v57
	v_max_f32_e32 v14, v14, v57
	v_cndmask_b32_e64 v60, v14, v60, s[28:29]
	v_and_b32_e32 v14, 0x7f800000, v60
	v_cmp_ne_u32_e32 vcc, s96, v14
                                        ; implicit-def: $vgpr14
	s_and_saveexec_b64 s[94:95], vcc
	s_xor_b64 s[94:95], exec, s[94:95]
; %bb.441:                              ;   in Loop: Header=BB8_387 Depth=4
	v_bfe_u32 v14, v60, 16, 1
	v_add3_u32 v14, v60, v14, s97
                                        ; implicit-def: $vgpr60
; %bb.442:                              ;   in Loop: Header=BB8_387 Depth=4
	s_andn2_saveexec_b64 s[94:95], s[94:95]
; %bb.443:                              ;   in Loop: Header=BB8_387 Depth=4
	v_or_b32_e32 v14, 0x10000, v60
	v_cmp_eq_u32_sdwa vcc, v60, v2 src0_sel:WORD_0 src1_sel:DWORD
	v_cndmask_b32_e32 v14, v14, v60, vcc
; %bb.444:                              ;   in Loop: Header=BB8_387 Depth=4
	s_or_b64 exec, exec, s[94:95]
	v_lshlrev_b32_e32 v57, 16, v15
	v_lshlrev_b32_e32 v60, 16, v11
	v_max_f32_e32 v60, v60, v60
	v_max_f32_e32 v57, v57, v57
	v_min_f32_e32 v30, v57, v60
	v_max_f32_e32 v31, v57, v60
	v_cndmask_b32_e64 v57, v31, v30, s[28:29]
	v_and_b32_e32 v30, 0x7f800000, v57
	v_cmp_ne_u32_e32 vcc, s96, v30
                                        ; implicit-def: $vgpr60
	s_and_saveexec_b64 s[94:95], vcc
	s_xor_b64 s[94:95], exec, s[94:95]
; %bb.445:                              ;   in Loop: Header=BB8_387 Depth=4
	v_bfe_u32 v30, v57, 16, 1
	v_add3_u32 v60, v57, v30, s97
                                        ; implicit-def: $vgpr57
; %bb.446:                              ;   in Loop: Header=BB8_387 Depth=4
	s_andn2_saveexec_b64 s[94:95], s[94:95]
; %bb.447:                              ;   in Loop: Header=BB8_387 Depth=4
	v_or_b32_e32 v30, 0x10000, v57
	v_cmp_eq_u32_sdwa vcc, v57, v2 src0_sel:WORD_0 src1_sel:DWORD
	v_cndmask_b32_e32 v60, v30, v57, vcc
; %bb.448:                              ;   in Loop: Header=BB8_387 Depth=4
	s_or_b64 exec, exec, s[94:95]
	v_and_b32_e32 v15, 0xffff0000, v15
	v_and_b32_e32 v30, 0xffff0000, v11
	v_max_f32_e32 v30, v30, v30
	v_max_f32_e32 v15, v15, v15
	v_min_f32_e32 v31, v15, v30
	v_max_f32_e32 v15, v15, v30
	v_cndmask_b32_e64 v57, v15, v31, s[28:29]
	v_and_b32_e32 v15, 0x7f800000, v57
	v_cmp_ne_u32_e32 vcc, s96, v15
                                        ; implicit-def: $vgpr15
	s_and_saveexec_b64 s[94:95], vcc
	s_xor_b64 s[94:95], exec, s[94:95]
; %bb.449:                              ;   in Loop: Header=BB8_387 Depth=4
	v_bfe_u32 v15, v57, 16, 1
	v_add3_u32 v15, v57, v15, s97
                                        ; implicit-def: $vgpr57
; %bb.450:                              ;   in Loop: Header=BB8_387 Depth=4
	s_andn2_saveexec_b64 s[94:95], s[94:95]
; %bb.451:                              ;   in Loop: Header=BB8_387 Depth=4
	v_or_b32_e32 v15, 0x10000, v57
	v_cmp_eq_u32_sdwa vcc, v57, v2 src0_sel:WORD_0 src1_sel:DWORD
	v_cndmask_b32_e32 v15, v15, v57, vcc
; %bb.452:                              ;   in Loop: Header=BB8_387 Depth=4
	s_or_b64 exec, exec, s[94:95]
	v_lshrrev_b32_e32 v1, 16, v1
	v_and_or_b32 v20, v20, s56, v1
	v_lshrrev_b32_e32 v1, 16, v3
	v_and_or_b32 v22, v22, s56, v1
	;; [unrolled: 2-line block ×4, first 2 shown]
	v_lshrrev_b32_e32 v1, 16, v44
	v_lshrrev_b32_e32 v4, 16, v4
	v_and_or_b32 v12, v12, s56, v1
	v_lshrrev_b32_e32 v1, 16, v59
	v_and_or_b32 v21, v21, s56, v4
	v_and_or_b32 v14, v14, s56, v1
	v_lshrrev_b32_e32 v1, 16, v60
	v_and_or_b32 v15, v15, s56, v1
	global_store_dwordx4 v[6:7], v[20:23], off glc slc
	global_store_dwordx4 v[6:7], v[12:15], off offset:1024 glc slc
	buffer_load_dword v1, off, s[0:3], s33 offset:140 ; 4-byte Folded Reload
	s_waitcnt vmcnt(0)
	v_add_co_u32_e32 v6, vcc, v6, v1
	buffer_load_dword v1, off, s[0:3], s33 offset:144 ; 4-byte Folded Reload
	s_waitcnt vmcnt(0)
	v_addc_co_u32_e32 v7, vcc, v7, v1, vcc
.LBB8_453:                              ;   in Loop: Header=BB8_387 Depth=4
	s_or_b64 exec, exec, s[30:31]
	buffer_load_dword v1, off, s[0:3], s33 offset:140 ; 4-byte Folded Reload
	buffer_load_dword v3, off, s[0:3], s33 offset:144 ; 4-byte Folded Reload
	v_sub_u32_e32 v5, v5, v52
	v_cmp_lt_i32_e64 s[94:95], 0, v5
	s_waitcnt vmcnt(1)
	v_add_co_u32_e32 v42, vcc, v42, v1
	s_waitcnt vmcnt(0)
	v_addc_co_u32_e32 v43, vcc, v43, v3, vcc
	v_add_co_u32_e32 v28, vcc, v28, v1
	v_addc_co_u32_e32 v29, vcc, v29, v3, vcc
	s_and_saveexec_b64 s[30:31], s[94:95]
	s_cbranch_execz .LBB8_455
; %bb.454:                              ;   in Loop: Header=BB8_387 Depth=4
	global_load_dwordx4 v[20:23], v[42:43], off glc slc
	global_load_dwordx4 v[12:15], v[42:43], off offset:1024 glc slc
	global_load_dwordx4 v[16:19], v[28:29], off glc slc
	global_load_dwordx4 v[8:11], v[28:29], off offset:1024 glc slc
	v_add_co_u32_e32 v42, vcc, 0x800, v42
	v_addc_co_u32_e32 v43, vcc, 0, v43, vcc
	v_add_co_u32_e32 v28, vcc, 0x800, v28
	v_addc_co_u32_e32 v29, vcc, 0, v29, vcc
.LBB8_455:                              ;   in Loop: Header=BB8_387 Depth=4
	s_or_b64 exec, exec, s[30:31]
	v_lshlrev_b32_e32 v1, 16, v36
	v_lshlrev_b32_e32 v3, 16, v48
	v_max_f32_e32 v3, v3, v3
	v_max_f32_e32 v1, v1, v1
	v_min_f32_e32 v4, v1, v3
	v_max_f32_e32 v1, v1, v3
	v_cndmask_b32_e64 v3, v1, v4, s[28:29]
	v_and_b32_e32 v1, 0x7f800000, v3
	v_cmp_ne_u32_e32 vcc, s96, v1
                                        ; implicit-def: $vgpr1
	s_and_saveexec_b64 s[30:31], vcc
	s_xor_b64 vcc, exec, s[30:31]
; %bb.456:                              ;   in Loop: Header=BB8_387 Depth=4
	v_bfe_u32 v1, v3, 16, 1
	v_add3_u32 v1, v3, v1, s97
                                        ; implicit-def: $vgpr3
; %bb.457:                              ;   in Loop: Header=BB8_387 Depth=4
	s_andn2_saveexec_b64 s[30:31], vcc
; %bb.458:                              ;   in Loop: Header=BB8_387 Depth=4
	v_or_b32_e32 v1, 0x10000, v3
	v_cmp_eq_u32_sdwa vcc, v3, v2 src0_sel:WORD_0 src1_sel:DWORD
	v_cndmask_b32_e32 v1, v1, v3, vcc
; %bb.459:                              ;   in Loop: Header=BB8_387 Depth=4
	s_or_b64 exec, exec, s[30:31]
	v_and_b32_e32 v3, 0xffff0000, v36
	v_and_b32_e32 v4, 0xffff0000, v48
	v_max_f32_e32 v4, v4, v4
	v_max_f32_e32 v3, v3, v3
	v_min_f32_e32 v30, v3, v4
	v_max_f32_e32 v3, v3, v4
	v_cndmask_b32_e64 v3, v3, v30, s[28:29]
	v_and_b32_e32 v4, 0x7f800000, v3
	v_cmp_ne_u32_e32 vcc, s96, v4
                                        ; implicit-def: $vgpr36
	s_and_saveexec_b64 s[30:31], vcc
	s_xor_b64 vcc, exec, s[30:31]
; %bb.460:                              ;   in Loop: Header=BB8_387 Depth=4
	v_bfe_u32 v4, v3, 16, 1
	v_add3_u32 v36, v3, v4, s97
                                        ; implicit-def: $vgpr3
; %bb.461:                              ;   in Loop: Header=BB8_387 Depth=4
	s_andn2_saveexec_b64 s[30:31], vcc
; %bb.462:                              ;   in Loop: Header=BB8_387 Depth=4
	v_or_b32_e32 v4, 0x10000, v3
	v_cmp_eq_u32_sdwa vcc, v3, v2 src0_sel:WORD_0 src1_sel:DWORD
	v_cndmask_b32_e32 v36, v4, v3, vcc
; %bb.463:                              ;   in Loop: Header=BB8_387 Depth=4
	s_or_b64 exec, exec, s[30:31]
	v_lshlrev_b32_e32 v3, 16, v37
	v_lshlrev_b32_e32 v4, 16, v49
	v_max_f32_e32 v4, v4, v4
	v_max_f32_e32 v3, v3, v3
	v_min_f32_e32 v30, v3, v4
	v_max_f32_e32 v3, v3, v4
	v_cndmask_b32_e64 v3, v3, v30, s[28:29]
	v_and_b32_e32 v4, 0x7f800000, v3
	v_cmp_ne_u32_e32 vcc, s96, v4
                                        ; implicit-def: $vgpr4
	s_and_saveexec_b64 s[30:31], vcc
	s_xor_b64 vcc, exec, s[30:31]
; %bb.464:                              ;   in Loop: Header=BB8_387 Depth=4
	v_bfe_u32 v4, v3, 16, 1
	v_add3_u32 v4, v3, v4, s97
                                        ; implicit-def: $vgpr3
; %bb.465:                              ;   in Loop: Header=BB8_387 Depth=4
	s_andn2_saveexec_b64 s[30:31], vcc
; %bb.466:                              ;   in Loop: Header=BB8_387 Depth=4
	v_or_b32_e32 v4, 0x10000, v3
	v_cmp_eq_u32_sdwa vcc, v3, v2 src0_sel:WORD_0 src1_sel:DWORD
	v_cndmask_b32_e32 v4, v4, v3, vcc
; %bb.467:                              ;   in Loop: Header=BB8_387 Depth=4
	s_or_b64 exec, exec, s[30:31]
	v_and_b32_e32 v3, 0xffff0000, v37
	v_and_b32_e32 v30, 0xffff0000, v49
	v_max_f32_e32 v30, v30, v30
	v_max_f32_e32 v3, v3, v3
	v_min_f32_e32 v31, v3, v30
	v_max_f32_e32 v3, v3, v30
	v_cndmask_b32_e64 v3, v3, v31, s[28:29]
	v_and_b32_e32 v30, 0x7f800000, v3
	v_cmp_ne_u32_e32 vcc, s96, v30
                                        ; implicit-def: $vgpr37
	s_and_saveexec_b64 s[30:31], vcc
	s_xor_b64 vcc, exec, s[30:31]
; %bb.468:                              ;   in Loop: Header=BB8_387 Depth=4
	v_bfe_u32 v30, v3, 16, 1
	v_add3_u32 v37, v3, v30, s97
                                        ; implicit-def: $vgpr3
; %bb.469:                              ;   in Loop: Header=BB8_387 Depth=4
	s_andn2_saveexec_b64 s[30:31], vcc
; %bb.470:                              ;   in Loop: Header=BB8_387 Depth=4
	v_or_b32_e32 v30, 0x10000, v3
	v_cmp_eq_u32_sdwa vcc, v3, v2 src0_sel:WORD_0 src1_sel:DWORD
	v_cndmask_b32_e32 v37, v30, v3, vcc
; %bb.471:                              ;   in Loop: Header=BB8_387 Depth=4
	s_or_b64 exec, exec, s[30:31]
	v_lshlrev_b32_e32 v3, 16, v38
	v_lshlrev_b32_e32 v30, 16, v50
	v_max_f32_e32 v30, v30, v30
	v_max_f32_e32 v3, v3, v3
	v_min_f32_e32 v31, v3, v30
	v_max_f32_e32 v3, v3, v30
	v_cndmask_b32_e64 v48, v3, v31, s[28:29]
	v_and_b32_e32 v3, 0x7f800000, v48
	v_cmp_ne_u32_e32 vcc, s96, v3
                                        ; implicit-def: $vgpr3
	s_and_saveexec_b64 s[30:31], vcc
	s_xor_b64 vcc, exec, s[30:31]
; %bb.472:                              ;   in Loop: Header=BB8_387 Depth=4
	v_bfe_u32 v3, v48, 16, 1
	v_add3_u32 v3, v48, v3, s97
                                        ; implicit-def: $vgpr48
; %bb.473:                              ;   in Loop: Header=BB8_387 Depth=4
	s_andn2_saveexec_b64 s[30:31], vcc
; %bb.474:                              ;   in Loop: Header=BB8_387 Depth=4
	v_or_b32_e32 v3, 0x10000, v48
	v_cmp_eq_u32_sdwa vcc, v48, v2 src0_sel:WORD_0 src1_sel:DWORD
	v_cndmask_b32_e32 v3, v3, v48, vcc
; %bb.475:                              ;   in Loop: Header=BB8_387 Depth=4
	s_or_b64 exec, exec, s[30:31]
	v_and_b32_e32 v30, 0xffff0000, v38
	v_and_b32_e32 v31, 0xffff0000, v50
	v_max_f32_e32 v31, v31, v31
	v_max_f32_e32 v30, v30, v30
	v_min_f32_e32 v38, v30, v31
	v_max_f32_e32 v30, v30, v31
	v_cndmask_b32_e64 v48, v30, v38, s[28:29]
	v_and_b32_e32 v30, 0x7f800000, v48
	v_cmp_ne_u32_e32 vcc, s96, v30
                                        ; implicit-def: $vgpr38
	s_and_saveexec_b64 s[30:31], vcc
	s_xor_b64 vcc, exec, s[30:31]
; %bb.476:                              ;   in Loop: Header=BB8_387 Depth=4
	v_bfe_u32 v30, v48, 16, 1
	v_add3_u32 v38, v48, v30, s97
                                        ; implicit-def: $vgpr48
; %bb.477:                              ;   in Loop: Header=BB8_387 Depth=4
	s_andn2_saveexec_b64 s[30:31], vcc
; %bb.478:                              ;   in Loop: Header=BB8_387 Depth=4
	v_or_b32_e32 v30, 0x10000, v48
	v_cmp_eq_u32_sdwa vcc, v48, v2 src0_sel:WORD_0 src1_sel:DWORD
	v_cndmask_b32_e32 v38, v30, v48, vcc
; %bb.479:                              ;   in Loop: Header=BB8_387 Depth=4
	s_or_b64 exec, exec, s[30:31]
	v_lshlrev_b32_e32 v30, 16, v39
	v_lshlrev_b32_e32 v31, 16, v51
	v_max_f32_e32 v31, v31, v31
	v_max_f32_e32 v30, v30, v30
	v_min_f32_e32 v48, v30, v31
	v_max_f32_e32 v30, v30, v31
	v_cndmask_b32_e64 v49, v30, v48, s[28:29]
	v_and_b32_e32 v30, 0x7f800000, v49
	v_cmp_ne_u32_e32 vcc, s96, v30
                                        ; implicit-def: $vgpr48
	s_and_saveexec_b64 s[30:31], vcc
	s_xor_b64 vcc, exec, s[30:31]
; %bb.480:                              ;   in Loop: Header=BB8_387 Depth=4
	v_bfe_u32 v30, v49, 16, 1
	v_add3_u32 v48, v49, v30, s97
                                        ; implicit-def: $vgpr49
; %bb.481:                              ;   in Loop: Header=BB8_387 Depth=4
	s_andn2_saveexec_b64 s[30:31], vcc
; %bb.482:                              ;   in Loop: Header=BB8_387 Depth=4
	v_or_b32_e32 v30, 0x10000, v49
	v_cmp_eq_u32_sdwa vcc, v49, v2 src0_sel:WORD_0 src1_sel:DWORD
	v_cndmask_b32_e32 v48, v30, v49, vcc
; %bb.483:                              ;   in Loop: Header=BB8_387 Depth=4
	s_or_b64 exec, exec, s[30:31]
	v_and_b32_e32 v30, 0xffff0000, v39
	v_and_b32_e32 v31, 0xffff0000, v51
	v_max_f32_e32 v31, v31, v31
	v_max_f32_e32 v30, v30, v30
	v_min_f32_e32 v39, v30, v31
	v_max_f32_e32 v30, v30, v31
	v_cndmask_b32_e64 v49, v30, v39, s[28:29]
	v_and_b32_e32 v30, 0x7f800000, v49
	v_cmp_ne_u32_e32 vcc, s96, v30
                                        ; implicit-def: $vgpr39
	s_and_saveexec_b64 s[30:31], vcc
	s_xor_b64 vcc, exec, s[30:31]
; %bb.484:                              ;   in Loop: Header=BB8_387 Depth=4
	v_bfe_u32 v30, v49, 16, 1
	v_add3_u32 v39, v49, v30, s97
                                        ; implicit-def: $vgpr49
; %bb.485:                              ;   in Loop: Header=BB8_387 Depth=4
	s_andn2_saveexec_b64 s[30:31], vcc
; %bb.486:                              ;   in Loop: Header=BB8_387 Depth=4
	v_or_b32_e32 v30, 0x10000, v49
	v_cmp_eq_u32_sdwa vcc, v49, v2 src0_sel:WORD_0 src1_sel:DWORD
	v_cndmask_b32_e32 v39, v30, v49, vcc
; %bb.487:                              ;   in Loop: Header=BB8_387 Depth=4
	s_or_b64 exec, exec, s[30:31]
	v_lshlrev_b32_e32 v30, 16, v24
	v_lshlrev_b32_e32 v31, 16, v32
	v_max_f32_e32 v31, v31, v31
	v_max_f32_e32 v30, v30, v30
	v_min_f32_e32 v49, v30, v31
	v_max_f32_e32 v30, v30, v31
	v_cndmask_b32_e64 v50, v30, v49, s[28:29]
	v_and_b32_e32 v30, 0x7f800000, v50
	v_cmp_ne_u32_e32 vcc, s96, v30
                                        ; implicit-def: $vgpr49
	s_and_saveexec_b64 s[30:31], vcc
	s_xor_b64 vcc, exec, s[30:31]
; %bb.488:                              ;   in Loop: Header=BB8_387 Depth=4
	v_bfe_u32 v30, v50, 16, 1
	v_add3_u32 v49, v50, v30, s97
                                        ; implicit-def: $vgpr50
; %bb.489:                              ;   in Loop: Header=BB8_387 Depth=4
	s_andn2_saveexec_b64 s[30:31], vcc
; %bb.490:                              ;   in Loop: Header=BB8_387 Depth=4
	v_or_b32_e32 v30, 0x10000, v50
	v_cmp_eq_u32_sdwa vcc, v50, v2 src0_sel:WORD_0 src1_sel:DWORD
	v_cndmask_b32_e32 v49, v30, v50, vcc
; %bb.491:                              ;   in Loop: Header=BB8_387 Depth=4
	s_or_b64 exec, exec, s[30:31]
	v_and_b32_e32 v24, 0xffff0000, v24
	v_and_b32_e32 v30, 0xffff0000, v32
	v_max_f32_e32 v30, v30, v30
	v_max_f32_e32 v24, v24, v24
	v_min_f32_e32 v31, v24, v30
	v_max_f32_e32 v24, v24, v30
	v_cndmask_b32_e64 v32, v24, v31, s[28:29]
	v_and_b32_e32 v24, 0x7f800000, v32
	v_cmp_ne_u32_e32 vcc, s96, v24
                                        ; implicit-def: $vgpr24
	s_and_saveexec_b64 s[30:31], vcc
	s_xor_b64 vcc, exec, s[30:31]
; %bb.492:                              ;   in Loop: Header=BB8_387 Depth=4
	v_bfe_u32 v24, v32, 16, 1
	v_add3_u32 v24, v32, v24, s97
                                        ; implicit-def: $vgpr32
; %bb.493:                              ;   in Loop: Header=BB8_387 Depth=4
	s_andn2_saveexec_b64 s[30:31], vcc
; %bb.494:                              ;   in Loop: Header=BB8_387 Depth=4
	v_or_b32_e32 v24, 0x10000, v32
	v_cmp_eq_u32_sdwa vcc, v32, v2 src0_sel:WORD_0 src1_sel:DWORD
	v_cndmask_b32_e32 v24, v24, v32, vcc
; %bb.495:                              ;   in Loop: Header=BB8_387 Depth=4
	s_or_b64 exec, exec, s[30:31]
	v_lshlrev_b32_e32 v30, 16, v25
	v_lshlrev_b32_e32 v31, 16, v33
	v_max_f32_e32 v31, v31, v31
	v_max_f32_e32 v30, v30, v30
	v_min_f32_e32 v32, v30, v31
	v_max_f32_e32 v30, v30, v31
	v_cndmask_b32_e64 v50, v30, v32, s[28:29]
	v_and_b32_e32 v30, 0x7f800000, v50
	v_cmp_ne_u32_e32 vcc, s96, v30
                                        ; implicit-def: $vgpr32
	s_and_saveexec_b64 s[30:31], vcc
	s_xor_b64 vcc, exec, s[30:31]
; %bb.496:                              ;   in Loop: Header=BB8_387 Depth=4
	v_bfe_u32 v30, v50, 16, 1
	v_add3_u32 v32, v50, v30, s97
                                        ; implicit-def: $vgpr50
; %bb.497:                              ;   in Loop: Header=BB8_387 Depth=4
	s_andn2_saveexec_b64 s[30:31], vcc
; %bb.498:                              ;   in Loop: Header=BB8_387 Depth=4
	v_or_b32_e32 v30, 0x10000, v50
	v_cmp_eq_u32_sdwa vcc, v50, v2 src0_sel:WORD_0 src1_sel:DWORD
	v_cndmask_b32_e32 v32, v30, v50, vcc
; %bb.499:                              ;   in Loop: Header=BB8_387 Depth=4
	s_or_b64 exec, exec, s[30:31]
	v_and_b32_e32 v25, 0xffff0000, v25
	v_and_b32_e32 v30, 0xffff0000, v33
	v_max_f32_e32 v30, v30, v30
	v_max_f32_e32 v25, v25, v25
	v_min_f32_e32 v31, v25, v30
	v_max_f32_e32 v25, v25, v30
	v_cndmask_b32_e64 v33, v25, v31, s[28:29]
	v_and_b32_e32 v25, 0x7f800000, v33
	v_cmp_ne_u32_e32 vcc, s96, v25
                                        ; implicit-def: $vgpr25
	s_and_saveexec_b64 s[30:31], vcc
	s_xor_b64 vcc, exec, s[30:31]
; %bb.500:                              ;   in Loop: Header=BB8_387 Depth=4
	v_bfe_u32 v25, v33, 16, 1
	v_add3_u32 v25, v33, v25, s97
                                        ; implicit-def: $vgpr33
; %bb.501:                              ;   in Loop: Header=BB8_387 Depth=4
	s_andn2_saveexec_b64 s[30:31], vcc
; %bb.502:                              ;   in Loop: Header=BB8_387 Depth=4
	v_or_b32_e32 v25, 0x10000, v33
	v_cmp_eq_u32_sdwa vcc, v33, v2 src0_sel:WORD_0 src1_sel:DWORD
	v_cndmask_b32_e32 v25, v25, v33, vcc
; %bb.503:                              ;   in Loop: Header=BB8_387 Depth=4
	s_or_b64 exec, exec, s[30:31]
	v_lshlrev_b32_e32 v30, 16, v26
	v_lshlrev_b32_e32 v31, 16, v34
	v_max_f32_e32 v31, v31, v31
	v_max_f32_e32 v30, v30, v30
	v_min_f32_e32 v33, v30, v31
	v_max_f32_e32 v30, v30, v31
	v_cndmask_b32_e64 v50, v30, v33, s[28:29]
	v_and_b32_e32 v30, 0x7f800000, v50
	v_cmp_ne_u32_e32 vcc, s96, v30
                                        ; implicit-def: $vgpr33
	s_and_saveexec_b64 s[30:31], vcc
	s_xor_b64 vcc, exec, s[30:31]
; %bb.504:                              ;   in Loop: Header=BB8_387 Depth=4
	v_bfe_u32 v30, v50, 16, 1
	v_add3_u32 v33, v50, v30, s97
                                        ; implicit-def: $vgpr50
; %bb.505:                              ;   in Loop: Header=BB8_387 Depth=4
	s_andn2_saveexec_b64 s[30:31], vcc
; %bb.506:                              ;   in Loop: Header=BB8_387 Depth=4
	v_or_b32_e32 v30, 0x10000, v50
	v_cmp_eq_u32_sdwa vcc, v50, v2 src0_sel:WORD_0 src1_sel:DWORD
	v_cndmask_b32_e32 v33, v30, v50, vcc
; %bb.507:                              ;   in Loop: Header=BB8_387 Depth=4
	s_or_b64 exec, exec, s[30:31]
	v_and_b32_e32 v26, 0xffff0000, v26
	v_and_b32_e32 v30, 0xffff0000, v34
	v_max_f32_e32 v30, v30, v30
	v_max_f32_e32 v26, v26, v26
	v_min_f32_e32 v31, v26, v30
	v_max_f32_e32 v26, v26, v30
	v_cndmask_b32_e64 v34, v26, v31, s[28:29]
	v_and_b32_e32 v26, 0x7f800000, v34
	v_cmp_ne_u32_e32 vcc, s96, v26
                                        ; implicit-def: $vgpr26
	s_and_saveexec_b64 s[30:31], vcc
	s_xor_b64 vcc, exec, s[30:31]
; %bb.508:                              ;   in Loop: Header=BB8_387 Depth=4
	v_bfe_u32 v26, v34, 16, 1
	v_add3_u32 v26, v34, v26, s97
                                        ; implicit-def: $vgpr34
; %bb.509:                              ;   in Loop: Header=BB8_387 Depth=4
	s_andn2_saveexec_b64 s[30:31], vcc
; %bb.510:                              ;   in Loop: Header=BB8_387 Depth=4
	v_or_b32_e32 v26, 0x10000, v34
	v_cmp_eq_u32_sdwa vcc, v34, v2 src0_sel:WORD_0 src1_sel:DWORD
	v_cndmask_b32_e32 v26, v26, v34, vcc
; %bb.511:                              ;   in Loop: Header=BB8_387 Depth=4
	s_or_b64 exec, exec, s[30:31]
	v_lshlrev_b32_e32 v30, 16, v27
	v_lshlrev_b32_e32 v31, 16, v35
	v_max_f32_e32 v31, v31, v31
	v_max_f32_e32 v30, v30, v30
	v_min_f32_e32 v34, v30, v31
	v_max_f32_e32 v30, v30, v31
	v_cndmask_b32_e64 v50, v30, v34, s[28:29]
	v_and_b32_e32 v30, 0x7f800000, v50
	v_cmp_ne_u32_e32 vcc, s96, v30
                                        ; implicit-def: $vgpr34
	s_and_saveexec_b64 s[30:31], vcc
	s_xor_b64 vcc, exec, s[30:31]
; %bb.512:                              ;   in Loop: Header=BB8_387 Depth=4
	v_bfe_u32 v30, v50, 16, 1
	v_add3_u32 v34, v50, v30, s97
                                        ; implicit-def: $vgpr50
; %bb.513:                              ;   in Loop: Header=BB8_387 Depth=4
	s_andn2_saveexec_b64 s[30:31], vcc
; %bb.514:                              ;   in Loop: Header=BB8_387 Depth=4
	v_or_b32_e32 v30, 0x10000, v50
	v_cmp_eq_u32_sdwa vcc, v50, v2 src0_sel:WORD_0 src1_sel:DWORD
	v_cndmask_b32_e32 v34, v30, v50, vcc
; %bb.515:                              ;   in Loop: Header=BB8_387 Depth=4
	s_or_b64 exec, exec, s[30:31]
	v_and_b32_e32 v27, 0xffff0000, v27
	v_and_b32_e32 v30, 0xffff0000, v35
	v_max_f32_e32 v30, v30, v30
	v_max_f32_e32 v27, v27, v27
	v_min_f32_e32 v31, v27, v30
	v_max_f32_e32 v27, v27, v30
	v_cndmask_b32_e64 v35, v27, v31, s[28:29]
	v_and_b32_e32 v27, 0x7f800000, v35
	v_cmp_ne_u32_e32 vcc, s96, v27
                                        ; implicit-def: $vgpr27
	s_and_saveexec_b64 s[30:31], vcc
	s_xor_b64 vcc, exec, s[30:31]
; %bb.516:                              ;   in Loop: Header=BB8_387 Depth=4
	v_bfe_u32 v27, v35, 16, 1
	v_add3_u32 v27, v35, v27, s97
                                        ; implicit-def: $vgpr35
; %bb.517:                              ;   in Loop: Header=BB8_387 Depth=4
	s_andn2_saveexec_b64 s[30:31], vcc
	s_cbranch_execz .LBB8_386
; %bb.518:                              ;   in Loop: Header=BB8_387 Depth=4
	v_or_b32_e32 v27, 0x10000, v35
	v_cmp_eq_u32_sdwa vcc, v35, v2 src0_sel:WORD_0 src1_sel:DWORD
	v_cndmask_b32_e32 v27, v27, v35, vcc
	s_branch .LBB8_386
.LBB8_519:                              ;   in Loop: Header=BB8_303 Depth=3
	buffer_load_dword v1, off, s[0:3], s33 offset:268 ; 4-byte Folded Reload
	buffer_load_dword v57, off, s[0:3], s33 offset:252 ; 4-byte Folded Reload
	s_and_saveexec_b64 s[42:43], s[90:91]
	s_cbranch_execnz .LBB8_703
	s_branch .LBB8_834
.LBB8_520:                              ;   in Loop: Header=BB8_303 Depth=3
	s_or_b64 exec, exec, s[42:43]
	buffer_load_dword v27, off, s[0:3], s33 offset:276 ; 4-byte Folded Reload
	buffer_load_dword v30, off, s[0:3], s33 offset:284 ; 4-byte Folded Reload
	;; [unrolled: 1-line block ×8, first 2 shown]
	s_and_b64 s[28:29], s[92:93], exec
.LBB8_521:                              ;   in Loop: Header=BB8_303 Depth=3
	s_or_b64 exec, exec, s[40:41]
	s_and_saveexec_b64 s[40:41], s[28:29]
	s_cbranch_execz .LBB8_587
; %bb.522:                              ;   in Loop: Header=BB8_303 Depth=3
	s_and_b32 s28, 0xffff, s46
	v_lshlrev_b32_e32 v1, 16, v20
	v_lshlrev_b32_e32 v3, 16, v16
	s_cmp_eq_u32 s28, 0
	v_max_f32_e32 v3, v3, v3
	v_max_f32_e32 v1, v1, v1
	v_min_f32_e32 v4, v1, v3
	v_max_f32_e32 v1, v1, v3
	s_cselect_b64 vcc, -1, 0
	v_cndmask_b32_e32 v3, v1, v4, vcc
	v_and_b32_e32 v1, 0x7f800000, v3
	v_cmp_ne_u32_e64 s[28:29], s96, v1
                                        ; implicit-def: $vgpr1
	s_and_saveexec_b64 s[42:43], s[28:29]
	s_xor_b64 s[28:29], exec, s[42:43]
; %bb.523:                              ;   in Loop: Header=BB8_303 Depth=3
	v_bfe_u32 v1, v3, 16, 1
	v_add3_u32 v1, v3, v1, s97
                                        ; implicit-def: $vgpr3
; %bb.524:                              ;   in Loop: Header=BB8_303 Depth=3
	s_andn2_saveexec_b64 s[42:43], s[28:29]
; %bb.525:                              ;   in Loop: Header=BB8_303 Depth=3
	v_or_b32_e32 v1, 0x10000, v3
	v_cmp_eq_u32_sdwa s[28:29], v3, v2 src0_sel:WORD_0 src1_sel:DWORD
	v_cndmask_b32_e64 v1, v1, v3, s[28:29]
; %bb.526:                              ;   in Loop: Header=BB8_303 Depth=3
	s_or_b64 exec, exec, s[42:43]
	v_and_b32_e32 v3, 0xffff0000, v20
	v_and_b32_e32 v4, 0xffff0000, v16
	v_max_f32_e32 v4, v4, v4
	v_max_f32_e32 v3, v3, v3
	v_min_f32_e32 v16, v3, v4
	v_max_f32_e32 v3, v3, v4
	v_cndmask_b32_e32 v3, v3, v16, vcc
	v_and_b32_e32 v4, 0x7f800000, v3
	v_cmp_ne_u32_e64 s[28:29], s96, v4
                                        ; implicit-def: $vgpr16
	s_and_saveexec_b64 s[42:43], s[28:29]
	s_xor_b64 s[28:29], exec, s[42:43]
; %bb.527:                              ;   in Loop: Header=BB8_303 Depth=3
	v_bfe_u32 v4, v3, 16, 1
	v_add3_u32 v16, v3, v4, s97
                                        ; implicit-def: $vgpr3
; %bb.528:                              ;   in Loop: Header=BB8_303 Depth=3
	s_andn2_saveexec_b64 s[42:43], s[28:29]
; %bb.529:                              ;   in Loop: Header=BB8_303 Depth=3
	v_or_b32_e32 v4, 0x10000, v3
	v_cmp_eq_u32_sdwa s[28:29], v3, v2 src0_sel:WORD_0 src1_sel:DWORD
	v_cndmask_b32_e64 v16, v4, v3, s[28:29]
; %bb.530:                              ;   in Loop: Header=BB8_303 Depth=3
	s_or_b64 exec, exec, s[42:43]
	v_lshlrev_b32_e32 v3, 16, v21
	v_lshlrev_b32_e32 v4, 16, v17
	v_max_f32_e32 v4, v4, v4
	v_max_f32_e32 v3, v3, v3
	v_min_f32_e32 v20, v3, v4
	v_max_f32_e32 v3, v3, v4
	v_cndmask_b32_e32 v3, v3, v20, vcc
	v_and_b32_e32 v4, 0x7f800000, v3
	v_cmp_ne_u32_e64 s[28:29], s96, v4
                                        ; implicit-def: $vgpr4
	s_and_saveexec_b64 s[42:43], s[28:29]
	s_xor_b64 s[28:29], exec, s[42:43]
; %bb.531:                              ;   in Loop: Header=BB8_303 Depth=3
	v_bfe_u32 v4, v3, 16, 1
	v_add3_u32 v4, v3, v4, s97
                                        ; implicit-def: $vgpr3
; %bb.532:                              ;   in Loop: Header=BB8_303 Depth=3
	s_andn2_saveexec_b64 s[42:43], s[28:29]
; %bb.533:                              ;   in Loop: Header=BB8_303 Depth=3
	v_or_b32_e32 v4, 0x10000, v3
	v_cmp_eq_u32_sdwa s[28:29], v3, v2 src0_sel:WORD_0 src1_sel:DWORD
	v_cndmask_b32_e64 v4, v4, v3, s[28:29]
; %bb.534:                              ;   in Loop: Header=BB8_303 Depth=3
	s_or_b64 exec, exec, s[42:43]
	v_and_b32_e32 v3, 0xffff0000, v21
	v_and_b32_e32 v17, 0xffff0000, v17
	v_max_f32_e32 v17, v17, v17
	v_max_f32_e32 v3, v3, v3
	v_min_f32_e32 v20, v3, v17
	v_max_f32_e32 v3, v3, v17
	v_cndmask_b32_e32 v3, v3, v20, vcc
	v_and_b32_e32 v17, 0x7f800000, v3
	v_cmp_ne_u32_e64 s[28:29], s96, v17
                                        ; implicit-def: $vgpr17
	s_and_saveexec_b64 s[42:43], s[28:29]
	s_xor_b64 s[28:29], exec, s[42:43]
; %bb.535:                              ;   in Loop: Header=BB8_303 Depth=3
	v_bfe_u32 v17, v3, 16, 1
	v_add3_u32 v17, v3, v17, s97
                                        ; implicit-def: $vgpr3
; %bb.536:                              ;   in Loop: Header=BB8_303 Depth=3
	s_andn2_saveexec_b64 s[42:43], s[28:29]
; %bb.537:                              ;   in Loop: Header=BB8_303 Depth=3
	v_or_b32_e32 v17, 0x10000, v3
	v_cmp_eq_u32_sdwa s[28:29], v3, v2 src0_sel:WORD_0 src1_sel:DWORD
	v_cndmask_b32_e64 v17, v17, v3, s[28:29]
; %bb.538:                              ;   in Loop: Header=BB8_303 Depth=3
	s_or_b64 exec, exec, s[42:43]
	v_lshlrev_b32_e32 v3, 16, v22
	v_lshlrev_b32_e32 v20, 16, v18
	v_max_f32_e32 v20, v20, v20
	v_max_f32_e32 v3, v3, v3
	v_min_f32_e32 v21, v3, v20
	v_max_f32_e32 v3, v3, v20
	v_cndmask_b32_e32 v20, v3, v21, vcc
	v_and_b32_e32 v3, 0x7f800000, v20
	v_cmp_ne_u32_e64 s[28:29], s96, v3
                                        ; implicit-def: $vgpr3
	s_and_saveexec_b64 s[42:43], s[28:29]
	s_xor_b64 s[28:29], exec, s[42:43]
; %bb.539:                              ;   in Loop: Header=BB8_303 Depth=3
	v_bfe_u32 v3, v20, 16, 1
	v_add3_u32 v3, v20, v3, s97
                                        ; implicit-def: $vgpr20
; %bb.540:                              ;   in Loop: Header=BB8_303 Depth=3
	s_andn2_saveexec_b64 s[42:43], s[28:29]
; %bb.541:                              ;   in Loop: Header=BB8_303 Depth=3
	v_or_b32_e32 v3, 0x10000, v20
	v_cmp_eq_u32_sdwa s[28:29], v20, v2 src0_sel:WORD_0 src1_sel:DWORD
	v_cndmask_b32_e64 v3, v3, v20, s[28:29]
; %bb.542:                              ;   in Loop: Header=BB8_303 Depth=3
	s_or_b64 exec, exec, s[42:43]
	v_and_b32_e32 v20, 0xffff0000, v22
	v_and_b32_e32 v18, 0xffff0000, v18
	v_max_f32_e32 v18, v18, v18
	v_max_f32_e32 v20, v20, v20
	v_min_f32_e32 v21, v20, v18
	v_max_f32_e32 v18, v20, v18
	v_cndmask_b32_e32 v20, v18, v21, vcc
	v_and_b32_e32 v18, 0x7f800000, v20
	v_cmp_ne_u32_e64 s[28:29], s96, v18
                                        ; implicit-def: $vgpr18
	s_and_saveexec_b64 s[42:43], s[28:29]
	s_xor_b64 s[28:29], exec, s[42:43]
; %bb.543:                              ;   in Loop: Header=BB8_303 Depth=3
	v_bfe_u32 v18, v20, 16, 1
	v_add3_u32 v18, v20, v18, s97
                                        ; implicit-def: $vgpr20
; %bb.544:                              ;   in Loop: Header=BB8_303 Depth=3
	s_andn2_saveexec_b64 s[42:43], s[28:29]
; %bb.545:                              ;   in Loop: Header=BB8_303 Depth=3
	v_or_b32_e32 v18, 0x10000, v20
	v_cmp_eq_u32_sdwa s[28:29], v20, v2 src0_sel:WORD_0 src1_sel:DWORD
	v_cndmask_b32_e64 v18, v18, v20, s[28:29]
; %bb.546:                              ;   in Loop: Header=BB8_303 Depth=3
	s_or_b64 exec, exec, s[42:43]
	v_lshlrev_b32_e32 v20, 16, v23
	v_lshlrev_b32_e32 v21, 16, v19
	v_max_f32_e32 v21, v21, v21
	v_max_f32_e32 v20, v20, v20
	v_min_f32_e32 v22, v20, v21
	v_max_f32_e32 v20, v20, v21
	v_cndmask_b32_e32 v21, v20, v22, vcc
	v_and_b32_e32 v20, 0x7f800000, v21
	v_cmp_ne_u32_e64 s[28:29], s96, v20
                                        ; implicit-def: $vgpr20
	s_and_saveexec_b64 s[42:43], s[28:29]
	s_xor_b64 s[28:29], exec, s[42:43]
; %bb.547:                              ;   in Loop: Header=BB8_303 Depth=3
	v_bfe_u32 v20, v21, 16, 1
	v_add3_u32 v20, v21, v20, s97
                                        ; implicit-def: $vgpr21
; %bb.548:                              ;   in Loop: Header=BB8_303 Depth=3
	s_andn2_saveexec_b64 s[42:43], s[28:29]
; %bb.549:                              ;   in Loop: Header=BB8_303 Depth=3
	v_or_b32_e32 v20, 0x10000, v21
	v_cmp_eq_u32_sdwa s[28:29], v21, v2 src0_sel:WORD_0 src1_sel:DWORD
	v_cndmask_b32_e64 v20, v20, v21, s[28:29]
; %bb.550:                              ;   in Loop: Header=BB8_303 Depth=3
	s_or_b64 exec, exec, s[42:43]
	v_and_b32_e32 v21, 0xffff0000, v23
	v_and_b32_e32 v19, 0xffff0000, v19
	v_max_f32_e32 v19, v19, v19
	v_max_f32_e32 v21, v21, v21
	v_min_f32_e32 v22, v21, v19
	v_max_f32_e32 v19, v21, v19
	v_cndmask_b32_e32 v21, v19, v22, vcc
	v_and_b32_e32 v19, 0x7f800000, v21
	v_cmp_ne_u32_e64 s[28:29], s96, v19
                                        ; implicit-def: $vgpr19
	s_and_saveexec_b64 s[42:43], s[28:29]
	s_xor_b64 s[28:29], exec, s[42:43]
; %bb.551:                              ;   in Loop: Header=BB8_303 Depth=3
	v_bfe_u32 v19, v21, 16, 1
	v_add3_u32 v19, v21, v19, s97
                                        ; implicit-def: $vgpr21
; %bb.552:                              ;   in Loop: Header=BB8_303 Depth=3
	s_andn2_saveexec_b64 s[42:43], s[28:29]
; %bb.553:                              ;   in Loop: Header=BB8_303 Depth=3
	v_or_b32_e32 v19, 0x10000, v21
	v_cmp_eq_u32_sdwa s[28:29], v21, v2 src0_sel:WORD_0 src1_sel:DWORD
	v_cndmask_b32_e64 v19, v19, v21, s[28:29]
; %bb.554:                              ;   in Loop: Header=BB8_303 Depth=3
	s_or_b64 exec, exec, s[42:43]
	v_lshlrev_b32_e32 v21, 16, v12
	v_lshlrev_b32_e32 v22, 16, v8
	v_max_f32_e32 v22, v22, v22
	v_max_f32_e32 v21, v21, v21
	v_min_f32_e32 v23, v21, v22
	v_max_f32_e32 v21, v21, v22
	v_cndmask_b32_e32 v22, v21, v23, vcc
	v_and_b32_e32 v21, 0x7f800000, v22
	v_cmp_ne_u32_e64 s[28:29], s96, v21
                                        ; implicit-def: $vgpr21
	s_and_saveexec_b64 s[42:43], s[28:29]
	s_xor_b64 s[28:29], exec, s[42:43]
; %bb.555:                              ;   in Loop: Header=BB8_303 Depth=3
	v_bfe_u32 v21, v22, 16, 1
	v_add3_u32 v21, v22, v21, s97
                                        ; implicit-def: $vgpr22
; %bb.556:                              ;   in Loop: Header=BB8_303 Depth=3
	s_andn2_saveexec_b64 s[42:43], s[28:29]
; %bb.557:                              ;   in Loop: Header=BB8_303 Depth=3
	v_or_b32_e32 v21, 0x10000, v22
	v_cmp_eq_u32_sdwa s[28:29], v22, v2 src0_sel:WORD_0 src1_sel:DWORD
	v_cndmask_b32_e64 v21, v21, v22, s[28:29]
; %bb.558:                              ;   in Loop: Header=BB8_303 Depth=3
	s_or_b64 exec, exec, s[42:43]
	v_and_b32_e32 v12, 0xffff0000, v12
	v_and_b32_e32 v8, 0xffff0000, v8
	v_max_f32_e32 v8, v8, v8
	v_max_f32_e32 v12, v12, v12
	v_min_f32_e32 v22, v12, v8
	v_max_f32_e32 v8, v12, v8
	v_cndmask_b32_e32 v12, v8, v22, vcc
	v_and_b32_e32 v8, 0x7f800000, v12
	v_cmp_ne_u32_e64 s[28:29], s96, v8
                                        ; implicit-def: $vgpr8
	s_and_saveexec_b64 s[42:43], s[28:29]
	s_xor_b64 s[28:29], exec, s[42:43]
; %bb.559:                              ;   in Loop: Header=BB8_303 Depth=3
	v_bfe_u32 v8, v12, 16, 1
	v_add3_u32 v8, v12, v8, s97
                                        ; implicit-def: $vgpr12
; %bb.560:                              ;   in Loop: Header=BB8_303 Depth=3
	s_andn2_saveexec_b64 s[42:43], s[28:29]
; %bb.561:                              ;   in Loop: Header=BB8_303 Depth=3
	v_or_b32_e32 v8, 0x10000, v12
	v_cmp_eq_u32_sdwa s[28:29], v12, v2 src0_sel:WORD_0 src1_sel:DWORD
	v_cndmask_b32_e64 v8, v8, v12, s[28:29]
; %bb.562:                              ;   in Loop: Header=BB8_303 Depth=3
	s_or_b64 exec, exec, s[42:43]
	v_lshlrev_b32_e32 v12, 16, v13
	v_lshlrev_b32_e32 v22, 16, v9
	v_max_f32_e32 v22, v22, v22
	v_max_f32_e32 v12, v12, v12
	v_min_f32_e32 v23, v12, v22
	v_max_f32_e32 v12, v12, v22
	v_cndmask_b32_e32 v22, v12, v23, vcc
	v_and_b32_e32 v12, 0x7f800000, v22
	v_cmp_ne_u32_e64 s[28:29], s96, v12
                                        ; implicit-def: $vgpr12
	s_and_saveexec_b64 s[42:43], s[28:29]
	s_xor_b64 s[28:29], exec, s[42:43]
; %bb.563:                              ;   in Loop: Header=BB8_303 Depth=3
	v_bfe_u32 v12, v22, 16, 1
	v_add3_u32 v12, v22, v12, s97
                                        ; implicit-def: $vgpr22
; %bb.564:                              ;   in Loop: Header=BB8_303 Depth=3
	s_andn2_saveexec_b64 s[42:43], s[28:29]
; %bb.565:                              ;   in Loop: Header=BB8_303 Depth=3
	v_or_b32_e32 v12, 0x10000, v22
	v_cmp_eq_u32_sdwa s[28:29], v22, v2 src0_sel:WORD_0 src1_sel:DWORD
	v_cndmask_b32_e64 v12, v12, v22, s[28:29]
; %bb.566:                              ;   in Loop: Header=BB8_303 Depth=3
	s_or_b64 exec, exec, s[42:43]
	v_and_b32_e32 v13, 0xffff0000, v13
	v_and_b32_e32 v9, 0xffff0000, v9
	v_max_f32_e32 v9, v9, v9
	v_max_f32_e32 v13, v13, v13
	v_min_f32_e32 v22, v13, v9
	v_max_f32_e32 v9, v13, v9
	v_cndmask_b32_e32 v13, v9, v22, vcc
	v_and_b32_e32 v9, 0x7f800000, v13
	v_cmp_ne_u32_e64 s[28:29], s96, v9
                                        ; implicit-def: $vgpr9
	s_and_saveexec_b64 s[42:43], s[28:29]
	s_xor_b64 s[28:29], exec, s[42:43]
; %bb.567:                              ;   in Loop: Header=BB8_303 Depth=3
	v_bfe_u32 v9, v13, 16, 1
	v_add3_u32 v9, v13, v9, s97
                                        ; implicit-def: $vgpr13
; %bb.568:                              ;   in Loop: Header=BB8_303 Depth=3
	s_andn2_saveexec_b64 s[42:43], s[28:29]
; %bb.569:                              ;   in Loop: Header=BB8_303 Depth=3
	v_or_b32_e32 v9, 0x10000, v13
	v_cmp_eq_u32_sdwa s[28:29], v13, v2 src0_sel:WORD_0 src1_sel:DWORD
	v_cndmask_b32_e64 v9, v9, v13, s[28:29]
; %bb.570:                              ;   in Loop: Header=BB8_303 Depth=3
	s_or_b64 exec, exec, s[42:43]
	v_lshlrev_b32_e32 v13, 16, v14
	v_lshlrev_b32_e32 v22, 16, v10
	v_max_f32_e32 v22, v22, v22
	v_max_f32_e32 v13, v13, v13
	v_min_f32_e32 v23, v13, v22
	v_max_f32_e32 v13, v13, v22
	v_cndmask_b32_e32 v22, v13, v23, vcc
	v_and_b32_e32 v13, 0x7f800000, v22
	v_cmp_ne_u32_e64 s[28:29], s96, v13
                                        ; implicit-def: $vgpr13
	s_and_saveexec_b64 s[42:43], s[28:29]
	s_xor_b64 s[28:29], exec, s[42:43]
; %bb.571:                              ;   in Loop: Header=BB8_303 Depth=3
	v_bfe_u32 v13, v22, 16, 1
	v_add3_u32 v13, v22, v13, s97
                                        ; implicit-def: $vgpr22
; %bb.572:                              ;   in Loop: Header=BB8_303 Depth=3
	s_andn2_saveexec_b64 s[42:43], s[28:29]
; %bb.573:                              ;   in Loop: Header=BB8_303 Depth=3
	v_or_b32_e32 v13, 0x10000, v22
	v_cmp_eq_u32_sdwa s[28:29], v22, v2 src0_sel:WORD_0 src1_sel:DWORD
	v_cndmask_b32_e64 v13, v13, v22, s[28:29]
; %bb.574:                              ;   in Loop: Header=BB8_303 Depth=3
	s_or_b64 exec, exec, s[42:43]
	v_and_b32_e32 v14, 0xffff0000, v14
	v_and_b32_e32 v10, 0xffff0000, v10
	v_max_f32_e32 v10, v10, v10
	v_max_f32_e32 v14, v14, v14
	v_min_f32_e32 v22, v14, v10
	v_max_f32_e32 v10, v14, v10
	v_cndmask_b32_e32 v14, v10, v22, vcc
	v_and_b32_e32 v10, 0x7f800000, v14
	v_cmp_ne_u32_e64 s[28:29], s96, v10
                                        ; implicit-def: $vgpr10
	s_and_saveexec_b64 s[42:43], s[28:29]
	s_xor_b64 s[28:29], exec, s[42:43]
; %bb.575:                              ;   in Loop: Header=BB8_303 Depth=3
	v_bfe_u32 v10, v14, 16, 1
	v_add3_u32 v10, v14, v10, s97
                                        ; implicit-def: $vgpr14
; %bb.576:                              ;   in Loop: Header=BB8_303 Depth=3
	s_andn2_saveexec_b64 s[42:43], s[28:29]
; %bb.577:                              ;   in Loop: Header=BB8_303 Depth=3
	v_or_b32_e32 v10, 0x10000, v14
	v_cmp_eq_u32_sdwa s[28:29], v14, v2 src0_sel:WORD_0 src1_sel:DWORD
	v_cndmask_b32_e64 v10, v10, v14, s[28:29]
; %bb.578:                              ;   in Loop: Header=BB8_303 Depth=3
	s_or_b64 exec, exec, s[42:43]
	v_lshlrev_b32_e32 v14, 16, v15
	v_lshlrev_b32_e32 v22, 16, v11
	v_max_f32_e32 v22, v22, v22
	v_max_f32_e32 v14, v14, v14
	v_min_f32_e32 v23, v14, v22
	v_max_f32_e32 v14, v14, v22
	v_cndmask_b32_e32 v22, v14, v23, vcc
	v_and_b32_e32 v14, 0x7f800000, v22
	v_cmp_ne_u32_e64 s[28:29], s96, v14
                                        ; implicit-def: $vgpr14
	s_and_saveexec_b64 s[42:43], s[28:29]
	s_xor_b64 s[28:29], exec, s[42:43]
; %bb.579:                              ;   in Loop: Header=BB8_303 Depth=3
	v_bfe_u32 v14, v22, 16, 1
	v_add3_u32 v14, v22, v14, s97
                                        ; implicit-def: $vgpr22
; %bb.580:                              ;   in Loop: Header=BB8_303 Depth=3
	s_andn2_saveexec_b64 s[42:43], s[28:29]
; %bb.581:                              ;   in Loop: Header=BB8_303 Depth=3
	v_or_b32_e32 v14, 0x10000, v22
	v_cmp_eq_u32_sdwa s[28:29], v22, v2 src0_sel:WORD_0 src1_sel:DWORD
	v_cndmask_b32_e64 v14, v14, v22, s[28:29]
; %bb.582:                              ;   in Loop: Header=BB8_303 Depth=3
	s_or_b64 exec, exec, s[42:43]
	v_and_b32_e32 v15, 0xffff0000, v15
	v_and_b32_e32 v11, 0xffff0000, v11
	v_max_f32_e32 v11, v11, v11
	v_max_f32_e32 v15, v15, v15
	v_min_f32_e32 v22, v15, v11
	v_max_f32_e32 v11, v15, v11
	v_cndmask_b32_e32 v15, v11, v22, vcc
	v_and_b32_e32 v11, 0x7f800000, v15
	v_cmp_ne_u32_e32 vcc, s96, v11
                                        ; implicit-def: $vgpr11
	s_and_saveexec_b64 s[28:29], vcc
	s_xor_b64 s[28:29], exec, s[28:29]
; %bb.583:                              ;   in Loop: Header=BB8_303 Depth=3
	v_bfe_u32 v11, v15, 16, 1
	v_add3_u32 v11, v15, v11, s97
                                        ; implicit-def: $vgpr15
; %bb.584:                              ;   in Loop: Header=BB8_303 Depth=3
	s_andn2_saveexec_b64 s[28:29], s[28:29]
; %bb.585:                              ;   in Loop: Header=BB8_303 Depth=3
	v_or_b32_e32 v11, 0x10000, v15
	v_cmp_eq_u32_sdwa vcc, v15, v2 src0_sel:WORD_0 src1_sel:DWORD
	v_cndmask_b32_e32 v11, v11, v15, vcc
; %bb.586:                              ;   in Loop: Header=BB8_303 Depth=3
	s_or_b64 exec, exec, s[28:29]
	v_lshrrev_b32_e32 v1, 16, v1
	v_and_or_b32 v16, v16, s56, v1
	v_lshrrev_b32_e32 v1, 16, v3
	v_and_or_b32 v18, v18, s56, v1
	;; [unrolled: 2-line block ×4, first 2 shown]
	v_lshrrev_b32_e32 v1, 16, v21
	v_lshrrev_b32_e32 v4, 16, v4
	v_and_or_b32 v8, v8, s56, v1
	v_lshrrev_b32_e32 v1, 16, v13
	v_and_or_b32 v17, v17, s56, v4
	v_and_or_b32 v10, v10, s56, v1
	v_lshrrev_b32_e32 v1, 16, v14
	v_and_or_b32 v11, v11, s56, v1
	global_store_dwordx4 v[6:7], v[16:19], off glc slc
	global_store_dwordx4 v[6:7], v[8:11], off offset:1024 glc slc
.LBB8_587:                              ;   in Loop: Header=BB8_303 Depth=3
	s_or_b64 exec, exec, s[40:41]
	s_waitcnt vmcnt(0)
	v_lshlrev_b32_e32 v4, 11, v24
	v_cmp_ne_u32_e32 vcc, v37, v4
                                        ; implicit-def: $vgpr12
                                        ; implicit-def: $vgpr1
                                        ; implicit-def: $vgpr57
	s_and_saveexec_b64 s[92:93], vcc
	s_cbranch_execz .LBB8_702
; %bb.588:                              ;   in Loop: Header=BB8_303 Depth=3
	v_lshlrev_b32_e32 v1, 6, v5
	buffer_load_dword v5, off, s[0:3], s33 offset:252 ; 4-byte Folded Reload
	v_sub_u32_e32 v3, v37, v4
	s_mov_b64 s[40:41], 0
	s_waitcnt vmcnt(0)
	v_sub_u32_e32 v1, v5, v1
	v_ashrrev_i32_e32 v5, 31, v1
	v_lshrrev_b32_e32 v5, 26, v5
	v_add_u32_e32 v5, v1, v5
	v_ashrrev_i32_e32 v6, 6, v5
	v_and_b32_e32 v5, 0xffffffc0, v5
	v_sub_u32_e32 v5, v1, v5
	v_lshlrev_b32_e32 v1, 4, v5
	v_lshl_add_u32 v7, v6, 10, v1
	v_add_u32_e32 v1, v7, v4
	v_sub_u32_e32 v11, v3, v7
	v_ashrrev_i32_e32 v7, 31, v3
	v_lshrrev_b32_e32 v7, 22, v7
	v_add_u32_e32 v7, v3, v7
	v_and_b32_e32 v8, 0xfffffc00, v7
	v_sub_u32_e32 v9, v3, v8
	v_ashrrev_i32_e32 v10, 10, v7
	v_cmp_lt_i32_e64 s[28:29], 15, v9
	v_addc_co_u32_e64 v7, vcc, 0, v10, s[28:29]
	v_ashrrev_i32_e32 v3, 31, v1
	v_sub_u32_e32 v10, v7, v6
	v_add_co_u32_e32 v6, vcc, v1, v35
	v_addc_co_u32_e32 v7, vcc, v3, v36, vcc
	v_cmp_lt_i32_e32 vcc, 15, v11
	s_and_saveexec_b64 s[94:95], vcc
	s_cbranch_execz .LBB8_665
; %bb.589:                              ;   in Loop: Header=BB8_303 Depth=3
	s_trap 2
	ds_read_b64 v[14:15], v0
	buffer_load_dword v12, off, s[0:3], s33 offset:244 ; 4-byte Folded Reload
	buffer_load_dword v13, off, s[0:3], s33 offset:248 ; 4-byte Folded Reload
	s_and_b32 s40, 0xffff, s46
	s_cmp_eq_u32 s40, 0
	s_mov_b64 s[36:37], 0
	s_mov_b64 s[30:31], 0
	s_cselect_b64 s[40:41], -1, 0
                                        ; implicit-def: $sgpr34_sgpr35
	s_waitcnt vmcnt(1)
	v_add_co_u32_e32 v12, vcc, v1, v12
	s_waitcnt vmcnt(0)
	v_addc_co_u32_e32 v13, vcc, v3, v13, vcc
	s_waitcnt lgkmcnt(0)
	v_add_co_u32_e32 v14, vcc, v14, v1
	v_addc_co_u32_e32 v15, vcc, v15, v3, vcc
	s_branch .LBB8_591
.LBB8_590:                              ;   in Loop: Header=BB8_591 Depth=4
	s_or_b64 exec, exec, s[42:43]
	v_cmp_gt_i32_e32 vcc, 16, v11
	s_or_b64 s[30:31], vcc, s[30:31]
	s_andn2_b64 s[42:43], s[34:35], exec
	s_and_b64 vcc, s[36:37], exec
	s_or_b64 s[34:35], s[42:43], vcc
	s_andn2_b64 exec, exec, s[30:31]
	s_cbranch_execz .LBB8_664
.LBB8_591:                              ;   Parent Loop BB8_47 Depth=1
                                        ;     Parent Loop BB8_300 Depth=2
                                        ;       Parent Loop BB8_303 Depth=3
                                        ; =>      This Loop Header: Depth=4
                                        ;           Child Loop BB8_592 Depth 5
                                        ;           Child Loop BB8_629 Depth 5
	s_lshr_b32 s47, s33, 6
	s_add_i32 s47, s47, 64
	s_mov_b64 s[38:39], -1
	s_mov_b64 s[48:49], 0
.LBB8_592:                              ;   Parent Loop BB8_47 Depth=1
                                        ;     Parent Loop BB8_300 Depth=2
                                        ;       Parent Loop BB8_303 Depth=3
                                        ;         Parent Loop BB8_591 Depth=4
                                        ; =>        This Inner Loop Header: Depth=5
	s_cmp_eq_u32 s48, 1
	s_cselect_b64 s[42:43], -1, 0
	v_cndmask_b32_e64 v21, v13, v15, s[42:43]
	v_cndmask_b32_e64 v20, v12, v14, s[42:43]
	global_load_dwordx4 v[16:19], v[20:21], off glc slc
	v_mov_b32_e32 v1, s47
	s_cmp_eq_u32 s48, 0
	s_mov_b64 s[48:49], 1
	s_mov_b32 s47, s71
	s_waitcnt vmcnt(0)
	buffer_store_dword v17, v1, s[0:3], 0 offen offset:4
	buffer_store_dword v16, v1, s[0:3], 0 offen
	buffer_store_dword v19, v1, s[0:3], 0 offen offset:12
	buffer_store_dword v18, v1, s[0:3], 0 offen offset:8
	v_add_co_u32_e32 v1, vcc, s55, v20
	v_addc_co_u32_e32 v3, vcc, 0, v21, vcc
	s_cselect_b64 vcc, -1, 0
	v_cndmask_b32_e32 v13, v13, v3, vcc
	v_cndmask_b32_e32 v12, v12, v1, vcc
	v_cndmask_b32_e64 v15, v15, v3, s[42:43]
	v_cndmask_b32_e64 v14, v14, v1, s[42:43]
	s_and_b64 vcc, exec, s[38:39]
	s_mov_b64 s[38:39], 0
	s_cbranch_vccnz .LBB8_592
; %bb.593:                              ;   in Loop: Header=BB8_591 Depth=4
	s_and_saveexec_b64 s[42:43], s[36:37]
	s_cbranch_execz .LBB8_627
; %bb.594:                              ;   in Loop: Header=BB8_591 Depth=4
	buffer_load_dword v17, off, s[0:3], s33 offset:96
	buffer_load_dword v18, off, s[0:3], s33 offset:112
	;; [unrolled: 1-line block ×8, first 2 shown]
	s_waitcnt vmcnt(7)
	v_lshlrev_b32_e32 v1, 16, v17
	s_waitcnt vmcnt(6)
	v_lshlrev_b32_e32 v23, 16, v18
	v_max_f32_e32 v23, v23, v23
	v_max_f32_e32 v1, v1, v1
	v_min_f32_e32 v24, v1, v23
	v_max_f32_e32 v1, v1, v23
	v_cndmask_b32_e64 v23, v1, v24, s[40:41]
	v_and_b32_e32 v1, 0x7f800000, v23
	v_cmp_ne_u32_e32 vcc, s96, v1
                                        ; implicit-def: $vgpr1
	s_and_saveexec_b64 s[36:37], vcc
	s_xor_b64 vcc, exec, s[36:37]
; %bb.595:                              ;   in Loop: Header=BB8_591 Depth=4
	v_bfe_u32 v1, v23, 16, 1
	v_add3_u32 v1, v23, v1, s97
                                        ; implicit-def: $vgpr23
; %bb.596:                              ;   in Loop: Header=BB8_591 Depth=4
	s_andn2_saveexec_b64 s[36:37], vcc
; %bb.597:                              ;   in Loop: Header=BB8_591 Depth=4
	v_or_b32_e32 v1, 0x10000, v23
	v_cmp_eq_u32_sdwa vcc, v23, v2 src0_sel:WORD_0 src1_sel:DWORD
	v_cndmask_b32_e32 v1, v1, v23, vcc
; %bb.598:                              ;   in Loop: Header=BB8_591 Depth=4
	s_or_b64 exec, exec, s[36:37]
	v_and_b32_e32 v17, 0xffff0000, v17
	v_and_b32_e32 v18, 0xffff0000, v18
	v_max_f32_e32 v18, v18, v18
	v_max_f32_e32 v17, v17, v17
	v_min_f32_e32 v23, v17, v18
	v_max_f32_e32 v17, v17, v18
	v_cndmask_b32_e64 v18, v17, v23, s[40:41]
	v_and_b32_e32 v17, 0x7f800000, v18
	v_cmp_ne_u32_e32 vcc, s96, v17
                                        ; implicit-def: $vgpr17
	s_and_saveexec_b64 s[36:37], vcc
	s_xor_b64 vcc, exec, s[36:37]
; %bb.599:                              ;   in Loop: Header=BB8_591 Depth=4
	v_bfe_u32 v17, v18, 16, 1
	v_add3_u32 v17, v18, v17, s97
                                        ; implicit-def: $vgpr18
; %bb.600:                              ;   in Loop: Header=BB8_591 Depth=4
	s_andn2_saveexec_b64 s[36:37], vcc
; %bb.601:                              ;   in Loop: Header=BB8_591 Depth=4
	v_or_b32_e32 v17, 0x10000, v18
	v_cmp_eq_u32_sdwa vcc, v18, v2 src0_sel:WORD_0 src1_sel:DWORD
	v_cndmask_b32_e32 v17, v17, v18, vcc
; %bb.602:                              ;   in Loop: Header=BB8_591 Depth=4
	s_or_b64 exec, exec, s[36:37]
	s_waitcnt vmcnt(5)
	v_lshlrev_b32_e32 v18, 16, v21
	s_waitcnt vmcnt(3)
	v_lshlrev_b32_e32 v23, 16, v22
	v_max_f32_e32 v23, v23, v23
	v_max_f32_e32 v18, v18, v18
	v_min_f32_e32 v24, v18, v23
	v_max_f32_e32 v18, v18, v23
	v_cndmask_b32_e64 v23, v18, v24, s[40:41]
	v_and_b32_e32 v18, 0x7f800000, v23
	v_cmp_ne_u32_e32 vcc, s96, v18
                                        ; implicit-def: $vgpr18
	s_and_saveexec_b64 s[36:37], vcc
	s_xor_b64 vcc, exec, s[36:37]
; %bb.603:                              ;   in Loop: Header=BB8_591 Depth=4
	v_bfe_u32 v18, v23, 16, 1
	v_add3_u32 v18, v23, v18, s97
                                        ; implicit-def: $vgpr23
; %bb.604:                              ;   in Loop: Header=BB8_591 Depth=4
	s_andn2_saveexec_b64 s[36:37], vcc
; %bb.605:                              ;   in Loop: Header=BB8_591 Depth=4
	v_or_b32_e32 v18, 0x10000, v23
	v_cmp_eq_u32_sdwa vcc, v23, v2 src0_sel:WORD_0 src1_sel:DWORD
	v_cndmask_b32_e32 v18, v18, v23, vcc
; %bb.606:                              ;   in Loop: Header=BB8_591 Depth=4
	s_or_b64 exec, exec, s[36:37]
	v_and_b32_e32 v21, 0xffff0000, v21
	v_and_b32_e32 v22, 0xffff0000, v22
	v_max_f32_e32 v22, v22, v22
	v_max_f32_e32 v21, v21, v21
	v_min_f32_e32 v23, v21, v22
	v_max_f32_e32 v21, v21, v22
	v_cndmask_b32_e64 v22, v21, v23, s[40:41]
	v_and_b32_e32 v21, 0x7f800000, v22
	v_cmp_ne_u32_e32 vcc, s96, v21
                                        ; implicit-def: $vgpr21
	s_and_saveexec_b64 s[36:37], vcc
	s_xor_b64 vcc, exec, s[36:37]
; %bb.607:                              ;   in Loop: Header=BB8_591 Depth=4
	v_bfe_u32 v21, v22, 16, 1
	v_add3_u32 v21, v22, v21, s97
                                        ; implicit-def: $vgpr22
; %bb.608:                              ;   in Loop: Header=BB8_591 Depth=4
	s_andn2_saveexec_b64 s[36:37], vcc
; %bb.609:                              ;   in Loop: Header=BB8_591 Depth=4
	v_or_b32_e32 v21, 0x10000, v22
	v_cmp_eq_u32_sdwa vcc, v22, v2 src0_sel:WORD_0 src1_sel:DWORD
	v_cndmask_b32_e32 v21, v21, v22, vcc
; %bb.610:                              ;   in Loop: Header=BB8_591 Depth=4
	s_or_b64 exec, exec, s[36:37]
	v_lshlrev_b32_e32 v22, 16, v19
	s_waitcnt vmcnt(2)
	v_lshlrev_b32_e32 v23, 16, v20
	v_max_f32_e32 v23, v23, v23
	v_max_f32_e32 v22, v22, v22
	v_min_f32_e32 v24, v22, v23
	v_max_f32_e32 v22, v22, v23
	v_cndmask_b32_e64 v23, v22, v24, s[40:41]
	v_and_b32_e32 v22, 0x7f800000, v23
	v_cmp_ne_u32_e32 vcc, s96, v22
                                        ; implicit-def: $vgpr22
	s_and_saveexec_b64 s[36:37], vcc
	s_xor_b64 vcc, exec, s[36:37]
; %bb.611:                              ;   in Loop: Header=BB8_591 Depth=4
	v_bfe_u32 v22, v23, 16, 1
	v_add3_u32 v22, v23, v22, s97
                                        ; implicit-def: $vgpr23
; %bb.612:                              ;   in Loop: Header=BB8_591 Depth=4
	s_andn2_saveexec_b64 s[36:37], vcc
; %bb.613:                              ;   in Loop: Header=BB8_591 Depth=4
	v_or_b32_e32 v22, 0x10000, v23
	v_cmp_eq_u32_sdwa vcc, v23, v2 src0_sel:WORD_0 src1_sel:DWORD
	v_cndmask_b32_e32 v22, v22, v23, vcc
; %bb.614:                              ;   in Loop: Header=BB8_591 Depth=4
	s_or_b64 exec, exec, s[36:37]
	v_and_b32_e32 v19, 0xffff0000, v19
	v_and_b32_e32 v20, 0xffff0000, v20
	v_max_f32_e32 v20, v20, v20
	v_max_f32_e32 v19, v19, v19
	v_min_f32_e32 v23, v19, v20
	v_max_f32_e32 v19, v19, v20
	v_cndmask_b32_e64 v20, v19, v23, s[40:41]
	v_and_b32_e32 v19, 0x7f800000, v20
	v_cmp_ne_u32_e32 vcc, s96, v19
                                        ; implicit-def: $vgpr19
	s_and_saveexec_b64 s[36:37], vcc
	s_xor_b64 vcc, exec, s[36:37]
; %bb.615:                              ;   in Loop: Header=BB8_591 Depth=4
	v_bfe_u32 v19, v20, 16, 1
	v_add3_u32 v19, v20, v19, s97
                                        ; implicit-def: $vgpr20
; %bb.616:                              ;   in Loop: Header=BB8_591 Depth=4
	s_andn2_saveexec_b64 s[36:37], vcc
; %bb.617:                              ;   in Loop: Header=BB8_591 Depth=4
	v_or_b32_e32 v19, 0x10000, v20
	v_cmp_eq_u32_sdwa vcc, v20, v2 src0_sel:WORD_0 src1_sel:DWORD
	v_cndmask_b32_e32 v19, v19, v20, vcc
; %bb.618:                              ;   in Loop: Header=BB8_591 Depth=4
	s_or_b64 exec, exec, s[36:37]
	s_waitcnt vmcnt(0)
	v_lshlrev_b32_e32 v20, 16, v16
	v_lshlrev_b32_e32 v23, 16, v3
	v_max_f32_e32 v23, v23, v23
	v_max_f32_e32 v20, v20, v20
	v_min_f32_e32 v24, v20, v23
	v_max_f32_e32 v20, v20, v23
	v_cndmask_b32_e64 v23, v20, v24, s[40:41]
	v_and_b32_e32 v20, 0x7f800000, v23
	v_cmp_ne_u32_e32 vcc, s96, v20
                                        ; implicit-def: $vgpr20
	s_and_saveexec_b64 s[36:37], vcc
	s_xor_b64 vcc, exec, s[36:37]
; %bb.619:                              ;   in Loop: Header=BB8_591 Depth=4
	v_bfe_u32 v20, v23, 16, 1
	v_add3_u32 v20, v23, v20, s97
                                        ; implicit-def: $vgpr23
; %bb.620:                              ;   in Loop: Header=BB8_591 Depth=4
	s_andn2_saveexec_b64 s[36:37], vcc
; %bb.621:                              ;   in Loop: Header=BB8_591 Depth=4
	v_or_b32_e32 v20, 0x10000, v23
	v_cmp_eq_u32_sdwa vcc, v23, v2 src0_sel:WORD_0 src1_sel:DWORD
	v_cndmask_b32_e32 v20, v20, v23, vcc
; %bb.622:                              ;   in Loop: Header=BB8_591 Depth=4
	s_or_b64 exec, exec, s[36:37]
	v_and_b32_e32 v16, 0xffff0000, v16
	v_and_b32_e32 v3, 0xffff0000, v3
	v_max_f32_e32 v3, v3, v3
	v_max_f32_e32 v16, v16, v16
	v_min_f32_e32 v23, v16, v3
	v_max_f32_e32 v3, v16, v3
	v_cndmask_b32_e64 v16, v3, v23, s[40:41]
	v_and_b32_e32 v3, 0x7f800000, v16
	v_cmp_ne_u32_e32 vcc, s96, v3
                                        ; implicit-def: $vgpr3
	s_and_saveexec_b64 s[36:37], vcc
	s_xor_b64 vcc, exec, s[36:37]
; %bb.623:                              ;   in Loop: Header=BB8_591 Depth=4
	v_bfe_u32 v3, v16, 16, 1
	v_add3_u32 v3, v16, v3, s97
                                        ; implicit-def: $vgpr16
; %bb.624:                              ;   in Loop: Header=BB8_591 Depth=4
	s_andn2_saveexec_b64 s[36:37], vcc
; %bb.625:                              ;   in Loop: Header=BB8_591 Depth=4
	v_or_b32_e32 v3, 0x10000, v16
	v_cmp_eq_u32_sdwa vcc, v16, v2 src0_sel:WORD_0 src1_sel:DWORD
	v_cndmask_b32_e32 v3, v3, v16, vcc
; %bb.626:                              ;   in Loop: Header=BB8_591 Depth=4
	s_or_b64 exec, exec, s[36:37]
	v_lshrrev_b32_e32 v1, 16, v1
	v_lshrrev_b32_e32 v16, 16, v18
	v_and_or_b32 v17, v17, s56, v1
	v_lshrrev_b32_e32 v1, 16, v22
	v_and_or_b32 v18, v21, s56, v16
	v_and_or_b32 v19, v19, s56, v1
	v_lshrrev_b32_e32 v1, 16, v20
	v_and_or_b32 v20, v3, s56, v1
	buffer_store_dword v18, off, s[0:3], s33 offset:100
	buffer_store_dword v17, off, s[0:3], s33 offset:96
	;; [unrolled: 1-line block ×4, first 2 shown]
	buffer_load_dword v1, off, s[0:3], s33 offset:128 ; 4-byte Folded Reload
	s_nop 0
	global_store_dwordx4 v[6:7], v[17:20], off glc slc
	s_waitcnt vmcnt(1)
	v_add_co_u32_e32 v6, vcc, v1, v6
	v_addc_co_u32_e32 v7, vcc, v53, v7, vcc
.LBB8_627:                              ;   in Loop: Header=BB8_591 Depth=4
	s_or_b64 exec, exec, s[42:43]
	buffer_load_dword v1, off, s[0:3], s33 offset:168 ; 4-byte Folded Reload
	v_add_co_u32_e32 v12, vcc, v12, v54
	v_addc_co_u32_e32 v13, vcc, v13, v55, vcc
	v_add_co_u32_e32 v14, vcc, v14, v54
	v_addc_co_u32_e32 v15, vcc, v15, v55, vcc
	s_waitcnt vmcnt(0)
	v_sub_u32_e32 v11, v11, v1
	v_cmp_lt_i32_e64 s[36:37], 15, v11
	s_and_saveexec_b64 s[38:39], s[36:37]
	s_cbranch_execz .LBB8_630
; %bb.628:                              ;   in Loop: Header=BB8_591 Depth=4
	s_lshr_b32 s47, s33, 6
	s_addk_i32 s47, 0x60
	s_mov_b64 s[50:51], 0
	s_mov_b64 s[48:49], -1
.LBB8_629:                              ;   Parent Loop BB8_47 Depth=1
                                        ;     Parent Loop BB8_300 Depth=2
                                        ;       Parent Loop BB8_303 Depth=3
                                        ;         Parent Loop BB8_591 Depth=4
                                        ; =>        This Inner Loop Header: Depth=5
	s_cmp_eq_u32 s50, 1
	s_cselect_b64 s[42:43], -1, 0
	v_cndmask_b32_e64 v21, v13, v15, s[42:43]
	v_cndmask_b32_e64 v20, v12, v14, s[42:43]
	global_load_dwordx4 v[16:19], v[20:21], off glc slc
	v_mov_b32_e32 v1, s47
	s_cmp_eq_u32 s50, 0
	s_mov_b64 s[50:51], 1
	s_mov_b32 s47, s70
	s_waitcnt vmcnt(0)
	buffer_store_dword v17, v1, s[0:3], 0 offen offset:4
	buffer_store_dword v16, v1, s[0:3], 0 offen
	buffer_store_dword v19, v1, s[0:3], 0 offen offset:12
	buffer_store_dword v18, v1, s[0:3], 0 offen offset:8
	v_add_co_u32_e32 v1, vcc, s55, v20
	v_addc_co_u32_e32 v3, vcc, 0, v21, vcc
	s_cselect_b64 vcc, -1, 0
	v_cndmask_b32_e32 v13, v13, v3, vcc
	v_cndmask_b32_e32 v12, v12, v1, vcc
	v_cndmask_b32_e64 v15, v15, v3, s[42:43]
	v_cndmask_b32_e64 v14, v14, v1, s[42:43]
	s_and_b64 vcc, exec, s[48:49]
	s_mov_b64 s[48:49], 0
	s_cbranch_vccnz .LBB8_629
.LBB8_630:                              ;   in Loop: Header=BB8_591 Depth=4
	s_or_b64 exec, exec, s[38:39]
	buffer_load_dword v17, off, s[0:3], s33 offset:64
	buffer_load_dword v18, off, s[0:3], s33 offset:80
	;; [unrolled: 1-line block ×8, first 2 shown]
	s_waitcnt vmcnt(7)
	v_lshlrev_b32_e32 v1, 16, v17
	s_waitcnt vmcnt(6)
	v_lshlrev_b32_e32 v23, 16, v18
	v_max_f32_e32 v23, v23, v23
	v_max_f32_e32 v1, v1, v1
	v_min_f32_e32 v24, v1, v23
	v_max_f32_e32 v1, v1, v23
	v_cndmask_b32_e64 v23, v1, v24, s[40:41]
	v_and_b32_e32 v1, 0x7f800000, v23
	v_cmp_ne_u32_e32 vcc, s96, v1
                                        ; implicit-def: $vgpr1
	s_and_saveexec_b64 s[42:43], vcc
	s_xor_b64 s[42:43], exec, s[42:43]
; %bb.631:                              ;   in Loop: Header=BB8_591 Depth=4
	v_bfe_u32 v1, v23, 16, 1
	v_add3_u32 v1, v23, v1, s97
                                        ; implicit-def: $vgpr23
; %bb.632:                              ;   in Loop: Header=BB8_591 Depth=4
	s_andn2_saveexec_b64 s[42:43], s[42:43]
; %bb.633:                              ;   in Loop: Header=BB8_591 Depth=4
	v_or_b32_e32 v1, 0x10000, v23
	v_cmp_eq_u32_sdwa vcc, v23, v2 src0_sel:WORD_0 src1_sel:DWORD
	v_cndmask_b32_e32 v1, v1, v23, vcc
; %bb.634:                              ;   in Loop: Header=BB8_591 Depth=4
	s_or_b64 exec, exec, s[42:43]
	v_and_b32_e32 v17, 0xffff0000, v17
	v_and_b32_e32 v18, 0xffff0000, v18
	v_max_f32_e32 v18, v18, v18
	v_max_f32_e32 v17, v17, v17
	v_min_f32_e32 v23, v17, v18
	v_max_f32_e32 v17, v17, v18
	v_cndmask_b32_e64 v18, v17, v23, s[40:41]
	v_and_b32_e32 v17, 0x7f800000, v18
	v_cmp_ne_u32_e32 vcc, s96, v17
                                        ; implicit-def: $vgpr17
	s_and_saveexec_b64 s[42:43], vcc
	s_xor_b64 s[42:43], exec, s[42:43]
; %bb.635:                              ;   in Loop: Header=BB8_591 Depth=4
	v_bfe_u32 v17, v18, 16, 1
	v_add3_u32 v17, v18, v17, s97
                                        ; implicit-def: $vgpr18
; %bb.636:                              ;   in Loop: Header=BB8_591 Depth=4
	s_andn2_saveexec_b64 s[42:43], s[42:43]
; %bb.637:                              ;   in Loop: Header=BB8_591 Depth=4
	v_or_b32_e32 v17, 0x10000, v18
	v_cmp_eq_u32_sdwa vcc, v18, v2 src0_sel:WORD_0 src1_sel:DWORD
	v_cndmask_b32_e32 v17, v17, v18, vcc
; %bb.638:                              ;   in Loop: Header=BB8_591 Depth=4
	s_or_b64 exec, exec, s[42:43]
	s_waitcnt vmcnt(5)
	v_lshlrev_b32_e32 v18, 16, v21
	s_waitcnt vmcnt(3)
	v_lshlrev_b32_e32 v23, 16, v22
	v_max_f32_e32 v23, v23, v23
	v_max_f32_e32 v18, v18, v18
	v_min_f32_e32 v24, v18, v23
	v_max_f32_e32 v18, v18, v23
	v_cndmask_b32_e64 v23, v18, v24, s[40:41]
	v_and_b32_e32 v18, 0x7f800000, v23
	v_cmp_ne_u32_e32 vcc, s96, v18
                                        ; implicit-def: $vgpr18
	s_and_saveexec_b64 s[42:43], vcc
	s_xor_b64 s[42:43], exec, s[42:43]
; %bb.639:                              ;   in Loop: Header=BB8_591 Depth=4
	v_bfe_u32 v18, v23, 16, 1
	v_add3_u32 v18, v23, v18, s97
                                        ; implicit-def: $vgpr23
; %bb.640:                              ;   in Loop: Header=BB8_591 Depth=4
	s_andn2_saveexec_b64 s[42:43], s[42:43]
; %bb.641:                              ;   in Loop: Header=BB8_591 Depth=4
	v_or_b32_e32 v18, 0x10000, v23
	v_cmp_eq_u32_sdwa vcc, v23, v2 src0_sel:WORD_0 src1_sel:DWORD
	v_cndmask_b32_e32 v18, v18, v23, vcc
; %bb.642:                              ;   in Loop: Header=BB8_591 Depth=4
	s_or_b64 exec, exec, s[42:43]
	v_and_b32_e32 v21, 0xffff0000, v21
	v_and_b32_e32 v22, 0xffff0000, v22
	v_max_f32_e32 v22, v22, v22
	v_max_f32_e32 v21, v21, v21
	v_min_f32_e32 v23, v21, v22
	v_max_f32_e32 v21, v21, v22
	v_cndmask_b32_e64 v22, v21, v23, s[40:41]
	v_and_b32_e32 v21, 0x7f800000, v22
	v_cmp_ne_u32_e32 vcc, s96, v21
                                        ; implicit-def: $vgpr21
	s_and_saveexec_b64 s[42:43], vcc
	s_xor_b64 s[42:43], exec, s[42:43]
; %bb.643:                              ;   in Loop: Header=BB8_591 Depth=4
	v_bfe_u32 v21, v22, 16, 1
	v_add3_u32 v21, v22, v21, s97
                                        ; implicit-def: $vgpr22
; %bb.644:                              ;   in Loop: Header=BB8_591 Depth=4
	s_andn2_saveexec_b64 s[42:43], s[42:43]
; %bb.645:                              ;   in Loop: Header=BB8_591 Depth=4
	v_or_b32_e32 v21, 0x10000, v22
	v_cmp_eq_u32_sdwa vcc, v22, v2 src0_sel:WORD_0 src1_sel:DWORD
	v_cndmask_b32_e32 v21, v21, v22, vcc
; %bb.646:                              ;   in Loop: Header=BB8_591 Depth=4
	s_or_b64 exec, exec, s[42:43]
	v_lshlrev_b32_e32 v22, 16, v19
	s_waitcnt vmcnt(2)
	v_lshlrev_b32_e32 v23, 16, v20
	v_max_f32_e32 v23, v23, v23
	v_max_f32_e32 v22, v22, v22
	v_min_f32_e32 v24, v22, v23
	v_max_f32_e32 v22, v22, v23
	v_cndmask_b32_e64 v23, v22, v24, s[40:41]
	v_and_b32_e32 v22, 0x7f800000, v23
	v_cmp_ne_u32_e32 vcc, s96, v22
                                        ; implicit-def: $vgpr22
	s_and_saveexec_b64 s[42:43], vcc
	s_xor_b64 s[42:43], exec, s[42:43]
; %bb.647:                              ;   in Loop: Header=BB8_591 Depth=4
	v_bfe_u32 v22, v23, 16, 1
	v_add3_u32 v22, v23, v22, s97
                                        ; implicit-def: $vgpr23
; %bb.648:                              ;   in Loop: Header=BB8_591 Depth=4
	s_andn2_saveexec_b64 s[42:43], s[42:43]
; %bb.649:                              ;   in Loop: Header=BB8_591 Depth=4
	v_or_b32_e32 v22, 0x10000, v23
	v_cmp_eq_u32_sdwa vcc, v23, v2 src0_sel:WORD_0 src1_sel:DWORD
	v_cndmask_b32_e32 v22, v22, v23, vcc
; %bb.650:                              ;   in Loop: Header=BB8_591 Depth=4
	s_or_b64 exec, exec, s[42:43]
	v_and_b32_e32 v19, 0xffff0000, v19
	v_and_b32_e32 v20, 0xffff0000, v20
	v_max_f32_e32 v20, v20, v20
	v_max_f32_e32 v19, v19, v19
	v_min_f32_e32 v23, v19, v20
	v_max_f32_e32 v19, v19, v20
	v_cndmask_b32_e64 v20, v19, v23, s[40:41]
	v_and_b32_e32 v19, 0x7f800000, v20
	v_cmp_ne_u32_e32 vcc, s96, v19
                                        ; implicit-def: $vgpr19
	s_and_saveexec_b64 s[42:43], vcc
	s_xor_b64 s[42:43], exec, s[42:43]
; %bb.651:                              ;   in Loop: Header=BB8_591 Depth=4
	v_bfe_u32 v19, v20, 16, 1
	v_add3_u32 v19, v20, v19, s97
                                        ; implicit-def: $vgpr20
; %bb.652:                              ;   in Loop: Header=BB8_591 Depth=4
	s_andn2_saveexec_b64 s[42:43], s[42:43]
; %bb.653:                              ;   in Loop: Header=BB8_591 Depth=4
	v_or_b32_e32 v19, 0x10000, v20
	v_cmp_eq_u32_sdwa vcc, v20, v2 src0_sel:WORD_0 src1_sel:DWORD
	v_cndmask_b32_e32 v19, v19, v20, vcc
; %bb.654:                              ;   in Loop: Header=BB8_591 Depth=4
	s_or_b64 exec, exec, s[42:43]
	s_waitcnt vmcnt(0)
	v_lshlrev_b32_e32 v20, 16, v16
	v_lshlrev_b32_e32 v23, 16, v3
	v_max_f32_e32 v23, v23, v23
	v_max_f32_e32 v20, v20, v20
	v_min_f32_e32 v24, v20, v23
	v_max_f32_e32 v20, v20, v23
	v_cndmask_b32_e64 v23, v20, v24, s[40:41]
	v_and_b32_e32 v20, 0x7f800000, v23
	v_cmp_ne_u32_e32 vcc, s96, v20
                                        ; implicit-def: $vgpr20
	s_and_saveexec_b64 s[42:43], vcc
	s_xor_b64 s[42:43], exec, s[42:43]
; %bb.655:                              ;   in Loop: Header=BB8_591 Depth=4
	v_bfe_u32 v20, v23, 16, 1
	v_add3_u32 v20, v23, v20, s97
                                        ; implicit-def: $vgpr23
; %bb.656:                              ;   in Loop: Header=BB8_591 Depth=4
	s_andn2_saveexec_b64 s[42:43], s[42:43]
; %bb.657:                              ;   in Loop: Header=BB8_591 Depth=4
	v_or_b32_e32 v20, 0x10000, v23
	v_cmp_eq_u32_sdwa vcc, v23, v2 src0_sel:WORD_0 src1_sel:DWORD
	v_cndmask_b32_e32 v20, v20, v23, vcc
; %bb.658:                              ;   in Loop: Header=BB8_591 Depth=4
	s_or_b64 exec, exec, s[42:43]
	v_and_b32_e32 v16, 0xffff0000, v16
	v_and_b32_e32 v3, 0xffff0000, v3
	v_max_f32_e32 v3, v3, v3
	v_max_f32_e32 v16, v16, v16
	v_min_f32_e32 v23, v16, v3
	v_max_f32_e32 v3, v16, v3
	v_cndmask_b32_e64 v16, v3, v23, s[40:41]
	v_and_b32_e32 v3, 0x7f800000, v16
	v_cmp_ne_u32_e32 vcc, s96, v3
                                        ; implicit-def: $vgpr3
	s_and_saveexec_b64 s[42:43], vcc
	s_xor_b64 s[42:43], exec, s[42:43]
; %bb.659:                              ;   in Loop: Header=BB8_591 Depth=4
	v_bfe_u32 v3, v16, 16, 1
	v_add3_u32 v3, v16, v3, s97
                                        ; implicit-def: $vgpr16
; %bb.660:                              ;   in Loop: Header=BB8_591 Depth=4
	s_andn2_saveexec_b64 s[42:43], s[42:43]
; %bb.661:                              ;   in Loop: Header=BB8_591 Depth=4
	v_or_b32_e32 v3, 0x10000, v16
	v_cmp_eq_u32_sdwa vcc, v16, v2 src0_sel:WORD_0 src1_sel:DWORD
	v_cndmask_b32_e32 v3, v3, v16, vcc
; %bb.662:                              ;   in Loop: Header=BB8_591 Depth=4
	s_or_b64 exec, exec, s[42:43]
	v_lshrrev_b32_e32 v1, 16, v1
	v_and_or_b32 v17, v17, s56, v1
	v_lshrrev_b32_e32 v1, 16, v22
	v_lshrrev_b32_e32 v16, 16, v18
	v_and_or_b32 v19, v19, s56, v1
	v_lshrrev_b32_e32 v1, 16, v20
	v_and_or_b32 v18, v21, s56, v16
	v_and_or_b32 v20, v3, s56, v1
	buffer_store_dword v18, off, s[0:3], s33 offset:68
	buffer_store_dword v17, off, s[0:3], s33 offset:64
	;; [unrolled: 1-line block ×4, first 2 shown]
	global_store_dwordx4 v[6:7], v[17:20], off glc slc
	v_add_co_u32_e32 v6, vcc, 0x400, v6
	v_sub_u32_e32 v10, v10, v52
	v_addc_co_u32_e32 v7, vcc, 0, v7, vcc
	s_and_saveexec_b64 s[42:43], s[36:37]
	s_cbranch_execz .LBB8_590
; %bb.663:                              ;   in Loop: Header=BB8_591 Depth=4
	buffer_load_dword v1, off, s[0:3], s33 offset:168 ; 4-byte Folded Reload
	v_add_co_u32_e32 v12, vcc, v12, v54
	v_addc_co_u32_e32 v13, vcc, v13, v55, vcc
	v_add_co_u32_e32 v14, vcc, v14, v54
	v_addc_co_u32_e32 v15, vcc, v15, v55, vcc
	;; [unrolled: 2-line block ×3, first 2 shown]
	v_sub_u32_e32 v10, v10, v52
	s_waitcnt vmcnt(0)
	v_sub_u32_e32 v11, v11, v1
	s_branch .LBB8_590
.LBB8_664:                              ;   in Loop: Header=BB8_303 Depth=3
	s_or_b64 exec, exec, s[30:31]
	s_and_b64 s[40:41], s[34:35], exec
.LBB8_665:                              ;   in Loop: Header=BB8_303 Depth=3
	s_or_b64 exec, exec, s[94:95]
	s_and_saveexec_b64 s[42:43], s[40:41]
	s_cbranch_execz .LBB8_699
; %bb.666:                              ;   in Loop: Header=BB8_303 Depth=3
	buffer_load_dword v12, off, s[0:3], s33 offset:96
	buffer_load_dword v13, off, s[0:3], s33 offset:112
	;; [unrolled: 1-line block ×8, first 2 shown]
	s_and_b32 s40, 0xffff, s46
	s_cmp_eq_u32 s40, 0
	s_cselect_b64 vcc, -1, 0
	s_waitcnt vmcnt(7)
	v_lshlrev_b32_e32 v1, 16, v12
	s_waitcnt vmcnt(6)
	v_lshlrev_b32_e32 v18, 16, v13
	v_max_f32_e32 v18, v18, v18
	v_max_f32_e32 v1, v1, v1
	v_min_f32_e32 v19, v1, v18
	v_max_f32_e32 v1, v1, v18
	v_cndmask_b32_e32 v18, v1, v19, vcc
	v_and_b32_e32 v1, 0x7f800000, v18
	v_cmp_ne_u32_e64 s[40:41], s96, v1
                                        ; implicit-def: $vgpr1
	s_and_saveexec_b64 s[94:95], s[40:41]
	s_xor_b64 s[40:41], exec, s[94:95]
; %bb.667:                              ;   in Loop: Header=BB8_303 Depth=3
	v_bfe_u32 v1, v18, 16, 1
	v_add3_u32 v1, v18, v1, s97
                                        ; implicit-def: $vgpr18
; %bb.668:                              ;   in Loop: Header=BB8_303 Depth=3
	s_andn2_saveexec_b64 s[94:95], s[40:41]
; %bb.669:                              ;   in Loop: Header=BB8_303 Depth=3
	v_or_b32_e32 v1, 0x10000, v18
	v_cmp_eq_u32_sdwa s[40:41], v18, v2 src0_sel:WORD_0 src1_sel:DWORD
	v_cndmask_b32_e64 v1, v1, v18, s[40:41]
; %bb.670:                              ;   in Loop: Header=BB8_303 Depth=3
	s_or_b64 exec, exec, s[94:95]
	v_and_b32_e32 v12, 0xffff0000, v12
	v_and_b32_e32 v13, 0xffff0000, v13
	v_max_f32_e32 v13, v13, v13
	v_max_f32_e32 v12, v12, v12
	v_min_f32_e32 v18, v12, v13
	v_max_f32_e32 v12, v12, v13
	v_cndmask_b32_e32 v13, v12, v18, vcc
	v_and_b32_e32 v12, 0x7f800000, v13
	v_cmp_ne_u32_e64 s[40:41], s96, v12
                                        ; implicit-def: $vgpr12
	s_and_saveexec_b64 s[94:95], s[40:41]
	s_xor_b64 s[40:41], exec, s[94:95]
; %bb.671:                              ;   in Loop: Header=BB8_303 Depth=3
	v_bfe_u32 v12, v13, 16, 1
	v_add3_u32 v12, v13, v12, s97
                                        ; implicit-def: $vgpr13
; %bb.672:                              ;   in Loop: Header=BB8_303 Depth=3
	s_andn2_saveexec_b64 s[94:95], s[40:41]
; %bb.673:                              ;   in Loop: Header=BB8_303 Depth=3
	v_or_b32_e32 v12, 0x10000, v13
	v_cmp_eq_u32_sdwa s[40:41], v13, v2 src0_sel:WORD_0 src1_sel:DWORD
	v_cndmask_b32_e64 v12, v12, v13, s[40:41]
; %bb.674:                              ;   in Loop: Header=BB8_303 Depth=3
	s_or_b64 exec, exec, s[94:95]
	s_waitcnt vmcnt(5)
	v_lshlrev_b32_e32 v13, 16, v16
	s_waitcnt vmcnt(3)
	v_lshlrev_b32_e32 v18, 16, v17
	v_max_f32_e32 v18, v18, v18
	v_max_f32_e32 v13, v13, v13
	v_min_f32_e32 v19, v13, v18
	v_max_f32_e32 v13, v13, v18
	v_cndmask_b32_e32 v18, v13, v19, vcc
	v_and_b32_e32 v13, 0x7f800000, v18
	v_cmp_ne_u32_e64 s[40:41], s96, v13
                                        ; implicit-def: $vgpr13
	s_and_saveexec_b64 s[94:95], s[40:41]
	s_xor_b64 s[40:41], exec, s[94:95]
; %bb.675:                              ;   in Loop: Header=BB8_303 Depth=3
	v_bfe_u32 v13, v18, 16, 1
	v_add3_u32 v13, v18, v13, s97
                                        ; implicit-def: $vgpr18
; %bb.676:                              ;   in Loop: Header=BB8_303 Depth=3
	s_andn2_saveexec_b64 s[94:95], s[40:41]
; %bb.677:                              ;   in Loop: Header=BB8_303 Depth=3
	v_or_b32_e32 v13, 0x10000, v18
	v_cmp_eq_u32_sdwa s[40:41], v18, v2 src0_sel:WORD_0 src1_sel:DWORD
	v_cndmask_b32_e64 v13, v13, v18, s[40:41]
; %bb.678:                              ;   in Loop: Header=BB8_303 Depth=3
	s_or_b64 exec, exec, s[94:95]
	v_and_b32_e32 v16, 0xffff0000, v16
	v_and_b32_e32 v17, 0xffff0000, v17
	v_max_f32_e32 v17, v17, v17
	v_max_f32_e32 v16, v16, v16
	v_min_f32_e32 v18, v16, v17
	v_max_f32_e32 v16, v16, v17
	v_cndmask_b32_e32 v17, v16, v18, vcc
	v_and_b32_e32 v16, 0x7f800000, v17
	v_cmp_ne_u32_e64 s[40:41], s96, v16
                                        ; implicit-def: $vgpr16
	s_and_saveexec_b64 s[94:95], s[40:41]
	s_xor_b64 s[40:41], exec, s[94:95]
; %bb.679:                              ;   in Loop: Header=BB8_303 Depth=3
	v_bfe_u32 v16, v17, 16, 1
	v_add3_u32 v16, v17, v16, s97
                                        ; implicit-def: $vgpr17
; %bb.680:                              ;   in Loop: Header=BB8_303 Depth=3
	s_andn2_saveexec_b64 s[94:95], s[40:41]
; %bb.681:                              ;   in Loop: Header=BB8_303 Depth=3
	v_or_b32_e32 v16, 0x10000, v17
	v_cmp_eq_u32_sdwa s[40:41], v17, v2 src0_sel:WORD_0 src1_sel:DWORD
	v_cndmask_b32_e64 v16, v16, v17, s[40:41]
; %bb.682:                              ;   in Loop: Header=BB8_303 Depth=3
	s_or_b64 exec, exec, s[94:95]
	v_lshlrev_b32_e32 v17, 16, v14
	s_waitcnt vmcnt(2)
	v_lshlrev_b32_e32 v18, 16, v15
	v_max_f32_e32 v18, v18, v18
	v_max_f32_e32 v17, v17, v17
	v_min_f32_e32 v19, v17, v18
	v_max_f32_e32 v17, v17, v18
	v_cndmask_b32_e32 v18, v17, v19, vcc
	v_and_b32_e32 v17, 0x7f800000, v18
	v_cmp_ne_u32_e64 s[40:41], s96, v17
                                        ; implicit-def: $vgpr17
	s_and_saveexec_b64 s[94:95], s[40:41]
	s_xor_b64 s[40:41], exec, s[94:95]
; %bb.683:                              ;   in Loop: Header=BB8_303 Depth=3
	v_bfe_u32 v17, v18, 16, 1
	v_add3_u32 v17, v18, v17, s97
                                        ; implicit-def: $vgpr18
; %bb.684:                              ;   in Loop: Header=BB8_303 Depth=3
	s_andn2_saveexec_b64 s[94:95], s[40:41]
; %bb.685:                              ;   in Loop: Header=BB8_303 Depth=3
	v_or_b32_e32 v17, 0x10000, v18
	v_cmp_eq_u32_sdwa s[40:41], v18, v2 src0_sel:WORD_0 src1_sel:DWORD
	v_cndmask_b32_e64 v17, v17, v18, s[40:41]
; %bb.686:                              ;   in Loop: Header=BB8_303 Depth=3
	s_or_b64 exec, exec, s[94:95]
	v_and_b32_e32 v14, 0xffff0000, v14
	v_and_b32_e32 v15, 0xffff0000, v15
	v_max_f32_e32 v15, v15, v15
	v_max_f32_e32 v14, v14, v14
	v_min_f32_e32 v18, v14, v15
	v_max_f32_e32 v14, v14, v15
	v_cndmask_b32_e32 v15, v14, v18, vcc
	v_and_b32_e32 v14, 0x7f800000, v15
	v_cmp_ne_u32_e64 s[40:41], s96, v14
                                        ; implicit-def: $vgpr14
	s_and_saveexec_b64 s[94:95], s[40:41]
	s_xor_b64 s[40:41], exec, s[94:95]
; %bb.687:                              ;   in Loop: Header=BB8_303 Depth=3
	v_bfe_u32 v14, v15, 16, 1
	v_add3_u32 v14, v15, v14, s97
                                        ; implicit-def: $vgpr15
; %bb.688:                              ;   in Loop: Header=BB8_303 Depth=3
	s_andn2_saveexec_b64 s[94:95], s[40:41]
; %bb.689:                              ;   in Loop: Header=BB8_303 Depth=3
	v_or_b32_e32 v14, 0x10000, v15
	v_cmp_eq_u32_sdwa s[40:41], v15, v2 src0_sel:WORD_0 src1_sel:DWORD
	v_cndmask_b32_e64 v14, v14, v15, s[40:41]
; %bb.690:                              ;   in Loop: Header=BB8_303 Depth=3
	s_or_b64 exec, exec, s[94:95]
	s_waitcnt vmcnt(0)
	v_lshlrev_b32_e32 v15, 16, v11
	v_lshlrev_b32_e32 v18, 16, v3
	v_max_f32_e32 v18, v18, v18
	v_max_f32_e32 v15, v15, v15
	v_min_f32_e32 v19, v15, v18
	v_max_f32_e32 v15, v15, v18
	v_cndmask_b32_e32 v18, v15, v19, vcc
	v_and_b32_e32 v15, 0x7f800000, v18
	v_cmp_ne_u32_e64 s[40:41], s96, v15
                                        ; implicit-def: $vgpr15
	s_and_saveexec_b64 s[94:95], s[40:41]
	s_xor_b64 s[40:41], exec, s[94:95]
; %bb.691:                              ;   in Loop: Header=BB8_303 Depth=3
	v_bfe_u32 v15, v18, 16, 1
	v_add3_u32 v15, v18, v15, s97
                                        ; implicit-def: $vgpr18
; %bb.692:                              ;   in Loop: Header=BB8_303 Depth=3
	s_andn2_saveexec_b64 s[94:95], s[40:41]
; %bb.693:                              ;   in Loop: Header=BB8_303 Depth=3
	v_or_b32_e32 v15, 0x10000, v18
	v_cmp_eq_u32_sdwa s[40:41], v18, v2 src0_sel:WORD_0 src1_sel:DWORD
	v_cndmask_b32_e64 v15, v15, v18, s[40:41]
; %bb.694:                              ;   in Loop: Header=BB8_303 Depth=3
	s_or_b64 exec, exec, s[94:95]
	v_and_b32_e32 v11, 0xffff0000, v11
	v_and_b32_e32 v3, 0xffff0000, v3
	v_max_f32_e32 v3, v3, v3
	v_max_f32_e32 v11, v11, v11
	v_min_f32_e32 v18, v11, v3
	v_max_f32_e32 v3, v11, v3
	v_cndmask_b32_e32 v11, v3, v18, vcc
	v_and_b32_e32 v3, 0x7f800000, v11
	v_cmp_ne_u32_e32 vcc, s96, v3
                                        ; implicit-def: $vgpr3
	s_and_saveexec_b64 s[40:41], vcc
	s_xor_b64 s[40:41], exec, s[40:41]
; %bb.695:                              ;   in Loop: Header=BB8_303 Depth=3
	v_bfe_u32 v3, v11, 16, 1
	v_add3_u32 v3, v11, v3, s97
                                        ; implicit-def: $vgpr11
; %bb.696:                              ;   in Loop: Header=BB8_303 Depth=3
	s_andn2_saveexec_b64 s[40:41], s[40:41]
; %bb.697:                              ;   in Loop: Header=BB8_303 Depth=3
	v_or_b32_e32 v3, 0x10000, v11
	v_cmp_eq_u32_sdwa vcc, v11, v2 src0_sel:WORD_0 src1_sel:DWORD
	v_cndmask_b32_e32 v3, v3, v11, vcc
; %bb.698:                              ;   in Loop: Header=BB8_303 Depth=3
	s_or_b64 exec, exec, s[40:41]
	v_lshrrev_b32_e32 v1, 16, v1
	v_and_or_b32 v12, v12, s56, v1
	v_lshrrev_b32_e32 v1, 16, v17
	v_lshrrev_b32_e32 v11, 16, v13
	v_and_or_b32 v14, v14, s56, v1
	v_lshrrev_b32_e32 v1, 16, v15
	v_and_or_b32 v13, v16, s56, v11
	v_and_or_b32 v15, v3, s56, v1
	global_store_dwordx4 v[6:7], v[12:15], off glc slc
.LBB8_699:                              ;   in Loop: Header=BB8_303 Depth=3
	s_or_b64 exec, exec, s[42:43]
	v_and_b32_e32 v3, 14, v37
	v_cndmask_b32_e64 v37, v9, v3, s[28:29]
	v_cmp_ne_u32_e32 vcc, 0, v37
	s_mov_b64 s[42:43], s[90:91]
                                        ; implicit-def: $vgpr12
                                        ; implicit-def: $vgpr1
                                        ; implicit-def: $vgpr57
	s_and_saveexec_b64 s[40:41], vcc
	s_cbranch_execz .LBB8_701
; %bb.700:                              ;   in Loop: Header=BB8_303 Depth=3
	v_sub_u32_e32 v1, v9, v3
	v_cndmask_b32_e64 v1, 0, v1, s[28:29]
	v_cmp_lt_i32_e32 vcc, 0, v10
	v_add3_u32 v12, v8, v4, v1
	v_cndmask_b32_e32 v1, 0, v52, vcc
	v_sub_u32_e32 v1, v1, v10
	v_lshl_add_u32 v1, v1, 6, v5
	v_ashrrev_i32_e32 v3, 31, v1
	v_lshrrev_b32_e32 v3, 26, v3
	v_add_u32_e32 v3, v1, v3
	v_and_b32_e32 v3, 0xffffffc0, v3
	v_sub_u32_e32 v57, v1, v3
	s_or_b64 s[42:43], s[90:91], exec
.LBB8_701:                              ;   in Loop: Header=BB8_303 Depth=3
	s_or_b64 exec, exec, s[40:41]
	s_andn2_b64 s[28:29], s[90:91], exec
	s_and_b64 s[40:41], s[42:43], exec
	s_or_b64 s[90:91], s[28:29], s[40:41]
.LBB8_702:                              ;   in Loop: Header=BB8_303 Depth=3
	s_or_b64 exec, exec, s[92:93]
	s_and_saveexec_b64 s[42:43], s[90:91]
	s_cbranch_execz .LBB8_834
.LBB8_703:                              ;   in Loop: Header=BB8_303 Depth=3
	s_waitcnt vmcnt(0)
	v_ashrrev_i32_e32 v3, 31, v1
	v_lshrrev_b32_e32 v3, 26, v3
	v_add_u32_e32 v1, v1, v3
	v_ashrrev_i32_e32 v1, 6, v1
	v_lshlrev_b32_e32 v3, 10, v1
	s_waitcnt vmcnt(0)
	v_lshlrev_b32_e32 v4, 1, v57
	v_add3_u32 v17, v12, v4, v3
	v_ashrrev_i32_e32 v3, 31, v37
	v_lshrrev_b32_e32 v3, 22, v3
	v_add_u32_e32 v3, v37, v3
	v_ashrrev_i32_e32 v4, 10, v3
	v_ashrrev_i32_e32 v18, 31, v17
	v_add_co_u32_e32 v6, vcc, v35, v17
	v_sub_u32_e32 v5, v4, v1
	v_addc_co_u32_e32 v7, vcc, v36, v18, vcc
	v_cmp_lt_i32_e32 vcc, 0, v5
	v_mov_b32_e32 v10, 0
	s_mov_b64 s[28:29], 0
	v_mov_b32_e32 v14, 0
	v_mov_b32_e32 v28, 0
	;; [unrolled: 1-line block ×15, first 2 shown]
	s_and_saveexec_b64 s[40:41], vcc
	s_cbranch_execz .LBB8_775
; %bb.704:                              ;   in Loop: Header=BB8_303 Depth=3
	s_trap 2
	ds_read_b64 v[10:11], v0
	buffer_load_dword v8, off, s[0:3], s33 offset:244 ; 4-byte Folded Reload
	buffer_load_dword v9, off, s[0:3], s33 offset:248 ; 4-byte Folded Reload
	s_and_b32 s28, s46, 0xff
	v_mov_b32_e32 v60, v36
	s_cmp_eq_u32 s28, 0
	v_mov_b32_e32 v45, v37
	v_mov_b32_e32 v59, v35
	;; [unrolled: 1-line block ×3, first 2 shown]
	s_mov_b64 s[94:95], 0
	s_mov_b64 s[92:93], 0
	s_cselect_b64 s[28:29], -1, 0
                                        ; implicit-def: $sgpr90_sgpr91
                                        ; implicit-def: $vgpr1
                                        ; implicit-def: $vgpr38
                                        ; implicit-def: $vgpr35
                                        ; implicit-def: $vgpr32
                                        ; implicit-def: $vgpr27
                                        ; implicit-def: $vgpr24
                                        ; implicit-def: $vgpr23
                                        ; implicit-def: $vgpr22
                                        ; implicit-def: $vgpr14
                                        ; implicit-def: $vgpr15
                                        ; implicit-def: $vgpr16
                                        ; implicit-def: $vgpr19
                                        ; implicit-def: $vgpr20
                                        ; implicit-def: $vgpr21
	s_waitcnt vmcnt(1)
	v_add_co_u32_e32 v8, vcc, v17, v8
	s_waitcnt vmcnt(0)
	v_addc_co_u32_e32 v9, vcc, v18, v9, vcc
	s_waitcnt lgkmcnt(0)
	v_add_co_u32_e32 v10, vcc, v10, v17
	v_addc_co_u32_e32 v11, vcc, v11, v18, vcc
                                        ; implicit-def: $vgpr17
                                        ; implicit-def: $vgpr18
	s_branch .LBB8_706
.LBB8_705:                              ;   in Loop: Header=BB8_706 Depth=4
	s_or_b64 exec, exec, s[30:31]
	flat_store_short_d16_hi v[6:7], v5 glc slc
	flat_store_short_d16_hi v[6:7], v13 offset:128 glc slc
	flat_store_short_d16_hi v[6:7], v49 offset:256 glc slc
	;; [unrolled: 1-line block ×7, first 2 shown]
	buffer_load_dword v29, off, s[0:3], s33 offset:128 ; 4-byte Folded Reload
	v_add_co_u32_e32 v5, vcc, v8, v54
	v_addc_co_u32_e32 v13, vcc, v9, v55, vcc
	v_add_co_u32_e32 v25, vcc, v10, v54
	v_mov_b32_e32 v30, 0x400
	v_addc_co_u32_e32 v26, vcc, v11, v55, vcc
	v_cndmask_b32_e64 v28, 0, v53, s[94:95]
	v_cndmask_b32_e64 v8, v8, v5, s[94:95]
	v_cndmask_b32_e64 v5, 0, v52, s[94:95]
	v_sub_u32_e32 v5, v3, v5
	v_cndmask_b32_e64 v9, v9, v13, s[94:95]
	v_cndmask_b32_e64 v11, v11, v26, s[94:95]
	;; [unrolled: 1-line block ×3, first 2 shown]
	s_waitcnt vmcnt(0)
	v_cndmask_b32_e64 v29, v30, v29, s[94:95]
	v_add_co_u32_e32 v6, vcc, v6, v29
	v_addc_co_u32_e32 v7, vcc, v7, v28, vcc
	v_cmp_gt_i32_e32 vcc, 1, v5
	s_or_b64 s[92:93], vcc, s[92:93]
	s_andn2_b64 s[90:91], s[90:91], exec
	s_and_b64 vcc, s[94:95], exec
	s_or_b64 s[90:91], s[90:91], vcc
	s_andn2_b64 exec, exec, s[92:93]
	s_cbranch_execz .LBB8_774
.LBB8_706:                              ;   Parent Loop BB8_47 Depth=1
                                        ;     Parent Loop BB8_300 Depth=2
                                        ;       Parent Loop BB8_303 Depth=3
                                        ; =>      This Inner Loop Header: Depth=4
	flat_load_ushort v43, v[8:9] glc slc
	flat_load_ushort v51, v[8:9] offset:128 glc slc
	flat_load_ushort v49, v[8:9] offset:256 glc slc
	;; [unrolled: 1-line block ×7, first 2 shown]
	flat_load_ushort v13, v[10:11] glc slc
	flat_load_ushort v42, v[10:11] offset:128 glc slc
	flat_load_ushort v50, v[10:11] offset:256 glc slc
	;; [unrolled: 1-line block ×7, first 2 shown]
	s_and_saveexec_b64 s[30:31], s[94:95]
	s_cbranch_execz .LBB8_740
; %bb.707:                              ;   in Loop: Header=BB8_706 Depth=4
	v_lshlrev_b32_e32 v1, 16, v1
	v_lshlrev_b32_e32 v3, 16, v14
	v_max_f32_e32 v3, v3, v3
	v_max_f32_e32 v1, v1, v1
	v_min_f32_e32 v30, v1, v3
	v_max_f32_e32 v1, v1, v3
	v_cndmask_b32_e64 v3, v1, v30, s[28:29]
	v_and_b32_e32 v1, 0x7f800000, v3
	v_cmp_ne_u32_e32 vcc, s96, v1
                                        ; implicit-def: $vgpr1
	s_and_saveexec_b64 s[94:95], vcc
	s_xor_b64 s[94:95], exec, s[94:95]
; %bb.708:                              ;   in Loop: Header=BB8_706 Depth=4
	v_bfe_u32 v1, v3, 16, 1
	v_add3_u32 v1, v3, v1, s97
                                        ; implicit-def: $vgpr3
; %bb.709:                              ;   in Loop: Header=BB8_706 Depth=4
	s_andn2_saveexec_b64 s[94:95], s[94:95]
; %bb.710:                              ;   in Loop: Header=BB8_706 Depth=4
	v_or_b32_e32 v1, 0x10000, v3
	v_cmp_eq_u32_sdwa vcc, v3, v2 src0_sel:WORD_0 src1_sel:DWORD
	v_cndmask_b32_e32 v1, v1, v3, vcc
; %bb.711:                              ;   in Loop: Header=BB8_706 Depth=4
	s_or_b64 exec, exec, s[94:95]
	v_lshlrev_b32_e32 v3, 16, v38
	v_lshlrev_b32_e32 v30, 16, v15
	v_max_f32_e32 v30, v30, v30
	v_max_f32_e32 v3, v3, v3
	v_min_f32_e32 v31, v3, v30
	v_max_f32_e32 v3, v3, v30
	v_cndmask_b32_e64 v38, v3, v31, s[28:29]
	v_and_b32_e32 v3, 0x7f800000, v38
	v_cmp_ne_u32_e32 vcc, s96, v3
                                        ; implicit-def: $vgpr3
	s_and_saveexec_b64 s[94:95], vcc
	s_xor_b64 s[94:95], exec, s[94:95]
; %bb.712:                              ;   in Loop: Header=BB8_706 Depth=4
	v_bfe_u32 v3, v38, 16, 1
	v_add3_u32 v3, v38, v3, s97
                                        ; implicit-def: $vgpr38
; %bb.713:                              ;   in Loop: Header=BB8_706 Depth=4
	s_andn2_saveexec_b64 s[94:95], s[94:95]
; %bb.714:                              ;   in Loop: Header=BB8_706 Depth=4
	v_or_b32_e32 v3, 0x10000, v38
	v_cmp_eq_u32_sdwa vcc, v38, v2 src0_sel:WORD_0 src1_sel:DWORD
	v_cndmask_b32_e32 v3, v3, v38, vcc
; %bb.715:                              ;   in Loop: Header=BB8_706 Depth=4
	s_or_b64 exec, exec, s[94:95]
	v_lshlrev_b32_e32 v30, 16, v35
	v_lshlrev_b32_e32 v31, 16, v16
	v_max_f32_e32 v31, v31, v31
	v_max_f32_e32 v30, v30, v30
	v_min_f32_e32 v35, v30, v31
	v_max_f32_e32 v30, v30, v31
	v_cndmask_b32_e64 v38, v30, v35, s[28:29]
	v_and_b32_e32 v30, 0x7f800000, v38
	v_cmp_ne_u32_e32 vcc, s96, v30
                                        ; implicit-def: $vgpr35
	s_and_saveexec_b64 s[94:95], vcc
	s_xor_b64 s[94:95], exec, s[94:95]
; %bb.716:                              ;   in Loop: Header=BB8_706 Depth=4
	v_bfe_u32 v30, v38, 16, 1
	v_add3_u32 v35, v38, v30, s97
                                        ; implicit-def: $vgpr38
; %bb.717:                              ;   in Loop: Header=BB8_706 Depth=4
	s_andn2_saveexec_b64 s[94:95], s[94:95]
; %bb.718:                              ;   in Loop: Header=BB8_706 Depth=4
	v_or_b32_e32 v30, 0x10000, v38
	v_cmp_eq_u32_sdwa vcc, v38, v2 src0_sel:WORD_0 src1_sel:DWORD
	v_cndmask_b32_e32 v35, v30, v38, vcc
; %bb.719:                              ;   in Loop: Header=BB8_706 Depth=4
	s_or_b64 exec, exec, s[94:95]
	v_lshlrev_b32_e32 v30, 16, v32
	v_lshlrev_b32_e32 v31, 16, v17
	v_max_f32_e32 v31, v31, v31
	v_max_f32_e32 v30, v30, v30
	v_min_f32_e32 v32, v30, v31
	v_max_f32_e32 v30, v30, v31
	v_cndmask_b32_e64 v38, v30, v32, s[28:29]
	v_and_b32_e32 v30, 0x7f800000, v38
	v_cmp_ne_u32_e32 vcc, s96, v30
                                        ; implicit-def: $vgpr32
	s_and_saveexec_b64 s[94:95], vcc
	s_xor_b64 s[94:95], exec, s[94:95]
; %bb.720:                              ;   in Loop: Header=BB8_706 Depth=4
	v_bfe_u32 v30, v38, 16, 1
	v_add3_u32 v32, v38, v30, s97
                                        ; implicit-def: $vgpr38
; %bb.721:                              ;   in Loop: Header=BB8_706 Depth=4
	s_andn2_saveexec_b64 s[94:95], s[94:95]
; %bb.722:                              ;   in Loop: Header=BB8_706 Depth=4
	v_or_b32_e32 v30, 0x10000, v38
	v_cmp_eq_u32_sdwa vcc, v38, v2 src0_sel:WORD_0 src1_sel:DWORD
	v_cndmask_b32_e32 v32, v30, v38, vcc
; %bb.723:                              ;   in Loop: Header=BB8_706 Depth=4
	s_or_b64 exec, exec, s[94:95]
	v_lshlrev_b32_e32 v27, 16, v27
	v_lshlrev_b32_e32 v30, 16, v18
	v_max_f32_e32 v30, v30, v30
	v_max_f32_e32 v27, v27, v27
	v_min_f32_e32 v31, v27, v30
	v_max_f32_e32 v27, v27, v30
	v_cndmask_b32_e64 v38, v27, v31, s[28:29]
	v_and_b32_e32 v27, 0x7f800000, v38
	v_cmp_ne_u32_e32 vcc, s96, v27
                                        ; implicit-def: $vgpr27
	s_and_saveexec_b64 s[94:95], vcc
	s_xor_b64 s[94:95], exec, s[94:95]
; %bb.724:                              ;   in Loop: Header=BB8_706 Depth=4
	v_bfe_u32 v27, v38, 16, 1
	v_add3_u32 v27, v38, v27, s97
                                        ; implicit-def: $vgpr38
; %bb.725:                              ;   in Loop: Header=BB8_706 Depth=4
	s_andn2_saveexec_b64 s[94:95], s[94:95]
; %bb.726:                              ;   in Loop: Header=BB8_706 Depth=4
	v_or_b32_e32 v27, 0x10000, v38
	v_cmp_eq_u32_sdwa vcc, v38, v2 src0_sel:WORD_0 src1_sel:DWORD
	v_cndmask_b32_e32 v27, v27, v38, vcc
; %bb.727:                              ;   in Loop: Header=BB8_706 Depth=4
	s_or_b64 exec, exec, s[94:95]
	v_lshlrev_b32_e32 v24, 16, v24
	v_lshlrev_b32_e32 v30, 16, v19
	v_max_f32_e32 v30, v30, v30
	v_max_f32_e32 v24, v24, v24
	v_min_f32_e32 v31, v24, v30
	v_max_f32_e32 v24, v24, v30
	v_cndmask_b32_e64 v38, v24, v31, s[28:29]
	v_and_b32_e32 v24, 0x7f800000, v38
	v_cmp_ne_u32_e32 vcc, s96, v24
                                        ; implicit-def: $vgpr24
	s_and_saveexec_b64 s[94:95], vcc
	s_xor_b64 s[94:95], exec, s[94:95]
; %bb.728:                              ;   in Loop: Header=BB8_706 Depth=4
	v_bfe_u32 v24, v38, 16, 1
	v_add3_u32 v24, v38, v24, s97
                                        ; implicit-def: $vgpr38
; %bb.729:                              ;   in Loop: Header=BB8_706 Depth=4
	s_andn2_saveexec_b64 s[94:95], s[94:95]
; %bb.730:                              ;   in Loop: Header=BB8_706 Depth=4
	v_or_b32_e32 v24, 0x10000, v38
	v_cmp_eq_u32_sdwa vcc, v38, v2 src0_sel:WORD_0 src1_sel:DWORD
	v_cndmask_b32_e32 v24, v24, v38, vcc
; %bb.731:                              ;   in Loop: Header=BB8_706 Depth=4
	s_or_b64 exec, exec, s[94:95]
	v_lshlrev_b32_e32 v23, 16, v23
	v_lshlrev_b32_e32 v30, 16, v20
	v_max_f32_e32 v30, v30, v30
	v_max_f32_e32 v23, v23, v23
	v_min_f32_e32 v31, v23, v30
	v_max_f32_e32 v23, v23, v30
	v_cndmask_b32_e64 v38, v23, v31, s[28:29]
	v_and_b32_e32 v23, 0x7f800000, v38
	v_cmp_ne_u32_e32 vcc, s96, v23
                                        ; implicit-def: $vgpr23
	s_and_saveexec_b64 s[94:95], vcc
	s_xor_b64 s[94:95], exec, s[94:95]
; %bb.732:                              ;   in Loop: Header=BB8_706 Depth=4
	v_bfe_u32 v23, v38, 16, 1
	v_add3_u32 v23, v38, v23, s97
                                        ; implicit-def: $vgpr38
; %bb.733:                              ;   in Loop: Header=BB8_706 Depth=4
	s_andn2_saveexec_b64 s[94:95], s[94:95]
; %bb.734:                              ;   in Loop: Header=BB8_706 Depth=4
	v_or_b32_e32 v23, 0x10000, v38
	v_cmp_eq_u32_sdwa vcc, v38, v2 src0_sel:WORD_0 src1_sel:DWORD
	v_cndmask_b32_e32 v23, v23, v38, vcc
; %bb.735:                              ;   in Loop: Header=BB8_706 Depth=4
	s_or_b64 exec, exec, s[94:95]
	v_lshlrev_b32_e32 v22, 16, v22
	v_lshlrev_b32_e32 v30, 16, v21
	v_max_f32_e32 v30, v30, v30
	v_max_f32_e32 v22, v22, v22
	v_min_f32_e32 v31, v22, v30
	v_max_f32_e32 v22, v22, v30
	v_cndmask_b32_e64 v38, v22, v31, s[28:29]
	v_and_b32_e32 v22, 0x7f800000, v38
	v_cmp_ne_u32_e32 vcc, s96, v22
                                        ; implicit-def: $vgpr22
	s_and_saveexec_b64 s[94:95], vcc
	s_xor_b64 s[94:95], exec, s[94:95]
; %bb.736:                              ;   in Loop: Header=BB8_706 Depth=4
	v_bfe_u32 v22, v38, 16, 1
	v_add3_u32 v22, v38, v22, s97
                                        ; implicit-def: $vgpr38
; %bb.737:                              ;   in Loop: Header=BB8_706 Depth=4
	s_andn2_saveexec_b64 s[94:95], s[94:95]
; %bb.738:                              ;   in Loop: Header=BB8_706 Depth=4
	v_or_b32_e32 v22, 0x10000, v38
	v_cmp_eq_u32_sdwa vcc, v38, v2 src0_sel:WORD_0 src1_sel:DWORD
	v_cndmask_b32_e32 v22, v22, v38, vcc
; %bb.739:                              ;   in Loop: Header=BB8_706 Depth=4
	s_or_b64 exec, exec, s[94:95]
	v_lshrrev_b32_e32 v1, 16, v1
	v_lshrrev_b32_e32 v23, 16, v23
	;; [unrolled: 1-line block ×8, first 2 shown]
	flat_store_short v[6:7], v1 glc slc
	flat_store_short v[6:7], v38 offset:128 glc slc
	flat_store_short v[6:7], v35 offset:256 glc slc
	;; [unrolled: 1-line block ×7, first 2 shown]
	buffer_load_dword v3, off, s[0:3], s33 offset:128 ; 4-byte Folded Reload
	s_waitcnt vmcnt(0)
	v_add_co_u32_e32 v6, vcc, v6, v3
	v_addc_co_u32_e32 v7, vcc, v7, v53, vcc
.LBB8_740:                              ;   in Loop: Header=BB8_706 Depth=4
	s_or_b64 exec, exec, s[30:31]
	buffer_load_dword v3, off, s[0:3], s33 offset:128 ; 4-byte Folded Reload
	v_mov_b32_e32 v30, v53
	s_waitcnt vmcnt(0)
	v_add_co_u32_e32 v8, vcc, v8, v3
	v_addc_co_u32_e32 v9, vcc, v9, v30, vcc
	v_add_co_u32_e32 v10, vcc, v10, v3
	v_sub_u32_e32 v3, v5, v52
	v_addc_co_u32_e32 v11, vcc, v11, v30, vcc
	v_cmp_lt_i32_e64 s[94:95], 0, v3
	s_and_saveexec_b64 s[30:31], s[94:95]
	s_cbranch_execz .LBB8_742
; %bb.741:                              ;   in Loop: Header=BB8_706 Depth=4
	flat_load_ushort v1, v[8:9] glc slc
	flat_load_ushort v38, v[8:9] offset:128 glc slc
	flat_load_ushort v35, v[8:9] offset:256 glc slc
	;; [unrolled: 1-line block ×7, first 2 shown]
	flat_load_ushort v14, v[10:11] glc slc
	flat_load_ushort v15, v[10:11] offset:128 glc slc
	flat_load_ushort v16, v[10:11] offset:256 glc slc
	;; [unrolled: 1-line block ×7, first 2 shown]
	v_add_co_u32_e32 v8, vcc, 0x400, v8
	v_addc_co_u32_e32 v9, vcc, 0, v9, vcc
	v_add_co_u32_e32 v10, vcc, 0x400, v10
	v_addc_co_u32_e32 v11, vcc, 0, v11, vcc
.LBB8_742:                              ;   in Loop: Header=BB8_706 Depth=4
	s_or_b64 exec, exec, s[30:31]
	s_waitcnt lgkmcnt(0)
	v_lshlrev_b32_e32 v5, 16, v43
	v_lshlrev_b32_e32 v13, 16, v13
	v_max_f32_e32 v13, v13, v13
	v_max_f32_e32 v5, v5, v5
	v_min_f32_e32 v30, v5, v13
	v_max_f32_e32 v5, v5, v13
	v_cndmask_b32_e64 v13, v5, v30, s[28:29]
	v_and_b32_e32 v5, 0x7f800000, v13
	v_cmp_ne_u32_e32 vcc, s96, v5
                                        ; implicit-def: $vgpr5
	s_and_saveexec_b64 s[30:31], vcc
	s_xor_b64 vcc, exec, s[30:31]
; %bb.743:                              ;   in Loop: Header=BB8_706 Depth=4
	v_bfe_u32 v5, v13, 16, 1
	v_add3_u32 v5, v13, v5, s97
                                        ; implicit-def: $vgpr13
; %bb.744:                              ;   in Loop: Header=BB8_706 Depth=4
	s_andn2_saveexec_b64 s[30:31], vcc
; %bb.745:                              ;   in Loop: Header=BB8_706 Depth=4
	v_or_b32_e32 v5, 0x10000, v13
	v_cmp_eq_u32_sdwa vcc, v13, v2 src0_sel:WORD_0 src1_sel:DWORD
	v_cndmask_b32_e32 v5, v5, v13, vcc
; %bb.746:                              ;   in Loop: Header=BB8_706 Depth=4
	s_or_b64 exec, exec, s[30:31]
	v_lshlrev_b32_e32 v13, 16, v51
	v_lshlrev_b32_e32 v30, 16, v42
	v_max_f32_e32 v30, v30, v30
	v_max_f32_e32 v13, v13, v13
	v_min_f32_e32 v31, v13, v30
	v_max_f32_e32 v13, v13, v30
	v_cndmask_b32_e64 v51, v13, v31, s[28:29]
	v_and_b32_e32 v13, 0x7f800000, v51
	v_cmp_ne_u32_e32 vcc, s96, v13
                                        ; implicit-def: $vgpr13
	s_and_saveexec_b64 s[30:31], vcc
	s_xor_b64 vcc, exec, s[30:31]
; %bb.747:                              ;   in Loop: Header=BB8_706 Depth=4
	v_bfe_u32 v13, v51, 16, 1
	v_add3_u32 v13, v51, v13, s97
                                        ; implicit-def: $vgpr51
; %bb.748:                              ;   in Loop: Header=BB8_706 Depth=4
	s_andn2_saveexec_b64 s[30:31], vcc
; %bb.749:                              ;   in Loop: Header=BB8_706 Depth=4
	v_or_b32_e32 v13, 0x10000, v51
	v_cmp_eq_u32_sdwa vcc, v51, v2 src0_sel:WORD_0 src1_sel:DWORD
	v_cndmask_b32_e32 v13, v13, v51, vcc
; %bb.750:                              ;   in Loop: Header=BB8_706 Depth=4
	s_or_b64 exec, exec, s[30:31]
	v_lshlrev_b32_e32 v30, 16, v49
	v_lshlrev_b32_e32 v31, 16, v50
	v_max_f32_e32 v31, v31, v31
	v_max_f32_e32 v30, v30, v30
	v_min_f32_e32 v49, v30, v31
	v_max_f32_e32 v30, v30, v31
	v_cndmask_b32_e64 v50, v30, v49, s[28:29]
	v_and_b32_e32 v30, 0x7f800000, v50
	v_cmp_ne_u32_e32 vcc, s96, v30
                                        ; implicit-def: $vgpr49
	s_and_saveexec_b64 s[30:31], vcc
	s_xor_b64 vcc, exec, s[30:31]
; %bb.751:                              ;   in Loop: Header=BB8_706 Depth=4
	v_bfe_u32 v30, v50, 16, 1
	v_add3_u32 v49, v50, v30, s97
                                        ; implicit-def: $vgpr50
; %bb.752:                              ;   in Loop: Header=BB8_706 Depth=4
	s_andn2_saveexec_b64 s[30:31], vcc
; %bb.753:                              ;   in Loop: Header=BB8_706 Depth=4
	v_or_b32_e32 v30, 0x10000, v50
	v_cmp_eq_u32_sdwa vcc, v50, v2 src0_sel:WORD_0 src1_sel:DWORD
	v_cndmask_b32_e32 v49, v30, v50, vcc
; %bb.754:                              ;   in Loop: Header=BB8_706 Depth=4
	s_or_b64 exec, exec, s[30:31]
	v_lshlrev_b32_e32 v30, 16, v39
	v_lshlrev_b32_e32 v31, 16, v48
	v_max_f32_e32 v31, v31, v31
	v_max_f32_e32 v30, v30, v30
	v_min_f32_e32 v39, v30, v31
	v_max_f32_e32 v30, v30, v31
	v_cndmask_b32_e64 v48, v30, v39, s[28:29]
	v_and_b32_e32 v30, 0x7f800000, v48
	v_cmp_ne_u32_e32 vcc, s96, v30
                                        ; implicit-def: $vgpr39
	s_and_saveexec_b64 s[30:31], vcc
	s_xor_b64 vcc, exec, s[30:31]
; %bb.755:                              ;   in Loop: Header=BB8_706 Depth=4
	v_bfe_u32 v30, v48, 16, 1
	v_add3_u32 v39, v48, v30, s97
                                        ; implicit-def: $vgpr48
; %bb.756:                              ;   in Loop: Header=BB8_706 Depth=4
	s_andn2_saveexec_b64 s[30:31], vcc
; %bb.757:                              ;   in Loop: Header=BB8_706 Depth=4
	v_or_b32_e32 v30, 0x10000, v48
	v_cmp_eq_u32_sdwa vcc, v48, v2 src0_sel:WORD_0 src1_sel:DWORD
	v_cndmask_b32_e32 v39, v30, v48, vcc
; %bb.758:                              ;   in Loop: Header=BB8_706 Depth=4
	s_or_b64 exec, exec, s[30:31]
	v_lshlrev_b32_e32 v30, 16, v36
	v_lshlrev_b32_e32 v31, 16, v37
	v_max_f32_e32 v31, v31, v31
	v_max_f32_e32 v30, v30, v30
	v_min_f32_e32 v36, v30, v31
	v_max_f32_e32 v30, v30, v31
	v_cndmask_b32_e64 v37, v30, v36, s[28:29]
	v_and_b32_e32 v30, 0x7f800000, v37
	v_cmp_ne_u32_e32 vcc, s96, v30
                                        ; implicit-def: $vgpr36
	s_and_saveexec_b64 s[30:31], vcc
	s_xor_b64 vcc, exec, s[30:31]
; %bb.759:                              ;   in Loop: Header=BB8_706 Depth=4
	v_bfe_u32 v30, v37, 16, 1
	v_add3_u32 v36, v37, v30, s97
                                        ; implicit-def: $vgpr37
; %bb.760:                              ;   in Loop: Header=BB8_706 Depth=4
	s_andn2_saveexec_b64 s[30:31], vcc
; %bb.761:                              ;   in Loop: Header=BB8_706 Depth=4
	v_or_b32_e32 v30, 0x10000, v37
	v_cmp_eq_u32_sdwa vcc, v37, v2 src0_sel:WORD_0 src1_sel:DWORD
	v_cndmask_b32_e32 v36, v30, v37, vcc
; %bb.762:                              ;   in Loop: Header=BB8_706 Depth=4
	s_or_b64 exec, exec, s[30:31]
	v_lshlrev_b32_e32 v30, 16, v33
	v_lshlrev_b32_e32 v31, 16, v34
	v_max_f32_e32 v31, v31, v31
	v_max_f32_e32 v30, v30, v30
	v_min_f32_e32 v33, v30, v31
	v_max_f32_e32 v30, v30, v31
	v_cndmask_b32_e64 v34, v30, v33, s[28:29]
	v_and_b32_e32 v30, 0x7f800000, v34
	v_cmp_ne_u32_e32 vcc, s96, v30
                                        ; implicit-def: $vgpr33
	s_and_saveexec_b64 s[30:31], vcc
	s_xor_b64 vcc, exec, s[30:31]
; %bb.763:                              ;   in Loop: Header=BB8_706 Depth=4
	v_bfe_u32 v30, v34, 16, 1
	v_add3_u32 v33, v34, v30, s97
                                        ; implicit-def: $vgpr34
; %bb.764:                              ;   in Loop: Header=BB8_706 Depth=4
	s_andn2_saveexec_b64 s[30:31], vcc
; %bb.765:                              ;   in Loop: Header=BB8_706 Depth=4
	v_or_b32_e32 v30, 0x10000, v34
	v_cmp_eq_u32_sdwa vcc, v34, v2 src0_sel:WORD_0 src1_sel:DWORD
	v_cndmask_b32_e32 v33, v30, v34, vcc
; %bb.766:                              ;   in Loop: Header=BB8_706 Depth=4
	s_or_b64 exec, exec, s[30:31]
	v_lshlrev_b32_e32 v28, 16, v28
	v_lshlrev_b32_e32 v29, 16, v29
	v_max_f32_e32 v29, v29, v29
	v_max_f32_e32 v28, v28, v28
	v_min_f32_e32 v30, v28, v29
	v_max_f32_e32 v28, v28, v29
	v_cndmask_b32_e64 v29, v28, v30, s[28:29]
	v_and_b32_e32 v28, 0x7f800000, v29
	v_cmp_ne_u32_e32 vcc, s96, v28
                                        ; implicit-def: $vgpr28
	s_and_saveexec_b64 s[30:31], vcc
	s_xor_b64 vcc, exec, s[30:31]
; %bb.767:                              ;   in Loop: Header=BB8_706 Depth=4
	v_bfe_u32 v28, v29, 16, 1
	v_add3_u32 v28, v29, v28, s97
                                        ; implicit-def: $vgpr29
; %bb.768:                              ;   in Loop: Header=BB8_706 Depth=4
	s_andn2_saveexec_b64 s[30:31], vcc
; %bb.769:                              ;   in Loop: Header=BB8_706 Depth=4
	v_or_b32_e32 v28, 0x10000, v29
	v_cmp_eq_u32_sdwa vcc, v29, v2 src0_sel:WORD_0 src1_sel:DWORD
	v_cndmask_b32_e32 v28, v28, v29, vcc
; %bb.770:                              ;   in Loop: Header=BB8_706 Depth=4
	s_or_b64 exec, exec, s[30:31]
	v_lshlrev_b32_e32 v25, 16, v25
	v_lshlrev_b32_e32 v26, 16, v26
	v_max_f32_e32 v26, v26, v26
	v_max_f32_e32 v25, v25, v25
	v_min_f32_e32 v29, v25, v26
	v_max_f32_e32 v25, v25, v26
	v_cndmask_b32_e64 v26, v25, v29, s[28:29]
	v_and_b32_e32 v25, 0x7f800000, v26
	v_cmp_ne_u32_e32 vcc, s96, v25
                                        ; implicit-def: $vgpr25
	s_and_saveexec_b64 s[30:31], vcc
	s_xor_b64 vcc, exec, s[30:31]
; %bb.771:                              ;   in Loop: Header=BB8_706 Depth=4
	v_bfe_u32 v25, v26, 16, 1
	v_add3_u32 v25, v26, v25, s97
                                        ; implicit-def: $vgpr26
; %bb.772:                              ;   in Loop: Header=BB8_706 Depth=4
	s_andn2_saveexec_b64 s[30:31], vcc
	s_cbranch_execz .LBB8_705
; %bb.773:                              ;   in Loop: Header=BB8_706 Depth=4
	v_or_b32_e32 v25, 0x10000, v26
	v_cmp_eq_u32_sdwa vcc, v26, v2 src0_sel:WORD_0 src1_sel:DWORD
	v_cndmask_b32_e32 v25, v25, v26, vcc
	s_branch .LBB8_705
.LBB8_774:                              ;   in Loop: Header=BB8_303 Depth=3
	s_or_b64 exec, exec, s[92:93]
	v_lshlrev_b32_e32 v33, 16, v15
	v_lshlrev_b32_e32 v15, 16, v27
	buffer_load_dword v27, off, s[0:3], s33 offset:276 ; 4-byte Folded Reload
	buffer_load_dword v30, off, s[0:3], s33 offset:284 ; 4-byte Folded Reload
	;; [unrolled: 1-line block ×3, first 2 shown]
	v_lshlrev_b32_e32 v28, 16, v35
	v_mov_b32_e32 v35, v59
	v_lshlrev_b32_e32 v10, 16, v1
	v_lshlrev_b32_e32 v34, 16, v14
	;; [unrolled: 1-line block ×13, first 2 shown]
	s_and_b64 s[28:29], s[90:91], exec
	v_mov_b32_e32 v32, v44
	v_mov_b32_e32 v36, v60
	;; [unrolled: 1-line block ×3, first 2 shown]
.LBB8_775:                              ;   in Loop: Header=BB8_303 Depth=3
	s_or_b64 exec, exec, s[40:41]
	s_and_saveexec_b64 s[40:41], s[28:29]
	s_cbranch_execz .LBB8_809
; %bb.776:                              ;   in Loop: Header=BB8_303 Depth=3
	s_and_b32 s28, s46, 0xff
	s_cmp_eq_u32 s28, 0
	v_max_f32_e32 v17, v34, v34
	v_max_f32_e32 v10, v10, v10
	v_min_f32_e32 v18, v10, v17
	v_max_f32_e32 v10, v10, v17
	s_cselect_b64 vcc, -1, 0
	v_cndmask_b32_e32 v17, v10, v18, vcc
	v_and_b32_e32 v10, 0x7f800000, v17
	v_cmp_ne_u32_e64 s[28:29], s96, v10
                                        ; implicit-def: $vgpr10
	s_and_saveexec_b64 s[90:91], s[28:29]
	s_xor_b64 s[28:29], exec, s[90:91]
; %bb.777:                              ;   in Loop: Header=BB8_303 Depth=3
	v_bfe_u32 v10, v17, 16, 1
	v_add3_u32 v10, v17, v10, s97
                                        ; implicit-def: $vgpr17
; %bb.778:                              ;   in Loop: Header=BB8_303 Depth=3
	s_andn2_saveexec_b64 s[90:91], s[28:29]
; %bb.779:                              ;   in Loop: Header=BB8_303 Depth=3
	v_or_b32_e32 v10, 0x10000, v17
	v_cmp_eq_u32_sdwa s[28:29], v17, v2 src0_sel:WORD_0 src1_sel:DWORD
	v_cndmask_b32_e64 v10, v10, v17, s[28:29]
; %bb.780:                              ;   in Loop: Header=BB8_303 Depth=3
	s_or_b64 exec, exec, s[90:91]
	v_max_f32_e32 v17, v33, v33
	v_max_f32_e32 v14, v14, v14
	v_min_f32_e32 v18, v14, v17
	v_max_f32_e32 v14, v14, v17
	v_cndmask_b32_e32 v17, v14, v18, vcc
	v_and_b32_e32 v14, 0x7f800000, v17
	v_cmp_ne_u32_e64 s[28:29], s96, v14
                                        ; implicit-def: $vgpr14
	s_and_saveexec_b64 s[90:91], s[28:29]
	s_xor_b64 s[28:29], exec, s[90:91]
; %bb.781:                              ;   in Loop: Header=BB8_303 Depth=3
	v_bfe_u32 v14, v17, 16, 1
	v_add3_u32 v14, v17, v14, s97
                                        ; implicit-def: $vgpr17
; %bb.782:                              ;   in Loop: Header=BB8_303 Depth=3
	s_andn2_saveexec_b64 s[90:91], s[28:29]
; %bb.783:                              ;   in Loop: Header=BB8_303 Depth=3
	v_or_b32_e32 v14, 0x10000, v17
	v_cmp_eq_u32_sdwa s[28:29], v17, v2 src0_sel:WORD_0 src1_sel:DWORD
	v_cndmask_b32_e64 v14, v14, v17, s[28:29]
; %bb.784:                              ;   in Loop: Header=BB8_303 Depth=3
	s_or_b64 exec, exec, s[90:91]
	v_max_f32_e32 v17, v29, v29
	v_max_f32_e32 v18, v28, v28
	v_min_f32_e32 v19, v18, v17
	v_max_f32_e32 v17, v18, v17
	v_cndmask_b32_e32 v18, v17, v19, vcc
	v_and_b32_e32 v17, 0x7f800000, v18
	v_cmp_ne_u32_e64 s[28:29], s96, v17
                                        ; implicit-def: $vgpr17
	s_and_saveexec_b64 s[90:91], s[28:29]
	s_xor_b64 s[28:29], exec, s[90:91]
; %bb.785:                              ;   in Loop: Header=BB8_303 Depth=3
	v_bfe_u32 v17, v18, 16, 1
	v_add3_u32 v17, v18, v17, s97
                                        ; implicit-def: $vgpr18
; %bb.786:                              ;   in Loop: Header=BB8_303 Depth=3
	s_andn2_saveexec_b64 s[90:91], s[28:29]
; %bb.787:                              ;   in Loop: Header=BB8_303 Depth=3
	v_or_b32_e32 v17, 0x10000, v18
	v_cmp_eq_u32_sdwa s[28:29], v18, v2 src0_sel:WORD_0 src1_sel:DWORD
	v_cndmask_b32_e64 v17, v17, v18, s[28:29]
; %bb.788:                              ;   in Loop: Header=BB8_303 Depth=3
	s_or_b64 exec, exec, s[90:91]
	v_max_f32_e32 v18, v26, v26
	v_max_f32_e32 v19, v25, v25
	v_min_f32_e32 v20, v19, v18
	v_max_f32_e32 v18, v19, v18
	v_cndmask_b32_e32 v19, v18, v20, vcc
	v_and_b32_e32 v18, 0x7f800000, v19
	v_cmp_ne_u32_e64 s[28:29], s96, v18
                                        ; implicit-def: $vgpr18
	s_and_saveexec_b64 s[90:91], s[28:29]
	s_xor_b64 s[28:29], exec, s[90:91]
; %bb.789:                              ;   in Loop: Header=BB8_303 Depth=3
	v_bfe_u32 v18, v19, 16, 1
	v_add3_u32 v18, v19, v18, s97
                                        ; implicit-def: $vgpr19
; %bb.790:                              ;   in Loop: Header=BB8_303 Depth=3
	s_andn2_saveexec_b64 s[90:91], s[28:29]
; %bb.791:                              ;   in Loop: Header=BB8_303 Depth=3
	v_or_b32_e32 v18, 0x10000, v19
	v_cmp_eq_u32_sdwa s[28:29], v19, v2 src0_sel:WORD_0 src1_sel:DWORD
	v_cndmask_b32_e64 v18, v18, v19, s[28:29]
; %bb.792:                              ;   in Loop: Header=BB8_303 Depth=3
	s_or_b64 exec, exec, s[90:91]
	v_max_f32_e32 v16, v16, v16
	v_max_f32_e32 v15, v15, v15
	v_min_f32_e32 v19, v15, v16
	v_max_f32_e32 v15, v15, v16
	v_cndmask_b32_e32 v16, v15, v19, vcc
	v_and_b32_e32 v15, 0x7f800000, v16
	v_cmp_ne_u32_e64 s[28:29], s96, v15
                                        ; implicit-def: $vgpr15
	s_and_saveexec_b64 s[90:91], s[28:29]
	s_xor_b64 s[28:29], exec, s[90:91]
; %bb.793:                              ;   in Loop: Header=BB8_303 Depth=3
	v_bfe_u32 v15, v16, 16, 1
	v_add3_u32 v15, v16, v15, s97
                                        ; implicit-def: $vgpr16
; %bb.794:                              ;   in Loop: Header=BB8_303 Depth=3
	s_andn2_saveexec_b64 s[90:91], s[28:29]
; %bb.795:                              ;   in Loop: Header=BB8_303 Depth=3
	v_or_b32_e32 v15, 0x10000, v16
	v_cmp_eq_u32_sdwa s[28:29], v16, v2 src0_sel:WORD_0 src1_sel:DWORD
	v_cndmask_b32_e64 v15, v15, v16, s[28:29]
; %bb.796:                              ;   in Loop: Header=BB8_303 Depth=3
	s_or_b64 exec, exec, s[90:91]
	v_max_f32_e32 v13, v13, v13
	v_max_f32_e32 v11, v11, v11
	v_min_f32_e32 v16, v11, v13
	v_max_f32_e32 v11, v11, v13
	v_cndmask_b32_e32 v13, v11, v16, vcc
	v_and_b32_e32 v11, 0x7f800000, v13
	v_cmp_ne_u32_e64 s[28:29], s96, v11
                                        ; implicit-def: $vgpr11
	s_and_saveexec_b64 s[90:91], s[28:29]
	s_xor_b64 s[28:29], exec, s[90:91]
; %bb.797:                              ;   in Loop: Header=BB8_303 Depth=3
	v_bfe_u32 v11, v13, 16, 1
	v_add3_u32 v11, v13, v11, s97
                                        ; implicit-def: $vgpr13
; %bb.798:                              ;   in Loop: Header=BB8_303 Depth=3
	s_andn2_saveexec_b64 s[90:91], s[28:29]
; %bb.799:                              ;   in Loop: Header=BB8_303 Depth=3
	v_or_b32_e32 v11, 0x10000, v13
	v_cmp_eq_u32_sdwa s[28:29], v13, v2 src0_sel:WORD_0 src1_sel:DWORD
	v_cndmask_b32_e64 v11, v11, v13, s[28:29]
; %bb.800:                              ;   in Loop: Header=BB8_303 Depth=3
	s_or_b64 exec, exec, s[90:91]
	v_max_f32_e32 v9, v9, v9
	v_max_f32_e32 v8, v8, v8
	v_min_f32_e32 v13, v8, v9
	v_max_f32_e32 v8, v8, v9
	v_cndmask_b32_e32 v9, v8, v13, vcc
	v_and_b32_e32 v8, 0x7f800000, v9
	v_cmp_ne_u32_e64 s[28:29], s96, v8
                                        ; implicit-def: $vgpr8
	s_and_saveexec_b64 s[90:91], s[28:29]
	s_xor_b64 s[28:29], exec, s[90:91]
; %bb.801:                              ;   in Loop: Header=BB8_303 Depth=3
	v_bfe_u32 v8, v9, 16, 1
	v_add3_u32 v8, v9, v8, s97
                                        ; implicit-def: $vgpr9
; %bb.802:                              ;   in Loop: Header=BB8_303 Depth=3
	s_andn2_saveexec_b64 s[90:91], s[28:29]
; %bb.803:                              ;   in Loop: Header=BB8_303 Depth=3
	v_or_b32_e32 v8, 0x10000, v9
	v_cmp_eq_u32_sdwa s[28:29], v9, v2 src0_sel:WORD_0 src1_sel:DWORD
	v_cndmask_b32_e64 v8, v8, v9, s[28:29]
; %bb.804:                              ;   in Loop: Header=BB8_303 Depth=3
	s_or_b64 exec, exec, s[90:91]
	v_max_f32_e32 v3, v3, v3
	v_max_f32_e32 v1, v1, v1
	v_min_f32_e32 v9, v1, v3
	v_max_f32_e32 v1, v1, v3
	v_cndmask_b32_e32 v3, v1, v9, vcc
	v_and_b32_e32 v1, 0x7f800000, v3
	v_cmp_ne_u32_e32 vcc, s96, v1
                                        ; implicit-def: $vgpr1
	s_and_saveexec_b64 s[28:29], vcc
	s_xor_b64 s[28:29], exec, s[28:29]
; %bb.805:                              ;   in Loop: Header=BB8_303 Depth=3
	v_bfe_u32 v1, v3, 16, 1
	v_add3_u32 v1, v3, v1, s97
                                        ; implicit-def: $vgpr3
; %bb.806:                              ;   in Loop: Header=BB8_303 Depth=3
	s_andn2_saveexec_b64 s[28:29], s[28:29]
; %bb.807:                              ;   in Loop: Header=BB8_303 Depth=3
	v_or_b32_e32 v1, 0x10000, v3
	v_cmp_eq_u32_sdwa vcc, v3, v2 src0_sel:WORD_0 src1_sel:DWORD
	v_cndmask_b32_e32 v1, v1, v3, vcc
; %bb.808:                              ;   in Loop: Header=BB8_303 Depth=3
	s_or_b64 exec, exec, s[28:29]
	flat_store_short_d16_hi v[6:7], v10 glc slc
	flat_store_short_d16_hi v[6:7], v14 offset:128 glc slc
	flat_store_short_d16_hi v[6:7], v17 offset:256 glc slc
	flat_store_short_d16_hi v[6:7], v18 offset:384 glc slc
	flat_store_short_d16_hi v[6:7], v15 offset:512 glc slc
	flat_store_short_d16_hi v[6:7], v11 offset:640 glc slc
	flat_store_short_d16_hi v[6:7], v8 offset:768 glc slc
	flat_store_short_d16_hi v[6:7], v1 offset:896 glc slc
.LBB8_809:                              ;   in Loop: Header=BB8_303 Depth=3
	s_or_b64 exec, exec, s[40:41]
	v_lshlrev_b32_e32 v1, 10, v4
	v_cmp_ne_u32_e32 vcc, v37, v1
	s_and_b64 exec, exec, vcc
	s_cbranch_execz .LBB8_834
; %bb.810:                              ;   in Loop: Header=BB8_303 Depth=3
	v_lshlrev_b32_e32 v3, 6, v5
	v_sub_u32_e32 v3, v57, v3
	v_ashrrev_i32_e32 v4, 31, v3
	v_lshrrev_b32_e32 v4, 26, v4
	v_add_u32_e32 v4, v3, v4
	v_and_b32_e32 v5, 0x7fffffc0, v4
	v_sub_u32_e32 v3, v3, v5
	v_lshlrev_b32_e32 v4, 1, v4
	v_and_b32_e32 v4, 0xffffff80, v4
	v_lshlrev_b32_e32 v3, 1, v3
	v_add3_u32 v3, v4, v3, v1
	v_sub_u32_e32 v1, v37, v3
	v_cmp_lt_i32_e32 vcc, 1, v1
	s_and_b64 exec, exec, vcc
	s_cbranch_execz .LBB8_834
; %bb.811:                              ;   in Loop: Header=BB8_303 Depth=3
	s_trap 2
	ds_read_b64 v[9:10], v0
	buffer_load_dword v4, off, s[0:3], s33 offset:244 ; 4-byte Folded Reload
	buffer_load_dword v5, off, s[0:3], s33 offset:248 ; 4-byte Folded Reload
	v_add_u32_e32 v3, v3, v12
	v_ashrrev_i32_e32 v11, 31, v3
	v_add_co_u32_e32 v6, vcc, v35, v3
	v_addc_co_u32_e32 v7, vcc, v36, v11, vcc
	s_and_b32 s28, s46, 0xff
	s_cmp_eq_u32 s28, 0
	s_mov_b64 s[94:95], 0
	s_mov_b64 s[90:91], 0
	s_cselect_b64 s[28:29], -1, 0
                                        ; implicit-def: $sgpr92_sgpr93
	s_waitcnt vmcnt(0)
	v_add_co_u32_e32 v8, vcc, v3, v4
	v_addc_co_u32_e32 v5, vcc, v11, v5, vcc
	s_waitcnt lgkmcnt(0)
	v_add_co_u32_e32 v4, vcc, v9, v3
	v_addc_co_u32_e32 v3, vcc, v10, v11, vcc
	s_branch .LBB8_813
.LBB8_812:                              ;   in Loop: Header=BB8_813 Depth=4
	s_or_b64 exec, exec, s[40:41]
	v_lshrrev_b32_e32 v9, 16, v10
	buffer_store_short v9, off, s[0:3], s33 offset:64
	flat_store_short v[6:7], v9 glc slc
	buffer_load_dword v11, off, s[0:3], s33 offset:172 ; 4-byte Folded Reload
	buffer_load_dword v12, off, s[0:3], s33 offset:176 ; 4-byte Folded Reload
	;; [unrolled: 1-line block ×4, first 2 shown]
	v_mov_b32_e32 v15, 0x80
	s_waitcnt vmcnt(0)
	v_add_co_u32_e32 v9, vcc, v8, v11
	v_cndmask_b32_e64 v8, v8, v9, s[94:95]
	buffer_load_dword v9, off, s[0:3], s33 offset:156 ; 4-byte Folded Reload
	v_addc_co_u32_e32 v10, vcc, v5, v12, vcc
	v_add_co_u32_e32 v11, vcc, v4, v11
	v_addc_co_u32_e32 v12, vcc, v3, v12, vcc
	v_cndmask_b32_e64 v14, v15, v14, s[94:95]
	v_cndmask_b32_e64 v13, 0, v13, s[94:95]
	v_add_co_u32_e32 v6, vcc, v6, v14
	v_addc_co_u32_e32 v7, vcc, v7, v13, vcc
	v_cndmask_b32_e64 v3, v3, v12, s[94:95]
	v_cndmask_b32_e64 v4, v4, v11, s[94:95]
	;; [unrolled: 1-line block ×3, first 2 shown]
	s_waitcnt vmcnt(0)
	v_cndmask_b32_e64 v9, 0, v9, s[94:95]
	v_sub_u32_e32 v1, v1, v9
	v_cmp_gt_i32_e32 vcc, 2, v1
	s_or_b64 s[90:91], vcc, s[90:91]
	s_andn2_b64 s[40:41], s[92:93], exec
	s_and_b64 s[46:47], s[94:95], exec
	s_or_b64 s[92:93], s[40:41], s[46:47]
	s_andn2_b64 exec, exec, s[90:91]
	s_cbranch_execz .LBB8_828
.LBB8_813:                              ;   Parent Loop BB8_47 Depth=1
                                        ;     Parent Loop BB8_300 Depth=2
                                        ;       Parent Loop BB8_303 Depth=3
                                        ; =>      This Loop Header: Depth=4
                                        ;           Child Loop BB8_814 Depth 5
                                        ;           Child Loop BB8_823 Depth 5
	s_lshr_b32 s46, s33, 6
	s_add_i32 s46, s46, 64
	s_mov_b64 s[30:31], -1
	s_mov_b64 s[34:35], 0
.LBB8_814:                              ;   Parent Loop BB8_47 Depth=1
                                        ;     Parent Loop BB8_300 Depth=2
                                        ;       Parent Loop BB8_303 Depth=3
                                        ;         Parent Loop BB8_813 Depth=4
                                        ; =>        This Inner Loop Header: Depth=5
	s_cmp_eq_u32 s34, 1
	s_cselect_b64 s[40:41], -1, 0
	v_cndmask_b32_e64 v10, v5, v3, s[40:41]
	v_cndmask_b32_e64 v9, v8, v4, s[40:41]
	flat_load_ushort v11, v[9:10] glc slc
	v_add_co_u32_e32 v9, vcc, 0x80, v9
	v_addc_co_u32_e32 v10, vcc, 0, v10, vcc
	s_cmp_eq_u32 s34, 0
	v_mov_b32_e32 v12, s46
	s_cselect_b64 vcc, -1, 0
	s_lshr_b32 s46, s33, 6
	s_addk_i32 s46, 0x60
	v_cndmask_b32_e64 v3, v3, v10, s[40:41]
	v_cndmask_b32_e64 v4, v4, v9, s[40:41]
	v_cndmask_b32_e32 v5, v5, v10, vcc
	v_cndmask_b32_e32 v8, v8, v9, vcc
	s_mov_b64 s[34:35], 1
	s_and_b64 vcc, exec, s[30:31]
	s_mov_b64 s[30:31], 0
	s_waitcnt vmcnt(0) lgkmcnt(0)
	buffer_store_short v11, v12, s[0:3], 0 offen
	s_cbranch_vccnz .LBB8_814
; %bb.815:                              ;   in Loop: Header=BB8_813 Depth=4
	s_and_saveexec_b64 s[40:41], s[94:95]
	s_cbranch_execz .LBB8_821
; %bb.816:                              ;   in Loop: Header=BB8_813 Depth=4
	buffer_load_ushort v9, off, s[0:3], s33 offset:56
	buffer_load_ushort v10, off, s[0:3], s33 offset:58
	s_waitcnt vmcnt(1)
	v_lshlrev_b32_e32 v9, 16, v9
	s_waitcnt vmcnt(0)
	v_lshlrev_b32_e32 v10, 16, v10
	v_max_f32_e32 v10, v10, v10
	v_max_f32_e32 v9, v9, v9
	v_min_f32_e32 v11, v9, v10
	v_max_f32_e32 v9, v9, v10
	v_cndmask_b32_e64 v9, v9, v11, s[28:29]
	v_and_b32_e32 v10, 0x7f800000, v9
	v_cmp_ne_u32_e32 vcc, s96, v10
                                        ; implicit-def: $vgpr10
	s_and_saveexec_b64 s[46:47], vcc
	s_xor_b64 s[94:95], exec, s[46:47]
; %bb.817:                              ;   in Loop: Header=BB8_813 Depth=4
	v_bfe_u32 v10, v9, 16, 1
	v_add3_u32 v10, v9, v10, s97
                                        ; implicit-def: $vgpr9
; %bb.818:                              ;   in Loop: Header=BB8_813 Depth=4
	s_andn2_saveexec_b64 s[94:95], s[94:95]
; %bb.819:                              ;   in Loop: Header=BB8_813 Depth=4
	v_or_b32_e32 v10, 0x10000, v9
	v_cmp_eq_u32_sdwa vcc, v9, v2 src0_sel:WORD_0 src1_sel:DWORD
	v_cndmask_b32_e32 v10, v10, v9, vcc
; %bb.820:                              ;   in Loop: Header=BB8_813 Depth=4
	s_or_b64 exec, exec, s[94:95]
	v_lshrrev_b32_e32 v9, 16, v10
	buffer_store_short v9, off, s[0:3], s33 offset:56
	flat_store_short v[6:7], v9 glc slc
	buffer_load_dword v9, off, s[0:3], s33 offset:180 ; 4-byte Folded Reload
	s_waitcnt vmcnt(0)
	v_add_co_u32_e32 v6, vcc, v6, v9
	buffer_load_dword v9, off, s[0:3], s33 offset:184 ; 4-byte Folded Reload
	s_waitcnt vmcnt(0)
	v_addc_co_u32_e32 v7, vcc, v7, v9, vcc
.LBB8_821:                              ;   in Loop: Header=BB8_813 Depth=4
	s_or_b64 exec, exec, s[40:41]
	buffer_load_dword v9, off, s[0:3], s33 offset:172 ; 4-byte Folded Reload
	buffer_load_dword v10, off, s[0:3], s33 offset:176 ; 4-byte Folded Reload
	s_waitcnt vmcnt(0)
	v_add_co_u32_e32 v8, vcc, v8, v9
	v_addc_co_u32_e32 v5, vcc, v5, v10, vcc
	v_add_co_u32_e32 v4, vcc, v4, v9
	buffer_load_dword v9, off, s[0:3], s33 offset:156 ; 4-byte Folded Reload
	v_addc_co_u32_e32 v3, vcc, v3, v10, vcc
	s_waitcnt vmcnt(0)
	v_sub_u32_e32 v1, v1, v9
	v_cmp_lt_i32_e64 s[94:95], 1, v1
	s_and_saveexec_b64 s[30:31], s[94:95]
	s_cbranch_execz .LBB8_824
; %bb.822:                              ;   in Loop: Header=BB8_813 Depth=4
	s_lshr_b32 s46, s33, 6
	s_add_i32 s46, s46, 56
	s_mov_b64 s[36:37], 0
	s_mov_b64 s[34:35], -1
.LBB8_823:                              ;   Parent Loop BB8_47 Depth=1
                                        ;     Parent Loop BB8_300 Depth=2
                                        ;       Parent Loop BB8_303 Depth=3
                                        ;         Parent Loop BB8_813 Depth=4
                                        ; =>        This Inner Loop Header: Depth=5
	s_cmp_eq_u32 s36, 1
	s_cselect_b64 s[40:41], -1, 0
	v_cndmask_b32_e64 v10, v5, v3, s[40:41]
	v_cndmask_b32_e64 v9, v8, v4, s[40:41]
	flat_load_ushort v11, v[9:10] glc slc
	v_add_co_u32_e32 v9, vcc, 0x80, v9
	v_addc_co_u32_e32 v10, vcc, 0, v10, vcc
	s_cmp_eq_u32 s36, 0
	v_mov_b32_e32 v12, s46
	s_cselect_b64 vcc, -1, 0
	s_lshr_b32 s46, s33, 6
	s_add_i32 s46, s46, 58
	v_cndmask_b32_e32 v5, v5, v10, vcc
	v_cndmask_b32_e32 v8, v8, v9, vcc
	v_cndmask_b32_e64 v3, v3, v10, s[40:41]
	v_cndmask_b32_e64 v4, v4, v9, s[40:41]
	s_mov_b64 s[36:37], 1
	s_and_b64 vcc, exec, s[34:35]
	s_mov_b64 s[34:35], 0
	s_waitcnt vmcnt(0) lgkmcnt(0)
	buffer_store_short v11, v12, s[0:3], 0 offen
	s_cbranch_vccnz .LBB8_823
.LBB8_824:                              ;   in Loop: Header=BB8_813 Depth=4
	s_or_b64 exec, exec, s[30:31]
	buffer_load_ushort v9, off, s[0:3], s33 offset:64
	buffer_load_ushort v10, off, s[0:3], s33 offset:96
	s_waitcnt vmcnt(0)
	v_lshlrev_b32_e32 v9, 16, v9
	v_lshlrev_b32_e32 v10, 16, v10
	v_max_f32_e32 v10, v10, v10
	v_max_f32_e32 v9, v9, v9
	v_min_f32_e32 v11, v9, v10
	v_max_f32_e32 v9, v9, v10
	v_cndmask_b32_e64 v9, v9, v11, s[28:29]
	v_and_b32_e32 v10, 0x7f800000, v9
	v_cmp_ne_u32_e32 vcc, s96, v10
                                        ; implicit-def: $vgpr10
	s_and_saveexec_b64 s[40:41], vcc
	s_xor_b64 s[40:41], exec, s[40:41]
; %bb.825:                              ;   in Loop: Header=BB8_813 Depth=4
	v_bfe_u32 v10, v9, 16, 1
	v_add3_u32 v10, v9, v10, s97
                                        ; implicit-def: $vgpr9
; %bb.826:                              ;   in Loop: Header=BB8_813 Depth=4
	s_andn2_saveexec_b64 s[40:41], s[40:41]
	s_cbranch_execz .LBB8_812
; %bb.827:                              ;   in Loop: Header=BB8_813 Depth=4
	v_or_b32_e32 v10, 0x10000, v9
	v_cmp_eq_u32_sdwa vcc, v9, v2 src0_sel:WORD_0 src1_sel:DWORD
	v_cndmask_b32_e32 v10, v10, v9, vcc
	s_branch .LBB8_812
.LBB8_828:                              ;   in Loop: Header=BB8_303 Depth=3
	s_or_b64 exec, exec, s[90:91]
	s_and_b64 exec, exec, s[92:93]
	s_cbranch_execz .LBB8_834
; %bb.829:                              ;   in Loop: Header=BB8_303 Depth=3
	buffer_load_ushort v1, off, s[0:3], s33 offset:56
	buffer_load_ushort v3, off, s[0:3], s33 offset:58
	s_waitcnt vmcnt(0)
	v_lshlrev_b32_e32 v1, 16, v1
	v_lshlrev_b32_e32 v3, 16, v3
	v_max_f32_e32 v3, v3, v3
	v_max_f32_e32 v1, v1, v1
	v_min_f32_e32 v4, v1, v3
	v_max_f32_e32 v1, v1, v3
	v_cndmask_b32_e64 v1, v1, v4, s[28:29]
	v_and_b32_e32 v3, 0x7f800000, v1
	v_cmp_ne_u32_e32 vcc, s96, v3
                                        ; implicit-def: $vgpr3
	s_and_saveexec_b64 s[28:29], vcc
	s_xor_b64 s[28:29], exec, s[28:29]
; %bb.830:                              ;   in Loop: Header=BB8_303 Depth=3
	v_bfe_u32 v3, v1, 16, 1
	v_add3_u32 v3, v1, v3, s97
                                        ; implicit-def: $vgpr1
; %bb.831:                              ;   in Loop: Header=BB8_303 Depth=3
	s_andn2_saveexec_b64 s[28:29], s[28:29]
; %bb.832:                              ;   in Loop: Header=BB8_303 Depth=3
	v_or_b32_e32 v3, 0x10000, v1
	v_cmp_eq_u32_sdwa vcc, v1, v2 src0_sel:WORD_0 src1_sel:DWORD
	v_cndmask_b32_e32 v3, v3, v1, vcc
; %bb.833:                              ;   in Loop: Header=BB8_303 Depth=3
	s_or_b64 exec, exec, s[28:29]
	flat_store_short_d16_hi v[6:7], v3 glc slc
.LBB8_834:                              ;   in Loop: Header=BB8_303 Depth=3
	s_or_b64 exec, exec, s[42:43]
	v_cmp_lt_i32_e64 s[28:29], 0, v32
	s_and_saveexec_b64 s[40:41], s[10:11]
	s_cbranch_execz .LBB8_378
.LBB8_835:                              ;   in Loop: Header=BB8_303 Depth=3
	s_and_saveexec_b64 s[42:43], s[58:59]
	s_xor_b64 s[42:43], exec, s[42:43]
	s_cbranch_execz .LBB8_850
; %bb.836:                              ;   in Loop: Header=BB8_303 Depth=3
	s_and_saveexec_b64 s[90:91], s[16:17]
	s_cbranch_execz .LBB8_849
; %bb.837:                              ;   in Loop: Header=BB8_303 Depth=3
	s_mov_b64 s[94:95], exec
	s_waitcnt vmcnt(0)
	v_mbcnt_lo_u32_b32 v1, s94, 0
	v_mbcnt_hi_u32_b32 v1, s95, v1
	v_cmp_eq_u32_e32 vcc, 0, v1
	s_waitcnt lgkmcnt(0)
	buffer_wbinvl1_vol
	s_and_saveexec_b64 s[92:93], vcc
	s_cbranch_execz .LBB8_839
; %bb.838:                              ;   in Loop: Header=BB8_303 Depth=3
	s_bcnt1_i32_b64 s46, s[94:95]
	v_mov_b32_e32 v3, s46
	v_mov_b32_e32 v4, v2
	ds_add_u64 v0, v[3:4]
	s_trap 2
.LBB8_839:                              ;   in Loop: Header=BB8_303 Depth=3
	s_or_b64 exec, exec, s[92:93]
	s_trap 2
	ds_read_b64 v[3:4], v0
	s_waitcnt lgkmcnt(0)
	buffer_load_dword v5, off, s[0:3], s33 offset:132 ; 4-byte Folded Reload
	buffer_load_dword v6, off, s[0:3], s33 offset:136 ; 4-byte Folded Reload
	s_waitcnt vmcnt(1)
	v_add_co_u32_e32 v5, vcc, v5, v52
	s_waitcnt vmcnt(0)
	v_addc_co_u32_e32 v6, vcc, 0, v6, vcc
	buffer_store_dword v5, off, s[0:3], s33 offset:132 ; 4-byte Folded Spill
	s_nop 0
	buffer_store_dword v6, off, s[0:3], s33 offset:136 ; 4-byte Folded Spill
	v_cmp_lt_u64_e32 vcc, v[3:4], v[5:6]
	s_and_saveexec_b64 s[92:93], vcc
	s_cbranch_execz .LBB8_848
; %bb.840:                              ;   in Loop: Header=BB8_303 Depth=3
	s_mov_b32 s46, 0
	s_mov_b64 s[94:95], 0
                                        ; implicit-def: $sgpr30_sgpr31
                                        ; implicit-def: $sgpr34_sgpr35
	s_branch .LBB8_842
.LBB8_841:                              ;   in Loop: Header=BB8_842 Depth=4
	s_or_b64 exec, exec, s[38:39]
	s_and_b64 vcc, exec, vcc
	s_or_b64 s[94:95], vcc, s[94:95]
	s_andn2_b64 vcc, s[30:31], exec
	s_and_b64 s[30:31], s[34:35], exec
	s_or_b64 s[30:31], vcc, s[30:31]
	s_andn2_b64 exec, exec, s[94:95]
	s_cbranch_execz .LBB8_846
.LBB8_842:                              ;   Parent Loop BB8_47 Depth=1
                                        ;     Parent Loop BB8_300 Depth=2
                                        ;       Parent Loop BB8_303 Depth=3
                                        ; =>      This Inner Loop Header: Depth=4
	s_add_i32 s46, s46, 1
	s_cmpk_lg_i32 s46, 0x2710
	s_cselect_b64 s[36:37], -1, 0
	s_and_b64 vcc, exec, s[36:37]
	s_cbranch_vccz .LBB8_844
; %bb.843:                              ;   in Loop: Header=BB8_842 Depth=4
	s_mov_b64 vcc, -1
	s_or_b64 s[34:35], s[34:35], exec
	s_and_saveexec_b64 s[38:39], s[36:37]
	s_cbranch_execz .LBB8_841
	s_branch .LBB8_845
.LBB8_844:                              ;   in Loop: Header=BB8_842 Depth=4
	s_trap 2
	ds_read_b64 v[3:4], v0
	s_andn2_b64 s[36:37], s[36:37], exec
	s_mov_b32 s46, 0
	s_waitcnt vmcnt(0) lgkmcnt(0)
	flat_load_dword v1, v[3:4] glc
	s_waitcnt vmcnt(0) lgkmcnt(0)
	buffer_wbinvl1_vol
	v_cmp_eq_u32_e32 vcc, 0, v1
	s_and_b64 vcc, vcc, exec
	s_or_b64 s[36:37], s[36:37], vcc
	s_mov_b64 vcc, -1
	s_or_b64 s[34:35], s[34:35], exec
	s_and_saveexec_b64 s[38:39], s[36:37]
	s_cbranch_execz .LBB8_841
.LBB8_845:                              ;   in Loop: Header=BB8_842 Depth=4
	s_sleep 1
	s_trap 2
	ds_read_b64 v[3:4], v0
	s_waitcnt lgkmcnt(0)
	buffer_load_dword v5, off, s[0:3], s33 offset:132 ; 4-byte Folded Reload
	buffer_load_dword v6, off, s[0:3], s33 offset:136 ; 4-byte Folded Reload
	s_andn2_b64 s[34:35], s[34:35], exec
	s_waitcnt vmcnt(0)
	v_cmp_ge_u64_e32 vcc, v[3:4], v[5:6]
	s_orn2_b64 vcc, vcc, exec
	s_branch .LBB8_841
.LBB8_846:                              ;   in Loop: Header=BB8_303 Depth=3
	s_or_b64 exec, exec, s[94:95]
	s_and_saveexec_b64 s[46:47], s[30:31]
	s_xor_b64 s[46:47], exec, s[46:47]
	s_cbranch_execz .LBB8_848
; %bb.847:                              ;   in Loop: Header=BB8_303 Depth=3
	v_mov_b32_e32 v1, 1
	ds_write_b32 v0, v1
	s_trap 2
.LBB8_848:                              ;   in Loop: Header=BB8_303 Depth=3
	s_or_b64 exec, exec, s[92:93]
	;;#ASMSTART
	s_wakeup
	;;#ASMEND
.LBB8_849:                              ;   in Loop: Header=BB8_303 Depth=3
	s_or_b64 exec, exec, s[90:91]
.LBB8_850:                              ;   in Loop: Header=BB8_303 Depth=3
	s_andn2_saveexec_b64 s[42:43], s[42:43]
	s_cbranch_execz .LBB8_852
; %bb.851:                              ;   in Loop: Header=BB8_303 Depth=3
	s_waitcnt vmcnt(0) lgkmcnt(0)
	buffer_wbinvl1_vol
	s_barrier
.LBB8_852:                              ;   in Loop: Header=BB8_303 Depth=3
	s_or_b64 exec, exec, s[42:43]
	s_or_b64 exec, exec, s[40:41]
                                        ; implicit-def: $vgpr1
	s_and_saveexec_b64 s[40:41], s[24:25]
	s_xor_b64 s[40:41], exec, s[40:41]
	s_cbranch_execnz .LBB8_379
.LBB8_853:                              ;   in Loop: Header=BB8_303 Depth=3
	s_andn2_saveexec_b64 s[28:29], s[40:41]
	s_cbranch_execz .LBB8_872
.LBB8_854:                              ;   in Loop: Header=BB8_303 Depth=3
	s_and_saveexec_b64 s[40:41], s[58:59]
	s_xor_b64 s[40:41], exec, s[40:41]
	s_cbranch_execz .LBB8_869
; %bb.855:                              ;   in Loop: Header=BB8_303 Depth=3
	s_and_saveexec_b64 s[42:43], s[16:17]
	s_cbranch_execz .LBB8_868
; %bb.856:                              ;   in Loop: Header=BB8_303 Depth=3
	s_mov_b64 s[92:93], exec
	s_waitcnt vmcnt(0)
	v_mbcnt_lo_u32_b32 v1, s92, 0
	v_mbcnt_hi_u32_b32 v1, s93, v1
	v_cmp_eq_u32_e32 vcc, 0, v1
	;;#ASMSTART
	s_waitcnt lgkmcnt(0) vmcnt(0)
	;;#ASMEND
	s_and_saveexec_b64 s[90:91], vcc
	s_cbranch_execz .LBB8_858
; %bb.857:                              ;   in Loop: Header=BB8_303 Depth=3
	s_bcnt1_i32_b64 s46, s[92:93]
	v_mov_b32_e32 v3, s46
	v_mov_b32_e32 v4, v2
	s_waitcnt lgkmcnt(0)
	ds_add_u64 v0, v[3:4]
	s_trap 2
.LBB8_858:                              ;   in Loop: Header=BB8_303 Depth=3
	s_or_b64 exec, exec, s[90:91]
	s_trap 2
	ds_read_b64 v[3:4], v0
	s_waitcnt lgkmcnt(0)
	buffer_load_dword v5, off, s[0:3], s33 offset:132 ; 4-byte Folded Reload
	buffer_load_dword v6, off, s[0:3], s33 offset:136 ; 4-byte Folded Reload
	s_waitcnt vmcnt(1)
	v_add_co_u32_e32 v5, vcc, v5, v52
	s_waitcnt vmcnt(0)
	v_addc_co_u32_e32 v6, vcc, 0, v6, vcc
	buffer_store_dword v5, off, s[0:3], s33 offset:132 ; 4-byte Folded Spill
	s_nop 0
	buffer_store_dword v6, off, s[0:3], s33 offset:136 ; 4-byte Folded Spill
	v_cmp_lt_u64_e32 vcc, v[3:4], v[5:6]
	s_and_saveexec_b64 s[90:91], vcc
	s_cbranch_execz .LBB8_867
; %bb.859:                              ;   in Loop: Header=BB8_303 Depth=3
	s_mov_b32 s46, 0
	s_mov_b64 s[92:93], 0
                                        ; implicit-def: $sgpr94_sgpr95
                                        ; implicit-def: $sgpr30_sgpr31
	s_branch .LBB8_861
.LBB8_860:                              ;   in Loop: Header=BB8_861 Depth=4
	s_or_b64 exec, exec, s[36:37]
	s_and_b64 vcc, exec, vcc
	s_or_b64 s[92:93], vcc, s[92:93]
	s_andn2_b64 s[94:95], s[94:95], exec
	s_and_b64 vcc, s[30:31], exec
	s_or_b64 s[94:95], s[94:95], vcc
	s_andn2_b64 exec, exec, s[92:93]
	s_cbranch_execz .LBB8_865
.LBB8_861:                              ;   Parent Loop BB8_47 Depth=1
                                        ;     Parent Loop BB8_300 Depth=2
                                        ;       Parent Loop BB8_303 Depth=3
                                        ; =>      This Inner Loop Header: Depth=4
	s_add_i32 s46, s46, 1
	s_cmpk_lg_i32 s46, 0x2710
	s_cselect_b64 s[34:35], -1, 0
	s_and_b64 vcc, exec, s[34:35]
	s_cbranch_vccz .LBB8_863
; %bb.862:                              ;   in Loop: Header=BB8_861 Depth=4
	s_mov_b64 vcc, -1
	s_or_b64 s[30:31], s[30:31], exec
	s_and_saveexec_b64 s[36:37], s[34:35]
	s_cbranch_execz .LBB8_860
	s_branch .LBB8_864
.LBB8_863:                              ;   in Loop: Header=BB8_861 Depth=4
	s_trap 2
	ds_read_b64 v[3:4], v0
	s_andn2_b64 s[34:35], s[34:35], exec
	s_mov_b32 s46, 0
	s_waitcnt vmcnt(0) lgkmcnt(0)
	flat_load_dword v1, v[3:4] glc
	s_waitcnt vmcnt(0) lgkmcnt(0)
	buffer_wbinvl1_vol
	v_cmp_eq_u32_e32 vcc, 0, v1
	s_and_b64 vcc, vcc, exec
	s_or_b64 s[34:35], s[34:35], vcc
	s_mov_b64 vcc, -1
	s_or_b64 s[30:31], s[30:31], exec
	s_and_saveexec_b64 s[36:37], s[34:35]
	s_cbranch_execz .LBB8_860
.LBB8_864:                              ;   in Loop: Header=BB8_861 Depth=4
	s_sleep 1
	s_trap 2
	ds_read_b64 v[3:4], v0
	s_waitcnt lgkmcnt(0)
	buffer_load_dword v5, off, s[0:3], s33 offset:132 ; 4-byte Folded Reload
	buffer_load_dword v6, off, s[0:3], s33 offset:136 ; 4-byte Folded Reload
	s_andn2_b64 s[30:31], s[30:31], exec
	s_waitcnt vmcnt(0)
	v_cmp_ge_u64_e32 vcc, v[3:4], v[5:6]
	s_orn2_b64 vcc, vcc, exec
	s_branch .LBB8_860
.LBB8_865:                              ;   in Loop: Header=BB8_303 Depth=3
	s_or_b64 exec, exec, s[92:93]
	s_and_saveexec_b64 s[46:47], s[94:95]
	s_xor_b64 s[46:47], exec, s[46:47]
	s_cbranch_execz .LBB8_867
; %bb.866:                              ;   in Loop: Header=BB8_303 Depth=3
	v_mov_b32_e32 v1, 1
	ds_write_b32 v0, v1
	s_trap 2
.LBB8_867:                              ;   in Loop: Header=BB8_303 Depth=3
	s_or_b64 exec, exec, s[90:91]
	;;#ASMSTART
	s_wakeup
	;;#ASMEND
.LBB8_868:                              ;   in Loop: Header=BB8_303 Depth=3
	s_or_b64 exec, exec, s[42:43]
.LBB8_869:                              ;   in Loop: Header=BB8_303 Depth=3
	s_andn2_saveexec_b64 s[40:41], s[40:41]
	s_cbranch_execz .LBB8_871
; %bb.870:                              ;   in Loop: Header=BB8_303 Depth=3
	;;#ASMSTART
	s_waitcnt lgkmcnt(0) vmcnt(0)
	;;#ASMEND
	s_waitcnt vmcnt(0) lgkmcnt(0)
	s_barrier
.LBB8_871:                              ;   in Loop: Header=BB8_303 Depth=3
	s_or_b64 exec, exec, s[40:41]
	s_waitcnt vmcnt(0)
	v_and_b32_e32 v1, 16, v56
.LBB8_872:                              ;   in Loop: Header=BB8_303 Depth=3
	s_or_b64 exec, exec, s[28:29]
	s_waitcnt vmcnt(0)
	v_cmp_ne_u32_e32 vcc, 0, v1
	s_xor_b64 s[28:29], s[12:13], -1
	s_and_b64 s[40:41], vcc, s[28:29]
	s_and_saveexec_b64 s[28:29], s[40:41]
	s_cbranch_execz .LBB8_874
; %bb.873:                              ;   in Loop: Header=BB8_303 Depth=3
	buffer_load_dword v3, off, s[0:3], s33 offset:220 ; 4-byte Folded Reload
	buffer_load_dword v4, off, s[0:3], s33 offset:224 ; 4-byte Folded Reload
	v_mov_b32_e32 v1, 1
	s_waitcnt vmcnt(0)
	flat_store_dword v[3:4], v1
.LBB8_874:                              ;   in Loop: Header=BB8_303 Depth=3
	s_or_b64 exec, exec, s[28:29]
	v_and_b32_e32 v1, 48, v56
	v_cmp_ne_u32_e32 vcc, 0, v1
	s_and_saveexec_b64 s[28:29], vcc
	s_cbranch_execz .LBB8_302
; %bb.875:                              ;   in Loop: Header=BB8_303 Depth=3
	buffer_load_dword v3, off, s[0:3], s33 offset:148 ; 4-byte Folded Reload
	buffer_load_dword v4, off, s[0:3], s33 offset:152 ; 4-byte Folded Reload
	s_waitcnt vmcnt(0)
	v_add_co_u32_e32 v3, vcc, 2, v3
	v_addc_co_u32_e32 v4, vcc, 0, v4, vcc
	buffer_store_dword v3, off, s[0:3], s33 offset:148 ; 4-byte Folded Spill
	s_nop 0
	buffer_store_dword v4, off, s[0:3], s33 offset:152 ; 4-byte Folded Spill
	flat_store_dwordx2 v[40:41], v[3:4]
	s_branch .LBB8_302
.LBB8_876:                              ;   in Loop: Header=BB8_300 Depth=2
	s_or_b64 exec, exec, s[78:79]
.LBB8_877:                              ;   in Loop: Header=BB8_300 Depth=2
	s_or_b64 exec, exec, s[44:45]
	v_cmp_gt_i32_e32 vcc, 2, v1
	s_and_saveexec_b64 s[40:41], vcc
	s_cbranch_execz .LBB8_299
; %bb.878:                              ;   in Loop: Header=BB8_300 Depth=2
	v_cmp_eq_u32_e64 s[44:45], 0, v1
	s_mov_b64 s[42:43], 0
	s_branch .LBB8_880
.LBB8_879:                              ;   in Loop: Header=BB8_880 Depth=3
	s_or_b64 exec, exec, s[28:29]
	v_add_u32_e32 v0, v58, v0
	s_mov_b64 s[44:45], 0
	s_andn2_b64 exec, exec, s[42:43]
	s_cbranch_execz .LBB8_298
.LBB8_880:                              ;   Parent Loop BB8_47 Depth=1
                                        ;     Parent Loop BB8_300 Depth=2
                                        ; =>    This Loop Header: Depth=3
                                        ;         Child Loop BB8_886 Depth 4
                                        ;         Child Loop BB8_914 Depth 4
	;; [unrolled: 1-line block ×3, first 2 shown]
	v_sub_u32_e32 v1, v27, v0
	v_min_i32_e32 v58, v58, v1
	v_and_b32_e32 v1, 12, v56
	v_cmp_ne_u32_e32 vcc, 0, v1
	s_and_saveexec_b64 s[78:79], vcc
	s_cbranch_execz .LBB8_906
; %bb.881:                              ;   in Loop: Header=BB8_880 Depth=3
	buffer_load_dword v6, off, s[0:3], s33 offset:148 ; 4-byte Folded Reload
	buffer_load_dword v7, off, s[0:3], s33 offset:152 ; 4-byte Folded Reload
	v_and_b32_e32 v1, 8, v56
	s_waitcnt lgkmcnt(0)
	v_add_co_u32_e32 v3, vcc, v46, v1
	v_addc_co_u32_e32 v4, vcc, 0, v47, vcc
	s_waitcnt vmcnt(0)
	v_add_co_u32_e32 v6, vcc, 2, v6
	v_addc_co_u32_e32 v7, vcc, 0, v7, vcc
	v_cmp_lt_u64_e32 vcc, v[3:4], v[6:7]
	s_and_saveexec_b64 s[88:89], vcc
	s_cbranch_execz .LBB8_893
; %bb.882:                              ;   in Loop: Header=BB8_880 Depth=3
	v_and_b32_e32 v3, 64, v56
	s_mov_b32 s46, 0
	v_cmp_eq_u32_e32 vcc, 0, v3
	s_mov_b64 s[90:91], 0
                                        ; implicit-def: $sgpr92_sgpr93
                                        ; implicit-def: $sgpr94_sgpr95
                                        ; implicit-def: $sgpr30_sgpr31
	s_branch .LBB8_886
.LBB8_883:                              ;   in Loop: Header=BB8_886 Depth=4
	s_waitcnt vmcnt(0) lgkmcnt(0)
	v_add_co_u32_e64 v4, s[28:29], v46, v1
	v_addc_co_u32_e64 v5, s[28:29], 0, v47, s[28:29]
	v_cmp_ge_u64_e64 s[28:29], v[4:5], v[6:7]
	s_or_b64 s[38:39], s[38:39], exec
	s_orn2_b64 s[36:37], s[28:29], exec
.LBB8_884:                              ;   in Loop: Header=BB8_886 Depth=4
	s_or_b64 exec, exec, s[50:51]
	s_andn2_b64 s[28:29], s[30:31], exec
	s_and_b64 s[30:31], s[38:39], exec
	s_or_b64 s[30:31], s[28:29], s[30:31]
	s_andn2_b64 s[28:29], s[94:95], exec
	s_and_b64 s[94:95], s[36:37], exec
	s_or_b64 s[94:95], s[28:29], s[94:95]
.LBB8_885:                              ;   in Loop: Header=BB8_886 Depth=4
	s_or_b64 exec, exec, s[34:35]
	s_and_b64 s[28:29], exec, s[94:95]
	s_or_b64 s[90:91], s[28:29], s[90:91]
	s_andn2_b64 s[28:29], s[92:93], exec
	s_and_b64 s[92:93], s[30:31], exec
	s_or_b64 s[92:93], s[28:29], s[92:93]
	s_andn2_b64 exec, exec, s[90:91]
	s_cbranch_execz .LBB8_890
.LBB8_886:                              ;   Parent Loop BB8_47 Depth=1
                                        ;     Parent Loop BB8_300 Depth=2
                                        ;       Parent Loop BB8_880 Depth=3
                                        ; =>      This Inner Loop Header: Depth=4
	s_sleep 1
	s_waitcnt vmcnt(0) lgkmcnt(0)
	flat_load_dwordx2 v[46:47], v[40:41] glc
	s_or_b64 s[30:31], s[30:31], exec
	s_or_b64 s[94:95], s[94:95], exec
                                        ; implicit-def: $vgpr3
	s_and_saveexec_b64 s[34:35], vcc
	s_cbranch_execz .LBB8_885
; %bb.887:                              ;   in Loop: Header=BB8_886 Depth=4
	s_cmpk_lt_i32 s46, 0x270f
	s_cselect_b64 s[48:49], -1, 0
	s_cmpk_gt_i32 s46, 0x270e
	s_mov_b64 s[36:37], -1
	s_cbranch_scc0 .LBB8_889
; %bb.888:                              ;   in Loop: Header=BB8_886 Depth=4
	s_trap 2
	ds_read_b64 v[3:4], v0
	s_andn2_b64 s[48:49], s[48:49], exec
	s_mov_b32 s46, 0
	s_mov_b64 s[38:39], 0
	s_waitcnt vmcnt(0) lgkmcnt(0)
	flat_load_dword v3, v[3:4] glc
	s_waitcnt vmcnt(0) lgkmcnt(0)
	buffer_wbinvl1_vol
	v_cmp_eq_u32_e64 s[28:29], 0, v3
	s_and_b64 s[28:29], s[28:29], exec
	s_or_b64 s[48:49], s[48:49], s[28:29]
	s_and_saveexec_b64 s[50:51], s[48:49]
	s_cbranch_execz .LBB8_884
	s_branch .LBB8_883
.LBB8_889:                              ;   in Loop: Header=BB8_886 Depth=4
	s_add_i32 s46, s46, 1
	s_mov_b64 s[38:39], -1
                                        ; implicit-def: $vgpr3
	s_and_saveexec_b64 s[50:51], s[48:49]
	s_cbranch_execz .LBB8_884
	s_branch .LBB8_883
.LBB8_890:                              ;   in Loop: Header=BB8_880 Depth=3
	s_or_b64 exec, exec, s[90:91]
	s_xor_b64 s[28:29], s[92:93], -1
	s_and_saveexec_b64 s[46:47], s[28:29]
	s_xor_b64 s[28:29], exec, s[46:47]
	s_cbranch_execz .LBB8_892
; %bb.891:                              ;   in Loop: Header=BB8_880 Depth=3
	v_or_b32_e32 v56, 64, v56
	s_waitcnt lgkmcnt(0)
	ds_write_b32 v0, v3
	s_trap 2
.LBB8_892:                              ;   in Loop: Header=BB8_880 Depth=3
	s_or_b64 exec, exec, s[28:29]
.LBB8_893:                              ;   in Loop: Header=BB8_880 Depth=3
	s_or_b64 exec, exec, s[88:89]
	v_and_b32_e32 v3, 0x108, v56
	v_cmp_ne_u32_e32 vcc, s87, v3
	;;#ASMSTART
	s_wakeup
	;;#ASMEND
                                        ; implicit-def: $vgpr8_vgpr9
	s_and_saveexec_b64 s[28:29], vcc
	s_xor_b64 s[28:29], exec, s[28:29]
	s_cbranch_execz .LBB8_895
; %bb.894:                              ;   in Loop: Header=BB8_880 Depth=3
	buffer_load_dword v3, off, s[0:3], s33 offset:148 ; 4-byte Folded Reload
	buffer_load_dword v4, off, s[0:3], s33 offset:152 ; 4-byte Folded Reload
	v_mov_b32_e32 v9, v2
	s_waitcnt vmcnt(0)
	v_and_b32_e32 v8, 7, v3
                                        ; implicit-def: $vgpr3_vgpr4
                                        ; kill: killed $vgpr3_vgpr4
.LBB8_895:                              ;   in Loop: Header=BB8_880 Depth=3
	s_andn2_saveexec_b64 s[28:29], s[28:29]
	s_cbranch_execz .LBB8_897
; %bb.896:                              ;   in Loop: Header=BB8_880 Depth=3
	buffer_load_dword v3, off, s[0:3], s33 offset:148 ; 4-byte Folded Reload
	buffer_load_dword v4, off, s[0:3], s33 offset:152 ; 4-byte Folded Reload
	;; [unrolled: 1-line block ×6, first 2 shown]
	v_ashrrev_i32_e32 v59, 31, v58
	s_waitcnt vmcnt(0)
	v_and_b32_e32 v8, 7, v3
	v_mad_u64_u32 v[3:4], s[46:47], v8, 24, v[9:10]
	v_lshlrev_b64 v[10:11], 1, v[58:59]
	v_mov_b32_e32 v9, v2
	flat_store_dwordx2 v[3:4], v[10:11] offset:8
.LBB8_897:                              ;   in Loop: Header=BB8_880 Depth=3
	s_or_b64 exec, exec, s[28:29]
	v_and_b32_e32 v3, 0x100, v56
	v_cmp_ne_u32_e32 vcc, 0, v3
	s_mov_b64 s[28:29], -1
                                        ; implicit-def: $vgpr3_vgpr4
	s_and_saveexec_b64 s[88:89], vcc
	s_cbranch_execz .LBB8_901
; %bb.898:                              ;   in Loop: Header=BB8_880 Depth=3
	buffer_load_dword v10, off, s[0:3], s33 offset:204 ; 4-byte Folded Reload
	buffer_load_dword v11, off, s[0:3], s33 offset:208 ; 4-byte Folded Reload
	;; [unrolled: 1-line block ×4, first 2 shown]
	s_waitcnt vmcnt(0)
	v_mad_u64_u32 v[10:11], s[28:29], v8, 24, v[10:11]
	v_mov_b32_e32 v3, v11
	v_mad_u64_u32 v[3:4], s[28:29], v9, 24, v[3:4]
	v_mov_b32_e32 v11, v3
	flat_load_dword v3, v[10:11]
	s_waitcnt vmcnt(0) lgkmcnt(0)
	v_cmp_ne_u32_e32 vcc, 1, v3
	v_cmp_eq_u32_e64 s[28:29], 1, v3
                                        ; implicit-def: $vgpr3_vgpr4
	s_and_saveexec_b64 s[90:91], s[28:29]
	s_cbranch_execz .LBB8_900
; %bb.899:                              ;   in Loop: Header=BB8_880 Depth=3
	flat_load_dword v3, v[10:11] offset:4 glc
	s_waitcnt vmcnt(0) lgkmcnt(0)
	v_ashrrev_i32_e32 v4, 31, v3
	v_lshrrev_b64 v[3:4], 1, v[3:4]
.LBB8_900:                              ;   in Loop: Header=BB8_880 Depth=3
	s_or_b64 exec, exec, s[90:91]
	s_orn2_b64 s[28:29], vcc, exec
.LBB8_901:                              ;   in Loop: Header=BB8_880 Depth=3
	s_or_b64 exec, exec, s[88:89]
	s_and_saveexec_b64 s[88:89], s[28:29]
	s_cbranch_execz .LBB8_903
; %bb.902:                              ;   in Loop: Header=BB8_880 Depth=3
	buffer_load_dword v3, off, s[0:3], s33 offset:228 ; 4-byte Folded Reload
	buffer_load_dword v4, off, s[0:3], s33 offset:232 ; 4-byte Folded Reload
	s_waitcnt vmcnt(0)
	v_mul_lo_u32 v5, v9, v3
	v_mul_lo_u32 v9, v8, v4
	v_mad_u64_u32 v[3:4], s[28:29], v8, v3, 0
	v_add3_u32 v4, v4, v9, v5
.LBB8_903:                              ;   in Loop: Header=BB8_880 Depth=3
	s_or_b64 exec, exec, s[88:89]
	buffer_load_dword v8, off, s[0:3], s33 offset:196 ; 4-byte Folded Reload
	buffer_load_dword v9, off, s[0:3], s33 offset:200 ; 4-byte Folded Reload
	v_lshlrev_b64 v[3:4], 1, v[3:4]
	v_cmp_eq_u32_e32 vcc, 0, v1
	v_mov_b32_e32 v1, 0xc8
	v_mov_b32_e32 v5, 0x90
	v_cndmask_b32_e32 v1, v1, v5, vcc
	v_add_u32_e32 v1, v0, v1
	s_waitcnt vmcnt(0)
	v_add_co_u32_e32 v3, vcc, v8, v3
	v_addc_co_u32_e32 v4, vcc, v9, v4, vcc
	ds_write_b64 v1, v[3:4] offset:584
	v_and_b32_e32 v1, 0x2000, v56
	v_cmp_ne_u32_e32 vcc, 0, v1
	s_and_saveexec_b64 s[28:29], vcc
	s_cbranch_execz .LBB8_905
; %bb.904:                              ;   in Loop: Header=BB8_880 Depth=3
	ds_read_b64 v[3:4], v0 offset:872
	s_waitcnt lgkmcnt(0)
	v_add_co_u32_e32 v3, vcc, 1, v3
	v_addc_co_u32_e32 v4, vcc, 0, v4, vcc
	ds_write_b64 v0, v[3:4] offset:872
.LBB8_905:                              ;   in Loop: Header=BB8_880 Depth=3
	s_or_b64 exec, exec, s[28:29]
	buffer_store_dword v6, off, s[0:3], s33 offset:148 ; 4-byte Folded Spill
	s_nop 0
	buffer_store_dword v7, off, s[0:3], s33 offset:152 ; 4-byte Folded Spill
.LBB8_906:                              ;   in Loop: Header=BB8_880 Depth=3
	s_or_b64 exec, exec, s[78:79]
	s_xor_b64 s[28:29], s[44:45], -1
	s_and_b64 s[28:29], exec, s[28:29]
	s_or_b64 s[42:43], s[28:29], s[42:43]
	s_and_saveexec_b64 s[28:29], s[10:11]
	s_cbranch_execz .LBB8_925
; %bb.907:                              ;   in Loop: Header=BB8_880 Depth=3
	s_and_saveexec_b64 s[44:45], s[58:59]
	s_xor_b64 s[44:45], exec, s[44:45]
	s_cbranch_execz .LBB8_922
; %bb.908:                              ;   in Loop: Header=BB8_880 Depth=3
	s_and_saveexec_b64 s[78:79], s[16:17]
	s_cbranch_execz .LBB8_921
; %bb.909:                              ;   in Loop: Header=BB8_880 Depth=3
	s_mov_b64 s[90:91], exec
	v_mbcnt_lo_u32_b32 v1, s90, 0
	v_mbcnt_hi_u32_b32 v1, s91, v1
	v_cmp_eq_u32_e32 vcc, 0, v1
	s_waitcnt vmcnt(0) lgkmcnt(0)
	buffer_wbinvl1_vol
	s_and_saveexec_b64 s[88:89], vcc
	s_cbranch_execz .LBB8_911
; %bb.910:                              ;   in Loop: Header=BB8_880 Depth=3
	s_bcnt1_i32_b64 s46, s[90:91]
	v_mov_b32_e32 v3, s46
	v_mov_b32_e32 v4, v2
	ds_add_u64 v0, v[3:4]
	s_trap 2
.LBB8_911:                              ;   in Loop: Header=BB8_880 Depth=3
	s_or_b64 exec, exec, s[88:89]
	s_trap 2
	ds_read_b64 v[3:4], v0
	s_waitcnt lgkmcnt(0)
	buffer_load_dword v5, off, s[0:3], s33 offset:132 ; 4-byte Folded Reload
	buffer_load_dword v6, off, s[0:3], s33 offset:136 ; 4-byte Folded Reload
	s_waitcnt vmcnt(1)
	v_add_co_u32_e32 v5, vcc, v5, v52
	s_waitcnt vmcnt(0)
	v_addc_co_u32_e32 v6, vcc, 0, v6, vcc
	buffer_store_dword v5, off, s[0:3], s33 offset:132 ; 4-byte Folded Spill
	s_nop 0
	buffer_store_dword v6, off, s[0:3], s33 offset:136 ; 4-byte Folded Spill
	v_cmp_lt_u64_e32 vcc, v[3:4], v[5:6]
	s_and_saveexec_b64 s[88:89], vcc
	s_cbranch_execz .LBB8_920
; %bb.912:                              ;   in Loop: Header=BB8_880 Depth=3
	s_mov_b32 s46, 0
	s_mov_b64 s[90:91], 0
                                        ; implicit-def: $sgpr92_sgpr93
                                        ; implicit-def: $sgpr94_sgpr95
	s_branch .LBB8_914
.LBB8_913:                              ;   in Loop: Header=BB8_914 Depth=4
	s_or_b64 exec, exec, s[34:35]
	s_and_b64 vcc, exec, vcc
	s_or_b64 s[90:91], vcc, s[90:91]
	s_andn2_b64 s[92:93], s[92:93], exec
	s_and_b64 vcc, s[94:95], exec
	s_or_b64 s[92:93], s[92:93], vcc
	s_andn2_b64 exec, exec, s[90:91]
	s_cbranch_execz .LBB8_918
.LBB8_914:                              ;   Parent Loop BB8_47 Depth=1
                                        ;     Parent Loop BB8_300 Depth=2
                                        ;       Parent Loop BB8_880 Depth=3
                                        ; =>      This Inner Loop Header: Depth=4
	s_add_i32 s46, s46, 1
	s_cmpk_lg_i32 s46, 0x2710
	s_cselect_b64 s[30:31], -1, 0
	s_and_b64 vcc, exec, s[30:31]
	s_cbranch_vccz .LBB8_916
; %bb.915:                              ;   in Loop: Header=BB8_914 Depth=4
	s_mov_b64 vcc, -1
	s_or_b64 s[94:95], s[94:95], exec
	s_and_saveexec_b64 s[34:35], s[30:31]
	s_cbranch_execz .LBB8_913
	s_branch .LBB8_917
.LBB8_916:                              ;   in Loop: Header=BB8_914 Depth=4
	s_trap 2
	ds_read_b64 v[3:4], v0
	s_andn2_b64 s[30:31], s[30:31], exec
	s_mov_b32 s46, 0
	s_waitcnt vmcnt(0) lgkmcnt(0)
	flat_load_dword v1, v[3:4] glc
	s_waitcnt vmcnt(0) lgkmcnt(0)
	buffer_wbinvl1_vol
	v_cmp_eq_u32_e32 vcc, 0, v1
	s_and_b64 vcc, vcc, exec
	s_or_b64 s[30:31], s[30:31], vcc
	s_mov_b64 vcc, -1
	s_or_b64 s[94:95], s[94:95], exec
	s_and_saveexec_b64 s[34:35], s[30:31]
	s_cbranch_execz .LBB8_913
.LBB8_917:                              ;   in Loop: Header=BB8_914 Depth=4
	s_sleep 1
	s_trap 2
	ds_read_b64 v[3:4], v0
	s_waitcnt lgkmcnt(0)
	buffer_load_dword v5, off, s[0:3], s33 offset:132 ; 4-byte Folded Reload
	buffer_load_dword v6, off, s[0:3], s33 offset:136 ; 4-byte Folded Reload
	s_andn2_b64 s[94:95], s[94:95], exec
	s_waitcnt vmcnt(0)
	v_cmp_ge_u64_e32 vcc, v[3:4], v[5:6]
	s_orn2_b64 vcc, vcc, exec
	s_branch .LBB8_913
.LBB8_918:                              ;   in Loop: Header=BB8_880 Depth=3
	s_or_b64 exec, exec, s[90:91]
	s_and_saveexec_b64 s[46:47], s[92:93]
	s_xor_b64 s[46:47], exec, s[46:47]
	s_cbranch_execz .LBB8_920
; %bb.919:                              ;   in Loop: Header=BB8_880 Depth=3
	v_mov_b32_e32 v1, 1
	ds_write_b32 v0, v1
	s_trap 2
.LBB8_920:                              ;   in Loop: Header=BB8_880 Depth=3
	s_or_b64 exec, exec, s[88:89]
	;;#ASMSTART
	s_wakeup
	;;#ASMEND
.LBB8_921:                              ;   in Loop: Header=BB8_880 Depth=3
	s_or_b64 exec, exec, s[78:79]
.LBB8_922:                              ;   in Loop: Header=BB8_880 Depth=3
	s_andn2_saveexec_b64 s[44:45], s[44:45]
	s_cbranch_execz .LBB8_924
; %bb.923:                              ;   in Loop: Header=BB8_880 Depth=3
	s_waitcnt vmcnt(0) lgkmcnt(0)
	buffer_wbinvl1_vol
	s_barrier
.LBB8_924:                              ;   in Loop: Header=BB8_880 Depth=3
	s_or_b64 exec, exec, s[44:45]
.LBB8_925:                              ;   in Loop: Header=BB8_880 Depth=3
	s_or_b64 exec, exec, s[28:29]
                                        ; implicit-def: $vgpr1
	s_and_saveexec_b64 s[28:29], s[72:73]
	s_xor_b64 s[28:29], exec, s[28:29]
	s_cbranch_execz .LBB8_937
; %bb.926:                              ;   in Loop: Header=BB8_880 Depth=3
	s_and_saveexec_b64 s[44:45], s[58:59]
	s_xor_b64 s[44:45], exec, s[44:45]
	s_cbranch_execz .LBB8_942
; %bb.927:                              ;   in Loop: Header=BB8_880 Depth=3
	s_and_saveexec_b64 s[78:79], s[16:17]
	s_cbranch_execz .LBB8_941
; %bb.928:                              ;   in Loop: Header=BB8_880 Depth=3
	s_mov_b64 s[90:91], exec
	v_mbcnt_lo_u32_b32 v1, s90, 0
	v_mbcnt_hi_u32_b32 v1, s91, v1
	v_cmp_eq_u32_e32 vcc, 0, v1
	;;#ASMSTART
	s_waitcnt lgkmcnt(0) vmcnt(0)
	;;#ASMEND
	s_and_saveexec_b64 s[88:89], vcc
	s_cbranch_execz .LBB8_930
; %bb.929:                              ;   in Loop: Header=BB8_880 Depth=3
	s_bcnt1_i32_b64 s46, s[90:91]
	v_mov_b32_e32 v3, s46
	v_mov_b32_e32 v4, v2
	s_waitcnt lgkmcnt(0)
	ds_add_u64 v0, v[3:4]
	s_trap 2
.LBB8_930:                              ;   in Loop: Header=BB8_880 Depth=3
	s_or_b64 exec, exec, s[88:89]
	s_trap 2
	ds_read_b64 v[3:4], v0
	s_waitcnt lgkmcnt(0)
	buffer_load_dword v5, off, s[0:3], s33 offset:132 ; 4-byte Folded Reload
	buffer_load_dword v6, off, s[0:3], s33 offset:136 ; 4-byte Folded Reload
	s_waitcnt vmcnt(0)
	v_add_co_u32_e32 v5, vcc, v5, v52
	v_addc_co_u32_e32 v6, vcc, 0, v6, vcc
	buffer_store_dword v5, off, s[0:3], s33 offset:132 ; 4-byte Folded Spill
	s_nop 0
	buffer_store_dword v6, off, s[0:3], s33 offset:136 ; 4-byte Folded Spill
	v_cmp_lt_u64_e32 vcc, v[3:4], v[5:6]
	s_and_saveexec_b64 s[88:89], vcc
	s_cbranch_execz .LBB8_940
; %bb.931:                              ;   in Loop: Header=BB8_880 Depth=3
	s_mov_b32 s46, 0
	s_mov_b64 s[90:91], 0
                                        ; implicit-def: $sgpr92_sgpr93
                                        ; implicit-def: $sgpr94_sgpr95
	s_branch .LBB8_933
.LBB8_932:                              ;   in Loop: Header=BB8_933 Depth=4
	s_or_b64 exec, exec, s[34:35]
	s_and_b64 vcc, exec, vcc
	s_or_b64 s[90:91], vcc, s[90:91]
	s_andn2_b64 s[92:93], s[92:93], exec
	s_and_b64 vcc, s[94:95], exec
	s_or_b64 s[92:93], s[92:93], vcc
	s_andn2_b64 exec, exec, s[90:91]
	s_cbranch_execz .LBB8_938
.LBB8_933:                              ;   Parent Loop BB8_47 Depth=1
                                        ;     Parent Loop BB8_300 Depth=2
                                        ;       Parent Loop BB8_880 Depth=3
                                        ; =>      This Inner Loop Header: Depth=4
	s_add_i32 s46, s46, 1
	s_cmpk_lg_i32 s46, 0x2710
	s_cselect_b64 s[30:31], -1, 0
	s_and_b64 vcc, exec, s[30:31]
	s_cbranch_vccz .LBB8_935
; %bb.934:                              ;   in Loop: Header=BB8_933 Depth=4
	s_mov_b64 vcc, -1
	s_or_b64 s[94:95], s[94:95], exec
	s_and_saveexec_b64 s[34:35], s[30:31]
	s_cbranch_execz .LBB8_932
	s_branch .LBB8_936
.LBB8_935:                              ;   in Loop: Header=BB8_933 Depth=4
	s_trap 2
	ds_read_b64 v[3:4], v0
	s_andn2_b64 s[30:31], s[30:31], exec
	s_mov_b32 s46, 0
	s_waitcnt vmcnt(0) lgkmcnt(0)
	flat_load_dword v1, v[3:4] glc
	s_waitcnt vmcnt(0) lgkmcnt(0)
	buffer_wbinvl1_vol
	v_cmp_eq_u32_e32 vcc, 0, v1
	s_and_b64 vcc, vcc, exec
	s_or_b64 s[30:31], s[30:31], vcc
	s_mov_b64 vcc, -1
	s_or_b64 s[94:95], s[94:95], exec
	s_and_saveexec_b64 s[34:35], s[30:31]
	s_cbranch_execz .LBB8_932
.LBB8_936:                              ;   in Loop: Header=BB8_933 Depth=4
	s_sleep 1
	s_trap 2
	ds_read_b64 v[3:4], v0
	s_waitcnt lgkmcnt(0)
	buffer_load_dword v5, off, s[0:3], s33 offset:132 ; 4-byte Folded Reload
	buffer_load_dword v6, off, s[0:3], s33 offset:136 ; 4-byte Folded Reload
	s_andn2_b64 s[94:95], s[94:95], exec
	s_waitcnt vmcnt(0)
	v_cmp_ge_u64_e32 vcc, v[3:4], v[5:6]
	s_orn2_b64 vcc, vcc, exec
	s_branch .LBB8_932
.LBB8_937:                              ;   in Loop: Header=BB8_880 Depth=3
	s_andn2_saveexec_b64 s[28:29], s[28:29]
	s_cbranch_execnz .LBB8_945
	s_branch .LBB8_948
.LBB8_938:                              ;   in Loop: Header=BB8_880 Depth=3
	s_or_b64 exec, exec, s[90:91]
	s_and_saveexec_b64 s[46:47], s[92:93]
	s_xor_b64 s[46:47], exec, s[46:47]
	s_cbranch_execz .LBB8_940
; %bb.939:                              ;   in Loop: Header=BB8_880 Depth=3
	v_mov_b32_e32 v1, 1
	ds_write_b32 v0, v1
	s_trap 2
.LBB8_940:                              ;   in Loop: Header=BB8_880 Depth=3
	s_or_b64 exec, exec, s[88:89]
	;;#ASMSTART
	s_wakeup
	;;#ASMEND
.LBB8_941:                              ;   in Loop: Header=BB8_880 Depth=3
	s_or_b64 exec, exec, s[78:79]
.LBB8_942:                              ;   in Loop: Header=BB8_880 Depth=3
	s_andn2_saveexec_b64 s[44:45], s[44:45]
	s_cbranch_execz .LBB8_944
; %bb.943:                              ;   in Loop: Header=BB8_880 Depth=3
	;;#ASMSTART
	s_waitcnt lgkmcnt(0) vmcnt(0)
	;;#ASMEND
	s_waitcnt vmcnt(0) lgkmcnt(0)
	s_barrier
.LBB8_944:                              ;   in Loop: Header=BB8_880 Depth=3
	s_or_b64 exec, exec, s[44:45]
	v_and_b32_e32 v1, 16, v56
	s_andn2_saveexec_b64 s[28:29], s[28:29]
	s_cbranch_execz .LBB8_948
.LBB8_945:                              ;   in Loop: Header=BB8_880 Depth=3
	s_trap 2
	ds_read_b32 v1, v0
	v_cmp_lt_i32_e32 vcc, 0, v58
	v_and_b32_e32 v3, 16, v56
	s_waitcnt lgkmcnt(0)
	v_readfirstlane_b32 s44, v1
	s_cmp_eq_u32 s44, 0
	s_cselect_b64 s[44:45], -1, 0
	s_and_b64 s[44:45], vcc, s[44:45]
	v_cmp_ne_u32_e32 vcc, 0, v3
	v_and_b32_e32 v1, 16, v56
	s_and_b64 s[46:47], vcc, s[44:45]
	s_and_saveexec_b64 s[44:45], s[46:47]
	s_cbranch_execz .LBB8_947
; %bb.946:                              ;   in Loop: Header=BB8_880 Depth=3
	v_mov_b32_e32 v1, 1
	s_waitcnt vmcnt(0)
	buffer_wbinvl1_vol
.LBB8_947:                              ;   in Loop: Header=BB8_880 Depth=3
	s_or_b64 exec, exec, s[44:45]
.LBB8_948:                              ;   in Loop: Header=BB8_880 Depth=3
	s_or_b64 exec, exec, s[28:29]
	v_cmp_ne_u32_e32 vcc, 0, v1
	s_xor_b64 s[28:29], s[12:13], -1
	s_and_b64 s[44:45], vcc, s[28:29]
	s_and_saveexec_b64 s[28:29], s[44:45]
	s_cbranch_execz .LBB8_950
; %bb.949:                              ;   in Loop: Header=BB8_880 Depth=3
	buffer_load_dword v3, off, s[0:3], s33 offset:220 ; 4-byte Folded Reload
	buffer_load_dword v4, off, s[0:3], s33 offset:224 ; 4-byte Folded Reload
	v_mov_b32_e32 v1, 1
	s_waitcnt vmcnt(0)
	flat_store_dword v[3:4], v1
.LBB8_950:                              ;   in Loop: Header=BB8_880 Depth=3
	s_or_b64 exec, exec, s[28:29]
	v_and_b32_e32 v1, 48, v56
	v_cmp_ne_u32_e32 vcc, 0, v1
	s_and_saveexec_b64 s[28:29], vcc
	s_cbranch_execz .LBB8_879
; %bb.951:                              ;   in Loop: Header=BB8_880 Depth=3
	buffer_load_dword v3, off, s[0:3], s33 offset:148 ; 4-byte Folded Reload
	buffer_load_dword v4, off, s[0:3], s33 offset:152 ; 4-byte Folded Reload
	s_waitcnt vmcnt(0)
	v_add_co_u32_e32 v3, vcc, 2, v3
	v_addc_co_u32_e32 v4, vcc, 0, v4, vcc
	buffer_store_dword v3, off, s[0:3], s33 offset:148 ; 4-byte Folded Spill
	s_nop 0
	buffer_store_dword v4, off, s[0:3], s33 offset:152 ; 4-byte Folded Spill
	flat_store_dwordx2 v[40:41], v[3:4]
	s_branch .LBB8_879
.LBB8_952:                              ;   in Loop: Header=BB8_47 Depth=1
	buffer_load_dword v5, off, s[0:3], s33 offset:328 ; 4-byte Folded Reload
	buffer_load_dword v6, off, s[0:3], s33 offset:332 ; 4-byte Folded Reload
	s_waitcnt vmcnt(0)
	v_mul_lo_u32 v4, v5, s53
	v_mul_lo_u32 v3, v6, s52
	v_mad_u64_u32 v[0:1], s[28:29], v5, s52, 0
	v_add3_u32 v1, v1, v4, v3
	buffer_load_dword v3, off, s[0:3], s33 offset:320 ; 4-byte Folded Reload
	buffer_load_dword v4, off, s[0:3], s33 offset:324 ; 4-byte Folded Reload
	s_waitcnt vmcnt(0)
	v_sub_co_u32_e32 v3, vcc, v3, v0
	v_subb_co_u32_e32 v4, vcc, v4, v1, vcc
	v_cmp_lt_i64_e32 vcc, v[5:6], v[3:4]
	v_cndmask_b32_e32 v4, v3, v5, vcc
	v_max_i32_e32 v31, 0, v4
	v_add_u32_e32 v5, 31, v31
	v_lshrrev_b32_e32 v5, 1, v5
	v_and_b32_e32 v5, 0x3ffffff0, v5
	v_max_i32_e32 v5, s69, v5
	buffer_store_dword v5, off, s[0:3], s33 offset:276 ; 4-byte Folded Spill
	s_nop 0
	buffer_store_dword v6, off, s[0:3], s33 offset:280 ; 4-byte Folded Spill
	v_cmp_lt_i32_e32 vcc, 0, v4
	v_mov_b32_e32 v3, 0
	s_and_b64 s[28:29], s[74:75], vcc
	v_mov_b32_e32 v4, 0
	buffer_store_dword v4, off, s[0:3], s33 offset:244 ; 4-byte Folded Spill
	s_nop 0
	buffer_store_dword v5, off, s[0:3], s33 offset:248 ; 4-byte Folded Spill
	s_and_saveexec_b64 s[78:79], s[28:29]
	s_cbranch_execz .LBB8_2004
; %bb.953:                              ;   in Loop: Header=BB8_47 Depth=1
	buffer_load_dword v3, off, s[0:3], s33 offset:256 ; 4-byte Folded Reload
	buffer_load_dword v4, off, s[0:3], s33 offset:260 ; 4-byte Folded Reload
	s_mov_b32 s57, 1
	s_mov_b64 s[90:91], -1
	s_mov_b64 s[88:89], 0
	s_waitcnt vmcnt(0)
	v_add_co_u32_e32 v0, vcc, v0, v3
	v_addc_co_u32_e32 v1, vcc, v1, v4, vcc
	v_lshlrev_b64 v[0:1], 1, v[0:1]
	v_mov_b32_e32 v3, 0
	buffer_store_dword v3, off, s[0:3], s33 offset:244 ; 4-byte Folded Spill
	s_nop 0
	buffer_store_dword v4, off, s[0:3], s33 offset:248 ; 4-byte Folded Spill
	buffer_store_dword v0, off, s[0:3], s33 offset:336 ; 4-byte Folded Spill
	s_nop 0
	buffer_store_dword v1, off, s[0:3], s33 offset:340 ; 4-byte Folded Spill
	s_branch .LBB8_955
.LBB8_954:                              ;   in Loop: Header=BB8_955 Depth=2
	s_or_b64 exec, exec, s[28:29]
	buffer_load_dword v0, off, s[0:3], s33 offset:276 ; 4-byte Folded Reload
	buffer_load_dword v1, off, s[0:3], s33 offset:280 ; 4-byte Folded Reload
	;; [unrolled: 1-line block ×4, first 2 shown]
	s_xor_b64 s[28:29], s[90:91], -1
	s_mov_b64 s[90:91], 0
	s_waitcnt vmcnt(0)
	v_mov_b32_e32 v1, v3
	v_add_u32_e32 v1, v0, v1
	v_mov_b32_e32 v0, v1
	buffer_store_dword v0, off, s[0:3], s33 offset:244 ; 4-byte Folded Spill
	s_nop 0
	buffer_store_dword v1, off, s[0:3], s33 offset:248 ; 4-byte Folded Spill
	v_mov_b32_e32 v3, s57
	s_mov_b32 s57, 2
	v_cmp_ge_i32_e32 vcc, v1, v31
	s_or_b64 s[28:29], s[28:29], vcc
	s_and_b64 s[28:29], exec, s[28:29]
	s_or_b64 s[88:89], s[28:29], s[88:89]
	s_andn2_b64 exec, exec, s[88:89]
	s_cbranch_execz .LBB8_2079
.LBB8_955:                              ;   Parent Loop BB8_47 Depth=1
                                        ; =>  This Loop Header: Depth=2
                                        ;       Child Loop BB8_963 Depth 3
                                        ;       Child Loop BB8_991 Depth 3
	;; [unrolled: 1-line block ×5, first 2 shown]
                                        ;         Child Loop BB8_1242 Depth 4
                                        ;         Child Loop BB8_1277 Depth 4
	;; [unrolled: 1-line block ×4, first 2 shown]
                                        ;       Child Loop BB8_1353 Depth 3
                                        ;       Child Loop BB8_1361 Depth 3
	;; [unrolled: 1-line block ×3, first 2 shown]
                                        ;         Child Loop BB8_1471 Depth 4
                                        ;         Child Loop BB8_1478 Depth 4
	;; [unrolled: 1-line block ×4, first 2 shown]
                                        ;       Child Loop BB8_1497 Depth 3
                                        ;       Child Loop BB8_1509 Depth 3
	;; [unrolled: 1-line block ×3, first 2 shown]
                                        ;         Child Loop BB8_1715 Depth 4
                                        ;         Child Loop BB8_1752 Depth 4
                                        ;       Child Loop BB8_1829 Depth 3
                                        ;       Child Loop BB8_1936 Depth 3
                                        ;         Child Loop BB8_1937 Depth 4
                                        ;         Child Loop BB8_1946 Depth 4
                                        ;       Child Loop BB8_1966 Depth 3
                                        ;       Child Loop BB8_1989 Depth 3
	s_and_saveexec_b64 s[28:29], s[4:5]
	s_cbranch_execz .LBB8_957
; %bb.956:                              ;   in Loop: Header=BB8_955 Depth=2
	s_trap 2
	ds_read2_b64 v[3:6], v0 offset1:1
	buffer_load_dword v9, off, s[0:3], s33 offset:336 ; 4-byte Folded Reload
	buffer_load_dword v10, off, s[0:3], s33 offset:340 ; 4-byte Folded Reload
	;; [unrolled: 1-line block ×4, first 2 shown]
	s_waitcnt vmcnt(0) lgkmcnt(0)
	v_add_co_u32_e32 v3, vcc, v3, v9
	v_mov_b32_e32 v7, v0
	v_ashrrev_i32_e32 v8, 31, v7
	buffer_store_dword v0, off, s[0:3], s33 offset:244 ; 4-byte Folded Spill
	s_nop 0
	buffer_store_dword v1, off, s[0:3], s33 offset:248 ; 4-byte Folded Spill
	v_lshlrev_b64 v[0:1], 1, v[7:8]
	v_addc_co_u32_e32 v4, vcc, v4, v10, vcc
	v_add_co_u32_e32 v3, vcc, v3, v0
	v_addc_co_u32_e32 v4, vcc, v4, v1, vcc
	ds_write_b64 v0, v[3:4]
	v_add_co_u32_e32 v3, vcc, v5, v9
	v_addc_co_u32_e32 v4, vcc, v6, v10, vcc
	v_add_co_u32_e32 v3, vcc, v3, v0
	v_addc_co_u32_e32 v4, vcc, v4, v1, vcc
	ds_write_b64 v0, v[3:4]
	ds_read_b64 v[3:4], v0
	s_waitcnt lgkmcnt(0)
	v_add_co_u32_e32 v5, vcc, v3, v9
	v_addc_co_u32_e32 v6, vcc, v4, v10, vcc
	v_add_co_u32_e32 v0, vcc, v5, v0
	v_addc_co_u32_e32 v1, vcc, v6, v1, vcc
	v_cmp_ne_u64_e32 vcc, 0, v[3:4]
	v_cndmask_b32_e32 v1, 0, v1, vcc
	v_cndmask_b32_e32 v0, 0, v0, vcc
	ds_write_b64 v0, v[0:1]
.LBB8_957:                              ;   in Loop: Header=BB8_955 Depth=2
	s_or_b64 exec, exec, s[28:29]
	buffer_load_dword v0, off, s[0:3], s33 offset:244 ; 4-byte Folded Reload
	buffer_load_dword v1, off, s[0:3], s33 offset:248 ; 4-byte Folded Reload
	buffer_load_dword v3, off, s[0:3], s33 offset:276 ; 4-byte Folded Reload
	buffer_load_dword v4, off, s[0:3], s33 offset:280 ; 4-byte Folded Reload
	s_waitcnt vmcnt(0)
	v_sub_u32_e32 v0, v31, v0
	v_min_i32_e32 v3, v3, v0
	v_and_b32_e32 v0, 12, v56
	v_cmp_ne_u32_e32 vcc, 0, v0
	buffer_store_dword v3, off, s[0:3], s33 offset:276 ; 4-byte Folded Spill
	s_nop 0
	buffer_store_dword v4, off, s[0:3], s33 offset:280 ; 4-byte Folded Spill
	s_and_saveexec_b64 s[40:41], vcc
	s_cbranch_execz .LBB8_983
; %bb.958:                              ;   in Loop: Header=BB8_955 Depth=2
	buffer_load_dword v0, off, s[0:3], s33 offset:148 ; 4-byte Folded Reload
	buffer_load_dword v1, off, s[0:3], s33 offset:152 ; 4-byte Folded Reload
	v_and_b32_e32 v8, 8, v56
	s_waitcnt lgkmcnt(0)
	v_add_co_u32_e32 v3, vcc, v46, v8
	v_addc_co_u32_e32 v4, vcc, 0, v47, vcc
	s_waitcnt vmcnt(1)
	v_add_co_u32_e32 v0, vcc, 2, v0
	s_waitcnt vmcnt(0)
	v_addc_co_u32_e32 v1, vcc, 0, v1, vcc
	v_cmp_lt_u64_e32 vcc, v[3:4], v[0:1]
	s_and_saveexec_b64 s[42:43], vcc
	s_cbranch_execz .LBB8_970
; %bb.959:                              ;   in Loop: Header=BB8_955 Depth=2
	v_and_b32_e32 v3, 64, v56
	s_mov_b32 s46, 0
	v_cmp_eq_u32_e32 vcc, 0, v3
	s_mov_b64 s[44:45], 0
                                        ; implicit-def: $sgpr92_sgpr93
                                        ; implicit-def: $sgpr94_sgpr95
                                        ; implicit-def: $sgpr30_sgpr31
	s_branch .LBB8_963
.LBB8_960:                              ;   in Loop: Header=BB8_963 Depth=3
	s_waitcnt vmcnt(0) lgkmcnt(0)
	v_add_co_u32_e64 v4, s[28:29], v46, v8
	v_addc_co_u32_e64 v5, s[28:29], 0, v47, s[28:29]
	v_cmp_ge_u64_e64 s[28:29], v[4:5], v[0:1]
	s_or_b64 s[38:39], s[38:39], exec
	s_orn2_b64 s[36:37], s[28:29], exec
.LBB8_961:                              ;   in Loop: Header=BB8_963 Depth=3
	s_or_b64 exec, exec, s[50:51]
	s_andn2_b64 s[28:29], s[30:31], exec
	s_and_b64 s[30:31], s[38:39], exec
	s_or_b64 s[30:31], s[28:29], s[30:31]
	s_andn2_b64 s[28:29], s[94:95], exec
	s_and_b64 s[94:95], s[36:37], exec
	s_or_b64 s[94:95], s[28:29], s[94:95]
.LBB8_962:                              ;   in Loop: Header=BB8_963 Depth=3
	s_or_b64 exec, exec, s[34:35]
	s_and_b64 s[28:29], exec, s[94:95]
	s_or_b64 s[44:45], s[28:29], s[44:45]
	s_andn2_b64 s[28:29], s[92:93], exec
	s_and_b64 s[92:93], s[30:31], exec
	s_or_b64 s[92:93], s[28:29], s[92:93]
	s_andn2_b64 exec, exec, s[44:45]
	s_cbranch_execz .LBB8_967
.LBB8_963:                              ;   Parent Loop BB8_47 Depth=1
                                        ;     Parent Loop BB8_955 Depth=2
                                        ; =>    This Inner Loop Header: Depth=3
	s_sleep 1
	s_waitcnt vmcnt(0) lgkmcnt(0)
	flat_load_dwordx2 v[46:47], v[40:41] glc
	s_or_b64 s[30:31], s[30:31], exec
	s_or_b64 s[94:95], s[94:95], exec
                                        ; implicit-def: $vgpr3
	s_and_saveexec_b64 s[34:35], vcc
	s_cbranch_execz .LBB8_962
; %bb.964:                              ;   in Loop: Header=BB8_963 Depth=3
	s_cmpk_lt_i32 s46, 0x270f
	s_cselect_b64 s[48:49], -1, 0
	s_cmpk_gt_i32 s46, 0x270e
	s_mov_b64 s[36:37], -1
	s_cbranch_scc0 .LBB8_966
; %bb.965:                              ;   in Loop: Header=BB8_963 Depth=3
	s_trap 2
	ds_read_b64 v[3:4], v0
	s_andn2_b64 s[48:49], s[48:49], exec
	s_mov_b32 s46, 0
	s_mov_b64 s[38:39], 0
	s_waitcnt vmcnt(0) lgkmcnt(0)
	flat_load_dword v3, v[3:4] glc
	s_waitcnt vmcnt(0) lgkmcnt(0)
	buffer_wbinvl1_vol
	v_cmp_eq_u32_e64 s[28:29], 0, v3
	s_and_b64 s[28:29], s[28:29], exec
	s_or_b64 s[48:49], s[48:49], s[28:29]
	s_and_saveexec_b64 s[50:51], s[48:49]
	s_cbranch_execz .LBB8_961
	s_branch .LBB8_960
.LBB8_966:                              ;   in Loop: Header=BB8_963 Depth=3
	s_add_i32 s46, s46, 1
	s_mov_b64 s[38:39], -1
                                        ; implicit-def: $vgpr3
	s_and_saveexec_b64 s[50:51], s[48:49]
	s_cbranch_execz .LBB8_961
	s_branch .LBB8_960
.LBB8_967:                              ;   in Loop: Header=BB8_955 Depth=2
	s_or_b64 exec, exec, s[44:45]
	s_xor_b64 s[28:29], s[92:93], -1
	s_and_saveexec_b64 s[44:45], s[28:29]
	s_xor_b64 s[28:29], exec, s[44:45]
	s_cbranch_execz .LBB8_969
; %bb.968:                              ;   in Loop: Header=BB8_955 Depth=2
	v_or_b32_e32 v56, 64, v56
	s_waitcnt lgkmcnt(0)
	ds_write_b32 v0, v3
	s_trap 2
.LBB8_969:                              ;   in Loop: Header=BB8_955 Depth=2
	s_or_b64 exec, exec, s[28:29]
.LBB8_970:                              ;   in Loop: Header=BB8_955 Depth=2
	s_or_b64 exec, exec, s[42:43]
	v_and_b32_e32 v3, 0x108, v56
	;;#ASMSTART
	s_wakeup
	;;#ASMEND
	v_cmp_ne_u32_e32 vcc, s87, v3
	buffer_load_dword v3, off, s[0:3], s33 offset:148 ; 4-byte Folded Reload
	buffer_load_dword v4, off, s[0:3], s33 offset:152 ; 4-byte Folded Reload
	s_waitcnt vmcnt(0)
	v_and_b32_e32 v3, 7, v3
	s_and_saveexec_b64 s[28:29], vcc
	s_xor_b64 s[28:29], exec, s[28:29]
                                        ; implicit-def: $vgpr9
; %bb.971:                              ;   in Loop: Header=BB8_955 Depth=2
	v_mov_b32_e32 v9, v2
; %bb.972:                              ;   in Loop: Header=BB8_955 Depth=2
	s_andn2_saveexec_b64 s[28:29], s[28:29]
	s_cbranch_execz .LBB8_974
; %bb.973:                              ;   in Loop: Header=BB8_955 Depth=2
	buffer_load_dword v4, off, s[0:3], s33 offset:204 ; 4-byte Folded Reload
	buffer_load_dword v5, off, s[0:3], s33 offset:208 ; 4-byte Folded Reload
	;; [unrolled: 1-line block ×6, first 2 shown]
	s_waitcnt vmcnt(0)
	v_mad_u64_u32 v[4:5], s[42:43], v3, 24, v[4:5]
	v_mov_b32_e32 v9, v6
	v_ashrrev_i32_e32 v10, 31, v9
	buffer_store_dword v6, off, s[0:3], s33 offset:276 ; 4-byte Folded Spill
	s_nop 0
	buffer_store_dword v7, off, s[0:3], s33 offset:280 ; 4-byte Folded Spill
	v_lshlrev_b64 v[6:7], 1, v[9:10]
	v_mov_b32_e32 v9, v2
	flat_store_dwordx2 v[4:5], v[6:7] offset:8
.LBB8_974:                              ;   in Loop: Header=BB8_955 Depth=2
	s_or_b64 exec, exec, s[28:29]
	v_and_b32_e32 v4, 0x100, v56
	v_cmp_ne_u32_e32 vcc, 0, v4
	s_mov_b64 s[28:29], -1
                                        ; implicit-def: $vgpr4_vgpr5
	s_and_saveexec_b64 s[42:43], vcc
	s_cbranch_execz .LBB8_978
; %bb.975:                              ;   in Loop: Header=BB8_955 Depth=2
	buffer_load_dword v4, off, s[0:3], s33 offset:204 ; 4-byte Folded Reload
	buffer_load_dword v5, off, s[0:3], s33 offset:208 ; 4-byte Folded Reload
	;; [unrolled: 1-line block ×4, first 2 shown]
	s_waitcnt vmcnt(0)
	v_mad_u64_u32 v[6:7], s[28:29], v3, 24, v[4:5]
	v_mov_b32_e32 v4, v7
	v_mad_u64_u32 v[4:5], s[28:29], v9, 24, v[4:5]
	v_mov_b32_e32 v7, v4
	flat_load_dword v4, v[6:7]
	s_waitcnt vmcnt(0) lgkmcnt(0)
	v_cmp_ne_u32_e32 vcc, 1, v4
	v_cmp_eq_u32_e64 s[28:29], 1, v4
                                        ; implicit-def: $vgpr4_vgpr5
	s_and_saveexec_b64 s[44:45], s[28:29]
	s_cbranch_execz .LBB8_977
; %bb.976:                              ;   in Loop: Header=BB8_955 Depth=2
	flat_load_dword v4, v[6:7] offset:4 glc
	s_waitcnt vmcnt(0) lgkmcnt(0)
	v_ashrrev_i32_e32 v5, 31, v4
	v_lshrrev_b64 v[4:5], 1, v[4:5]
.LBB8_977:                              ;   in Loop: Header=BB8_955 Depth=2
	s_or_b64 exec, exec, s[44:45]
	s_orn2_b64 s[28:29], vcc, exec
.LBB8_978:                              ;   in Loop: Header=BB8_955 Depth=2
	s_or_b64 exec, exec, s[42:43]
	s_and_saveexec_b64 s[42:43], s[28:29]
	s_cbranch_execz .LBB8_980
; %bb.979:                              ;   in Loop: Header=BB8_955 Depth=2
	buffer_load_dword v4, off, s[0:3], s33 offset:228 ; 4-byte Folded Reload
	buffer_load_dword v5, off, s[0:3], s33 offset:232 ; 4-byte Folded Reload
	s_waitcnt vmcnt(0)
	v_mul_lo_u32 v6, v9, v4
	v_mul_lo_u32 v7, v3, v5
	v_mad_u64_u32 v[4:5], s[28:29], v3, v4, 0
	v_add3_u32 v5, v5, v7, v6
.LBB8_980:                              ;   in Loop: Header=BB8_955 Depth=2
	s_or_b64 exec, exec, s[42:43]
	v_cmp_eq_u32_e32 vcc, 0, v8
	buffer_load_dword v7, off, s[0:3], s33 offset:196 ; 4-byte Folded Reload
	buffer_load_dword v8, off, s[0:3], s33 offset:200 ; 4-byte Folded Reload
	v_mov_b32_e32 v3, 0x90
	v_mov_b32_e32 v6, 0xd0
	v_cndmask_b32_e32 v6, v6, v3, vcc
	v_lshlrev_b64 v[3:4], 1, v[4:5]
	v_add_u32_e32 v5, v0, v6
	s_waitcnt vmcnt(0)
	v_add_co_u32_e32 v3, vcc, v7, v3
	v_addc_co_u32_e32 v4, vcc, v8, v4, vcc
	ds_write_b64 v5, v[3:4] offset:584
	v_and_b32_e32 v3, 0x2000, v56
	v_cmp_ne_u32_e32 vcc, 0, v3
	s_and_saveexec_b64 s[28:29], vcc
	s_cbranch_execz .LBB8_982
; %bb.981:                              ;   in Loop: Header=BB8_955 Depth=2
	ds_read_b64 v[3:4], v0 offset:872
	s_waitcnt lgkmcnt(0)
	v_add_co_u32_e32 v3, vcc, 1, v3
	v_addc_co_u32_e32 v4, vcc, 0, v4, vcc
	ds_write_b64 v0, v[3:4] offset:872
.LBB8_982:                              ;   in Loop: Header=BB8_955 Depth=2
	s_or_b64 exec, exec, s[28:29]
	buffer_store_dword v0, off, s[0:3], s33 offset:148 ; 4-byte Folded Spill
	s_nop 0
	buffer_store_dword v1, off, s[0:3], s33 offset:152 ; 4-byte Folded Spill
.LBB8_983:                              ;   in Loop: Header=BB8_955 Depth=2
	s_or_b64 exec, exec, s[40:41]
	s_and_saveexec_b64 s[28:29], s[10:11]
	s_cbranch_execz .LBB8_1002
; %bb.984:                              ;   in Loop: Header=BB8_955 Depth=2
	s_and_saveexec_b64 s[40:41], s[58:59]
	s_xor_b64 s[40:41], exec, s[40:41]
	s_cbranch_execz .LBB8_999
; %bb.985:                              ;   in Loop: Header=BB8_955 Depth=2
	s_and_saveexec_b64 s[42:43], s[16:17]
	s_cbranch_execz .LBB8_998
; %bb.986:                              ;   in Loop: Header=BB8_955 Depth=2
	s_mov_b64 s[92:93], exec
	v_mbcnt_lo_u32_b32 v0, s92, 0
	v_mbcnt_hi_u32_b32 v0, s93, v0
	v_cmp_eq_u32_e32 vcc, 0, v0
	s_waitcnt vmcnt(0) lgkmcnt(0)
	buffer_wbinvl1_vol
	s_and_saveexec_b64 s[44:45], vcc
	s_cbranch_execz .LBB8_988
; %bb.987:                              ;   in Loop: Header=BB8_955 Depth=2
	s_bcnt1_i32_b64 s46, s[92:93]
	v_mov_b32_e32 v0, s46
	v_mov_b32_e32 v1, v2
	ds_add_u64 v0, v[0:1]
	s_trap 2
.LBB8_988:                              ;   in Loop: Header=BB8_955 Depth=2
	s_or_b64 exec, exec, s[44:45]
	s_trap 2
	ds_read_b64 v[0:1], v0
	s_waitcnt lgkmcnt(0)
	buffer_load_dword v3, off, s[0:3], s33 offset:132 ; 4-byte Folded Reload
	buffer_load_dword v4, off, s[0:3], s33 offset:136 ; 4-byte Folded Reload
	s_waitcnt vmcnt(1)
	v_add_co_u32_e32 v3, vcc, v3, v52
	s_waitcnt vmcnt(0)
	v_addc_co_u32_e32 v4, vcc, 0, v4, vcc
	buffer_store_dword v3, off, s[0:3], s33 offset:132 ; 4-byte Folded Spill
	s_nop 0
	buffer_store_dword v4, off, s[0:3], s33 offset:136 ; 4-byte Folded Spill
	v_cmp_lt_u64_e32 vcc, v[0:1], v[3:4]
	s_and_saveexec_b64 s[44:45], vcc
	s_cbranch_execz .LBB8_997
; %bb.989:                              ;   in Loop: Header=BB8_955 Depth=2
	s_mov_b32 s46, 0
	s_mov_b64 s[92:93], 0
                                        ; implicit-def: $sgpr94_sgpr95
                                        ; implicit-def: $sgpr30_sgpr31
	s_branch .LBB8_991
.LBB8_990:                              ;   in Loop: Header=BB8_991 Depth=3
	s_or_b64 exec, exec, s[36:37]
	s_and_b64 vcc, exec, vcc
	s_or_b64 s[92:93], vcc, s[92:93]
	s_andn2_b64 s[94:95], s[94:95], exec
	s_and_b64 vcc, s[30:31], exec
	s_or_b64 s[94:95], s[94:95], vcc
	s_andn2_b64 exec, exec, s[92:93]
	s_cbranch_execz .LBB8_995
.LBB8_991:                              ;   Parent Loop BB8_47 Depth=1
                                        ;     Parent Loop BB8_955 Depth=2
                                        ; =>    This Inner Loop Header: Depth=3
	s_add_i32 s46, s46, 1
	s_cmpk_lg_i32 s46, 0x2710
	s_cselect_b64 s[34:35], -1, 0
	s_and_b64 vcc, exec, s[34:35]
	s_cbranch_vccz .LBB8_993
; %bb.992:                              ;   in Loop: Header=BB8_991 Depth=3
	s_mov_b64 vcc, -1
	s_or_b64 s[30:31], s[30:31], exec
	s_and_saveexec_b64 s[36:37], s[34:35]
	s_cbranch_execz .LBB8_990
	s_branch .LBB8_994
.LBB8_993:                              ;   in Loop: Header=BB8_991 Depth=3
	s_trap 2
	ds_read_b64 v[0:1], v0
	s_andn2_b64 s[34:35], s[34:35], exec
	s_mov_b32 s46, 0
	s_waitcnt vmcnt(0) lgkmcnt(0)
	flat_load_dword v0, v[0:1] glc
	s_waitcnt vmcnt(0) lgkmcnt(0)
	buffer_wbinvl1_vol
	v_cmp_eq_u32_e32 vcc, 0, v0
	s_and_b64 vcc, vcc, exec
	s_or_b64 s[34:35], s[34:35], vcc
	s_mov_b64 vcc, -1
	s_or_b64 s[30:31], s[30:31], exec
	s_and_saveexec_b64 s[36:37], s[34:35]
	s_cbranch_execz .LBB8_990
.LBB8_994:                              ;   in Loop: Header=BB8_991 Depth=3
	s_sleep 1
	s_trap 2
	ds_read_b64 v[0:1], v0
	s_waitcnt lgkmcnt(0)
	buffer_load_dword v3, off, s[0:3], s33 offset:132 ; 4-byte Folded Reload
	buffer_load_dword v4, off, s[0:3], s33 offset:136 ; 4-byte Folded Reload
	s_andn2_b64 s[30:31], s[30:31], exec
	s_waitcnt vmcnt(0)
	v_cmp_ge_u64_e32 vcc, v[0:1], v[3:4]
	s_orn2_b64 vcc, vcc, exec
	s_branch .LBB8_990
.LBB8_995:                              ;   in Loop: Header=BB8_955 Depth=2
	s_or_b64 exec, exec, s[92:93]
	s_and_saveexec_b64 s[46:47], s[94:95]
	s_xor_b64 s[46:47], exec, s[46:47]
	s_cbranch_execz .LBB8_997
; %bb.996:                              ;   in Loop: Header=BB8_955 Depth=2
	v_mov_b32_e32 v0, 1
	ds_write_b32 v0, v0
	s_trap 2
.LBB8_997:                              ;   in Loop: Header=BB8_955 Depth=2
	s_or_b64 exec, exec, s[44:45]
	;;#ASMSTART
	s_wakeup
	;;#ASMEND
.LBB8_998:                              ;   in Loop: Header=BB8_955 Depth=2
	s_or_b64 exec, exec, s[42:43]
.LBB8_999:                              ;   in Loop: Header=BB8_955 Depth=2
	s_andn2_saveexec_b64 s[40:41], s[40:41]
	s_cbranch_execz .LBB8_1001
; %bb.1000:                             ;   in Loop: Header=BB8_955 Depth=2
	s_waitcnt vmcnt(0) lgkmcnt(0)
	buffer_wbinvl1_vol
	s_barrier
.LBB8_1001:                             ;   in Loop: Header=BB8_955 Depth=2
	s_or_b64 exec, exec, s[40:41]
.LBB8_1002:                             ;   in Loop: Header=BB8_955 Depth=2
	s_or_b64 exec, exec, s[28:29]
	s_trap 2
	ds_read_b32 v0, v0
	v_and_b32_e32 v1, 0x4000, v56
	v_cmp_ne_u32_e32 vcc, 0, v1
	s_xor_b64 s[28:29], s[6:7], -1
	s_and_b64 s[40:41], s[28:29], vcc
	s_and_saveexec_b64 s[28:29], s[40:41]
	s_cbranch_execz .LBB8_1021
; %bb.1003:                             ;   in Loop: Header=BB8_955 Depth=2
	s_and_saveexec_b64 s[40:41], s[58:59]
	s_xor_b64 s[40:41], exec, s[40:41]
	s_cbranch_execz .LBB8_1018
; %bb.1004:                             ;   in Loop: Header=BB8_955 Depth=2
	s_and_saveexec_b64 s[42:43], s[16:17]
	s_cbranch_execz .LBB8_1017
; %bb.1005:                             ;   in Loop: Header=BB8_955 Depth=2
	s_mov_b64 s[92:93], exec
	v_mbcnt_lo_u32_b32 v1, s92, 0
	v_mbcnt_hi_u32_b32 v1, s93, v1
	v_cmp_eq_u32_e32 vcc, 0, v1
	s_waitcnt vmcnt(0) lgkmcnt(0)
	buffer_wbinvl1_vol
	s_and_saveexec_b64 s[44:45], vcc
	s_cbranch_execz .LBB8_1007
; %bb.1006:                             ;   in Loop: Header=BB8_955 Depth=2
	s_bcnt1_i32_b64 s46, s[92:93]
	v_mov_b32_e32 v3, s46
	v_mov_b32_e32 v4, v2
	ds_add_u64 v0, v[3:4]
	s_trap 2
.LBB8_1007:                             ;   in Loop: Header=BB8_955 Depth=2
	s_or_b64 exec, exec, s[44:45]
	s_trap 2
	ds_read_b64 v[3:4], v0
	s_waitcnt lgkmcnt(0)
	buffer_load_dword v5, off, s[0:3], s33 offset:132 ; 4-byte Folded Reload
	buffer_load_dword v6, off, s[0:3], s33 offset:136 ; 4-byte Folded Reload
	s_waitcnt vmcnt(1)
	v_add_co_u32_e32 v5, vcc, v5, v52
	s_waitcnt vmcnt(0)
	v_addc_co_u32_e32 v6, vcc, 0, v6, vcc
	buffer_store_dword v5, off, s[0:3], s33 offset:132 ; 4-byte Folded Spill
	s_nop 0
	buffer_store_dword v6, off, s[0:3], s33 offset:136 ; 4-byte Folded Spill
	v_cmp_lt_u64_e32 vcc, v[3:4], v[5:6]
	s_and_saveexec_b64 s[44:45], vcc
	s_cbranch_execz .LBB8_1016
; %bb.1008:                             ;   in Loop: Header=BB8_955 Depth=2
	s_mov_b32 s46, 0
	s_mov_b64 s[92:93], 0
                                        ; implicit-def: $sgpr94_sgpr95
                                        ; implicit-def: $sgpr30_sgpr31
	s_branch .LBB8_1010
.LBB8_1009:                             ;   in Loop: Header=BB8_1010 Depth=3
	s_or_b64 exec, exec, s[36:37]
	s_and_b64 vcc, exec, vcc
	s_or_b64 s[92:93], vcc, s[92:93]
	s_andn2_b64 s[94:95], s[94:95], exec
	s_and_b64 vcc, s[30:31], exec
	s_or_b64 s[94:95], s[94:95], vcc
	s_andn2_b64 exec, exec, s[92:93]
	s_cbranch_execz .LBB8_1014
.LBB8_1010:                             ;   Parent Loop BB8_47 Depth=1
                                        ;     Parent Loop BB8_955 Depth=2
                                        ; =>    This Inner Loop Header: Depth=3
	s_add_i32 s46, s46, 1
	s_cmpk_lg_i32 s46, 0x2710
	s_cselect_b64 s[34:35], -1, 0
	s_and_b64 vcc, exec, s[34:35]
	s_cbranch_vccz .LBB8_1012
; %bb.1011:                             ;   in Loop: Header=BB8_1010 Depth=3
	s_mov_b64 vcc, -1
	s_or_b64 s[30:31], s[30:31], exec
	s_and_saveexec_b64 s[36:37], s[34:35]
	s_cbranch_execz .LBB8_1009
	s_branch .LBB8_1013
.LBB8_1012:                             ;   in Loop: Header=BB8_1010 Depth=3
	s_trap 2
	ds_read_b64 v[3:4], v0
	s_andn2_b64 s[34:35], s[34:35], exec
	s_mov_b32 s46, 0
	s_waitcnt vmcnt(0) lgkmcnt(0)
	flat_load_dword v1, v[3:4] glc
	s_waitcnt vmcnt(0) lgkmcnt(0)
	buffer_wbinvl1_vol
	v_cmp_eq_u32_e32 vcc, 0, v1
	s_and_b64 vcc, vcc, exec
	s_or_b64 s[34:35], s[34:35], vcc
	s_mov_b64 vcc, -1
	s_or_b64 s[30:31], s[30:31], exec
	s_and_saveexec_b64 s[36:37], s[34:35]
	s_cbranch_execz .LBB8_1009
.LBB8_1013:                             ;   in Loop: Header=BB8_1010 Depth=3
	s_sleep 1
	s_trap 2
	ds_read_b64 v[3:4], v0
	s_waitcnt lgkmcnt(0)
	buffer_load_dword v5, off, s[0:3], s33 offset:132 ; 4-byte Folded Reload
	buffer_load_dword v6, off, s[0:3], s33 offset:136 ; 4-byte Folded Reload
	s_andn2_b64 s[30:31], s[30:31], exec
	s_waitcnt vmcnt(0)
	v_cmp_ge_u64_e32 vcc, v[3:4], v[5:6]
	s_orn2_b64 vcc, vcc, exec
	s_branch .LBB8_1009
.LBB8_1014:                             ;   in Loop: Header=BB8_955 Depth=2
	s_or_b64 exec, exec, s[92:93]
	s_and_saveexec_b64 s[46:47], s[94:95]
	s_xor_b64 s[46:47], exec, s[46:47]
	s_cbranch_execz .LBB8_1016
; %bb.1015:                             ;   in Loop: Header=BB8_955 Depth=2
	v_mov_b32_e32 v1, 1
	ds_write_b32 v0, v1
	s_trap 2
.LBB8_1016:                             ;   in Loop: Header=BB8_955 Depth=2
	s_or_b64 exec, exec, s[44:45]
	;;#ASMSTART
	s_wakeup
	;;#ASMEND
.LBB8_1017:                             ;   in Loop: Header=BB8_955 Depth=2
	s_or_b64 exec, exec, s[42:43]
.LBB8_1018:                             ;   in Loop: Header=BB8_955 Depth=2
	s_andn2_saveexec_b64 s[40:41], s[40:41]
	s_cbranch_execz .LBB8_1020
; %bb.1019:                             ;   in Loop: Header=BB8_955 Depth=2
	s_waitcnt vmcnt(0) lgkmcnt(0)
	buffer_wbinvl1_vol
	s_barrier
.LBB8_1020:                             ;   in Loop: Header=BB8_955 Depth=2
	s_or_b64 exec, exec, s[40:41]
.LBB8_1021:                             ;   in Loop: Header=BB8_955 Depth=2
	s_or_b64 exec, exec, s[28:29]
	s_trap 2
	s_waitcnt lgkmcnt(0)
	ds_read_b64 v[3:4], v0
	s_waitcnt lgkmcnt(0)
	buffer_store_dword v3, off, s[0:3], s33 offset:296 ; 4-byte Folded Spill
	s_nop 0
	buffer_store_dword v4, off, s[0:3], s33 offset:300 ; 4-byte Folded Spill
	v_cmp_eq_u64_e32 vcc, 0, v[3:4]
	s_cbranch_vccnz .LBB8_1167
; %bb.1022:                             ;   in Loop: Header=BB8_955 Depth=2
	s_trap 2
	ds_read_b64 v[3:4], v0
	s_waitcnt lgkmcnt(0)
	buffer_store_dword v3, off, s[0:3], s33 offset:304 ; 4-byte Folded Spill
	s_nop 0
	buffer_store_dword v4, off, s[0:3], s33 offset:308 ; 4-byte Folded Spill
	v_cmp_eq_u64_e32 vcc, 0, v[3:4]
	s_cbranch_vccnz .LBB8_1167
; %bb.1023:                             ;   in Loop: Header=BB8_955 Depth=2
	s_trap 2
	ds_read_b64 v[26:27], v0
	v_cmp_eq_u32_e32 vcc, 0, v0
	buffer_load_dword v0, off, s[0:3], s33 offset:276 ; 4-byte Folded Reload
	buffer_load_dword v1, off, s[0:3], s33 offset:280 ; 4-byte Folded Reload
	s_mov_b64 s[28:29], -1
	s_waitcnt lgkmcnt(0)
	v_readfirstlane_b32 s77, v26
	s_waitcnt vmcnt(1)
	v_cndmask_b32_e32 v0, 0, v0, vcc
	v_cmp_ne_u64_e32 vcc, 0, v[26:27]
	buffer_store_dword v0, off, s[0:3], s33 offset:312 ; 4-byte Folded Spill
	v_lshlrev_b32_e32 v0, 1, v0
	buffer_store_dword v0, off, s[0:3], s33 offset:292 ; 4-byte Folded Spill
	s_cbranch_vccz .LBB8_1499
; %bb.1024:                             ;   in Loop: Header=BB8_955 Depth=2
	s_and_saveexec_b64 s[40:41], s[22:23]
	s_cbranch_execz .LBB8_1026
; %bb.1025:                             ;   in Loop: Header=BB8_955 Depth=2
	ds_read_b32 v0, v0 offset:720
	s_waitcnt lgkmcnt(0)
	v_and_b32_e32 v0, 15, v0
	v_cmp_eq_u32_e32 vcc, 0, v0
	s_orn2_b64 s[28:29], vcc, exec
.LBB8_1026:                             ;   in Loop: Header=BB8_955 Depth=2
	s_or_b64 exec, exec, s[40:41]
	s_and_saveexec_b64 s[40:41], s[22:23]
	s_cbranch_execz .LBB8_1028
; %bb.1027:                             ;   in Loop: Header=BB8_955 Depth=2
	ds_read_b32 v0, v0 offset:784
	s_waitcnt lgkmcnt(0)
	v_and_b32_e32 v0, 15, v0
	v_cmp_eq_u32_e32 vcc, 0, v0
	s_and_b64 s[42:43], s[28:29], vcc
	s_andn2_b64 s[28:29], s[28:29], exec
	s_and_b64 s[42:43], s[42:43], exec
	s_or_b64 s[28:29], s[28:29], s[42:43]
.LBB8_1028:                             ;   in Loop: Header=BB8_955 Depth=2
	s_or_b64 exec, exec, s[40:41]
	s_xor_b64 s[28:29], s[28:29], -1
	v_cndmask_b32_e64 v0, 0, 1, s[28:29]
	s_mov_b64 s[40:41], -1
	v_cmp_ne_u32_e32 vcc, 0, v0
	s_cbranch_vccz .LBB8_1168
; %bb.1029:                             ;   in Loop: Header=BB8_955 Depth=2
	s_and_b32 s46, s77, 1
	s_mov_b64 s[92:93], -1
	v_mov_b32_e32 v14, 0
	s_cbranch_execnz .LBB8_1169
.LBB8_1030:                             ;   in Loop: Header=BB8_955 Depth=2
	buffer_load_dword v1, off, s[0:3], s33 offset:292 ; 4-byte Folded Reload
	s_and_b32 s46, s77, 1
	s_mov_b64 s[28:29], 0
                                        ; implicit-def: $vgpr20_vgpr21
                                        ; implicit-def: $vgpr12_vgpr13
                                        ; implicit-def: $vgpr16_vgpr17
                                        ; implicit-def: $vgpr8_vgpr9
	s_waitcnt vmcnt(0)
	v_ashrrev_i32_e32 v0, 31, v1
	v_lshrrev_b32_e32 v0, 21, v0
	v_add_u32_e32 v0, v1, v0
	v_ashrrev_i32_e32 v30, 11, v0
	buffer_load_dword v0, off, s[0:3], s33 offset:272 ; 4-byte Folded Reload
	s_waitcnt vmcnt(0)
	v_sub_u32_e32 v4, v30, v0
	buffer_load_dword v0, off, s[0:3], s33 offset:264 ; 4-byte Folded Reload
	buffer_load_dword v5, off, s[0:3], s33 offset:304 ; 4-byte Folded Reload
	;; [unrolled: 1-line block ×3, first 2 shown]
	s_waitcnt vmcnt(1)
	v_add_co_u32_e32 v28, vcc, v5, v0
	s_waitcnt vmcnt(0)
	v_addc_co_u32_e32 v29, vcc, 0, v6, vcc
	v_add_co_u32_e32 v44, vcc, v26, v0
	v_addc_co_u32_e32 v45, vcc, 0, v27, vcc
	v_cmp_lt_i32_e32 vcc, 0, v4
	s_and_saveexec_b64 s[40:41], vcc
	s_cbranch_execz .LBB8_1171
; %bb.1031:                             ;   in Loop: Header=BB8_955 Depth=2
	buffer_store_dword v26, off, s[0:3], s33 offset:352 ; 4-byte Folded Spill
	s_nop 0
	buffer_store_dword v27, off, s[0:3], s33 offset:356 ; 4-byte Folded Spill
	s_trap 2
	ds_read_b64 v[0:1], v0
	buffer_load_dword v3, off, s[0:3], s33 offset:264 ; 4-byte Folded Reload
	buffer_load_dword v6, off, s[0:3], s33 offset:296 ; 4-byte Folded Reload
	;; [unrolled: 1-line block ×3, first 2 shown]
	s_and_b32 s28, 0xffff, s46
	s_cmp_eq_u32 s28, 0
	s_mov_b64 s[94:95], 0
	s_mov_b64 s[42:43], 0
	s_cselect_b64 s[28:29], -1, 0
                                        ; implicit-def: $sgpr44_sgpr45
                                        ; implicit-def: $vgpr20_vgpr21
                                        ; implicit-def: $vgpr12_vgpr13
                                        ; implicit-def: $vgpr16_vgpr17
                                        ; implicit-def: $vgpr8_vgpr9
	s_waitcnt vmcnt(1)
	v_add_co_u32_e32 v6, vcc, v6, v3
	s_waitcnt vmcnt(0)
	v_addc_co_u32_e32 v7, vcc, 0, v7, vcc
	s_waitcnt lgkmcnt(0)
	v_add_co_u32_e32 v59, vcc, v0, v3
	v_addc_co_u32_e32 v60, vcc, 0, v1, vcc
	s_branch .LBB8_1033
.LBB8_1032:                             ;   in Loop: Header=BB8_1033 Depth=3
	s_or_b64 exec, exec, s[30:31]
	v_cmp_gt_i32_e32 vcc, 1, v4
	s_or_b64 s[42:43], vcc, s[42:43]
	s_andn2_b64 s[44:45], s[44:45], exec
	s_and_b64 vcc, s[94:95], exec
	s_or_b64 s[44:45], s[44:45], vcc
	s_andn2_b64 exec, exec, s[42:43]
	s_cbranch_execz .LBB8_1170
.LBB8_1033:                             ;   Parent Loop BB8_47 Depth=1
                                        ;     Parent Loop BB8_955 Depth=2
                                        ; =>    This Inner Loop Header: Depth=3
	global_load_dwordx4 v[36:39], v[6:7], off glc slc
	global_load_dwordx4 v[24:27], v[6:7], off offset:1024 glc slc
	global_load_dwordx4 v[48:51], v[59:60], off glc slc
	global_load_dwordx4 v[32:35], v[59:60], off offset:1024 glc slc
	s_and_saveexec_b64 s[30:31], s[94:95]
	s_cbranch_execz .LBB8_1099
; %bb.1034:                             ;   in Loop: Header=BB8_1033 Depth=3
	s_waitcnt vmcnt(11)
	v_lshlrev_b32_e32 v0, 16, v20
	s_waitcnt vmcnt(9)
	v_lshlrev_b32_e32 v1, 16, v16
	v_max_f32_e32 v1, v1, v1
	v_max_f32_e32 v0, v0, v0
	v_min_f32_e32 v3, v0, v1
	v_max_f32_e32 v0, v0, v1
	v_cndmask_b32_e64 v0, v0, v3, s[28:29]
	v_and_b32_e32 v1, 0x7f800000, v0
	v_cmp_ne_u32_e32 vcc, s96, v1
                                        ; implicit-def: $vgpr1
                                        ; kill: killed $vgpr1
	s_and_saveexec_b64 s[94:95], vcc
	s_xor_b64 s[94:95], exec, s[94:95]
	s_cbranch_execz .LBB8_1036
; %bb.1035:                             ;   in Loop: Header=BB8_1033 Depth=3
	v_bfe_u32 v1, v0, 16, 1
	v_add3_u32 v0, v0, v1, s97
	buffer_store_dword v0, off, s[0:3], s33 offset:284 ; 4-byte Folded Spill
                                        ; implicit-def: $vgpr0
.LBB8_1036:                             ;   in Loop: Header=BB8_1033 Depth=3
	s_andn2_saveexec_b64 s[94:95], s[94:95]
	s_cbranch_execz .LBB8_1038
; %bb.1037:                             ;   in Loop: Header=BB8_1033 Depth=3
	v_or_b32_e32 v1, 0x10000, v0
	v_cmp_eq_u32_sdwa vcc, v0, v2 src0_sel:WORD_0 src1_sel:DWORD
	v_cndmask_b32_e32 v0, v1, v0, vcc
	buffer_store_dword v0, off, s[0:3], s33 offset:284 ; 4-byte Folded Spill
.LBB8_1038:                             ;   in Loop: Header=BB8_1033 Depth=3
	s_or_b64 exec, exec, s[94:95]
	v_and_b32_e32 v0, 0xffff0000, v20
	v_and_b32_e32 v1, 0xffff0000, v16
	v_max_f32_e32 v1, v1, v1
	v_max_f32_e32 v0, v0, v0
	v_min_f32_e32 v3, v0, v1
	v_max_f32_e32 v0, v0, v1
	v_cndmask_b32_e64 v0, v0, v3, s[28:29]
	v_and_b32_e32 v1, 0x7f800000, v0
	v_cmp_ne_u32_e32 vcc, s96, v1
                                        ; implicit-def: $vgpr20
	s_and_saveexec_b64 s[94:95], vcc
	s_xor_b64 s[94:95], exec, s[94:95]
; %bb.1039:                             ;   in Loop: Header=BB8_1033 Depth=3
	v_bfe_u32 v1, v0, 16, 1
	v_add3_u32 v20, v0, v1, s97
                                        ; implicit-def: $vgpr0
; %bb.1040:                             ;   in Loop: Header=BB8_1033 Depth=3
	s_andn2_saveexec_b64 s[94:95], s[94:95]
; %bb.1041:                             ;   in Loop: Header=BB8_1033 Depth=3
	v_or_b32_e32 v1, 0x10000, v0
	v_cmp_eq_u32_sdwa vcc, v0, v2 src0_sel:WORD_0 src1_sel:DWORD
	v_cndmask_b32_e32 v20, v1, v0, vcc
; %bb.1042:                             ;   in Loop: Header=BB8_1033 Depth=3
	s_or_b64 exec, exec, s[94:95]
	v_lshlrev_b32_e32 v0, 16, v21
	v_lshlrev_b32_e32 v1, 16, v17
	v_max_f32_e32 v1, v1, v1
	v_max_f32_e32 v0, v0, v0
	v_min_f32_e32 v3, v0, v1
	v_max_f32_e32 v0, v0, v1
	v_cndmask_b32_e64 v0, v0, v3, s[28:29]
	v_and_b32_e32 v1, 0x7f800000, v0
	v_cmp_ne_u32_e32 vcc, s96, v1
                                        ; implicit-def: $vgpr61
	s_and_saveexec_b64 s[94:95], vcc
	s_xor_b64 s[94:95], exec, s[94:95]
; %bb.1043:                             ;   in Loop: Header=BB8_1033 Depth=3
	v_bfe_u32 v1, v0, 16, 1
	v_add3_u32 v61, v0, v1, s97
                                        ; implicit-def: $vgpr0
; %bb.1044:                             ;   in Loop: Header=BB8_1033 Depth=3
	s_andn2_saveexec_b64 s[94:95], s[94:95]
; %bb.1045:                             ;   in Loop: Header=BB8_1033 Depth=3
	v_or_b32_e32 v1, 0x10000, v0
	v_cmp_eq_u32_sdwa vcc, v0, v2 src0_sel:WORD_0 src1_sel:DWORD
	v_cndmask_b32_e32 v61, v1, v0, vcc
; %bb.1046:                             ;   in Loop: Header=BB8_1033 Depth=3
	s_or_b64 exec, exec, s[94:95]
	v_and_b32_e32 v0, 0xffff0000, v21
	v_and_b32_e32 v1, 0xffff0000, v17
	v_max_f32_e32 v1, v1, v1
	v_max_f32_e32 v0, v0, v0
	v_min_f32_e32 v3, v0, v1
	v_max_f32_e32 v0, v0, v1
	v_cndmask_b32_e64 v0, v0, v3, s[28:29]
	v_and_b32_e32 v1, 0x7f800000, v0
	v_cmp_ne_u32_e32 vcc, s96, v1
                                        ; implicit-def: $vgpr21
	s_and_saveexec_b64 s[94:95], vcc
	s_xor_b64 s[94:95], exec, s[94:95]
; %bb.1047:                             ;   in Loop: Header=BB8_1033 Depth=3
	v_bfe_u32 v1, v0, 16, 1
	v_add3_u32 v21, v0, v1, s97
                                        ; implicit-def: $vgpr0
; %bb.1048:                             ;   in Loop: Header=BB8_1033 Depth=3
	s_andn2_saveexec_b64 s[94:95], s[94:95]
; %bb.1049:                             ;   in Loop: Header=BB8_1033 Depth=3
	v_or_b32_e32 v1, 0x10000, v0
	v_cmp_eq_u32_sdwa vcc, v0, v2 src0_sel:WORD_0 src1_sel:DWORD
	v_cndmask_b32_e32 v21, v1, v0, vcc
; %bb.1050:                             ;   in Loop: Header=BB8_1033 Depth=3
	s_or_b64 exec, exec, s[94:95]
	v_lshlrev_b32_e32 v0, 16, v22
	v_lshlrev_b32_e32 v1, 16, v18
	v_max_f32_e32 v1, v1, v1
	v_max_f32_e32 v0, v0, v0
	v_min_f32_e32 v3, v0, v1
	v_max_f32_e32 v0, v0, v1
	v_cndmask_b32_e64 v0, v0, v3, s[28:29]
	v_and_b32_e32 v1, 0x7f800000, v0
	v_cmp_ne_u32_e32 vcc, s96, v1
                                        ; implicit-def: $vgpr42
	s_and_saveexec_b64 s[94:95], vcc
	s_xor_b64 s[94:95], exec, s[94:95]
; %bb.1051:                             ;   in Loop: Header=BB8_1033 Depth=3
	v_bfe_u32 v1, v0, 16, 1
	v_add3_u32 v42, v0, v1, s97
                                        ; implicit-def: $vgpr0
; %bb.1052:                             ;   in Loop: Header=BB8_1033 Depth=3
	s_andn2_saveexec_b64 s[94:95], s[94:95]
; %bb.1053:                             ;   in Loop: Header=BB8_1033 Depth=3
	v_or_b32_e32 v1, 0x10000, v0
	v_cmp_eq_u32_sdwa vcc, v0, v2 src0_sel:WORD_0 src1_sel:DWORD
	v_cndmask_b32_e32 v42, v1, v0, vcc
; %bb.1054:                             ;   in Loop: Header=BB8_1033 Depth=3
	s_or_b64 exec, exec, s[94:95]
	v_and_b32_e32 v0, 0xffff0000, v22
	v_and_b32_e32 v1, 0xffff0000, v18
	v_max_f32_e32 v1, v1, v1
	v_max_f32_e32 v0, v0, v0
	v_min_f32_e32 v3, v0, v1
	v_max_f32_e32 v0, v0, v1
	v_cndmask_b32_e64 v0, v0, v3, s[28:29]
	v_and_b32_e32 v1, 0x7f800000, v0
	v_cmp_ne_u32_e32 vcc, s96, v1
                                        ; implicit-def: $vgpr22
	s_and_saveexec_b64 s[94:95], vcc
	s_xor_b64 s[94:95], exec, s[94:95]
; %bb.1055:                             ;   in Loop: Header=BB8_1033 Depth=3
	v_bfe_u32 v1, v0, 16, 1
	v_add3_u32 v22, v0, v1, s97
                                        ; implicit-def: $vgpr0
; %bb.1056:                             ;   in Loop: Header=BB8_1033 Depth=3
	s_andn2_saveexec_b64 s[94:95], s[94:95]
; %bb.1057:                             ;   in Loop: Header=BB8_1033 Depth=3
	v_or_b32_e32 v1, 0x10000, v0
	v_cmp_eq_u32_sdwa vcc, v0, v2 src0_sel:WORD_0 src1_sel:DWORD
	v_cndmask_b32_e32 v22, v1, v0, vcc
; %bb.1058:                             ;   in Loop: Header=BB8_1033 Depth=3
	s_or_b64 exec, exec, s[94:95]
	v_lshlrev_b32_e32 v0, 16, v23
	v_lshlrev_b32_e32 v1, 16, v19
	v_max_f32_e32 v1, v1, v1
	v_max_f32_e32 v0, v0, v0
	v_min_f32_e32 v3, v0, v1
	v_max_f32_e32 v0, v0, v1
	v_cndmask_b32_e64 v0, v0, v3, s[28:29]
	v_and_b32_e32 v1, 0x7f800000, v0
	v_cmp_ne_u32_e32 vcc, s96, v1
                                        ; implicit-def: $vgpr5
	s_and_saveexec_b64 s[94:95], vcc
	s_xor_b64 s[94:95], exec, s[94:95]
; %bb.1059:                             ;   in Loop: Header=BB8_1033 Depth=3
	v_bfe_u32 v1, v0, 16, 1
	v_add3_u32 v5, v0, v1, s97
                                        ; implicit-def: $vgpr0
; %bb.1060:                             ;   in Loop: Header=BB8_1033 Depth=3
	s_andn2_saveexec_b64 s[94:95], s[94:95]
; %bb.1061:                             ;   in Loop: Header=BB8_1033 Depth=3
	v_or_b32_e32 v1, 0x10000, v0
	v_cmp_eq_u32_sdwa vcc, v0, v2 src0_sel:WORD_0 src1_sel:DWORD
	v_cndmask_b32_e32 v5, v1, v0, vcc
; %bb.1062:                             ;   in Loop: Header=BB8_1033 Depth=3
	s_or_b64 exec, exec, s[94:95]
	v_and_b32_e32 v0, 0xffff0000, v23
	v_and_b32_e32 v1, 0xffff0000, v19
	v_max_f32_e32 v1, v1, v1
	v_max_f32_e32 v0, v0, v0
	v_min_f32_e32 v3, v0, v1
	v_max_f32_e32 v0, v0, v1
	v_cndmask_b32_e64 v0, v0, v3, s[28:29]
	v_and_b32_e32 v1, 0x7f800000, v0
	v_cmp_ne_u32_e32 vcc, s96, v1
                                        ; implicit-def: $vgpr23
	s_and_saveexec_b64 s[94:95], vcc
	s_xor_b64 s[94:95], exec, s[94:95]
; %bb.1063:                             ;   in Loop: Header=BB8_1033 Depth=3
	v_bfe_u32 v1, v0, 16, 1
	v_add3_u32 v23, v0, v1, s97
                                        ; implicit-def: $vgpr0
; %bb.1064:                             ;   in Loop: Header=BB8_1033 Depth=3
	s_andn2_saveexec_b64 s[94:95], s[94:95]
; %bb.1065:                             ;   in Loop: Header=BB8_1033 Depth=3
	v_or_b32_e32 v1, 0x10000, v0
	v_cmp_eq_u32_sdwa vcc, v0, v2 src0_sel:WORD_0 src1_sel:DWORD
	v_cndmask_b32_e32 v23, v1, v0, vcc
; %bb.1066:                             ;   in Loop: Header=BB8_1033 Depth=3
	s_or_b64 exec, exec, s[94:95]
	v_lshlrev_b32_e32 v0, 16, v12
	s_waitcnt vmcnt(8)
	v_lshlrev_b32_e32 v1, 16, v8
	v_max_f32_e32 v1, v1, v1
	v_max_f32_e32 v0, v0, v0
	v_min_f32_e32 v3, v0, v1
	v_max_f32_e32 v0, v0, v1
	v_cndmask_b32_e64 v1, v0, v3, s[28:29]
	v_and_b32_e32 v0, 0x7f800000, v1
	v_cmp_ne_u32_e32 vcc, s96, v0
                                        ; implicit-def: $vgpr0
	s_and_saveexec_b64 s[94:95], vcc
	s_xor_b64 s[94:95], exec, s[94:95]
; %bb.1067:                             ;   in Loop: Header=BB8_1033 Depth=3
	v_bfe_u32 v0, v1, 16, 1
	v_add3_u32 v0, v1, v0, s97
                                        ; implicit-def: $vgpr1
; %bb.1068:                             ;   in Loop: Header=BB8_1033 Depth=3
	s_andn2_saveexec_b64 s[94:95], s[94:95]
; %bb.1069:                             ;   in Loop: Header=BB8_1033 Depth=3
	v_or_b32_e32 v0, 0x10000, v1
	v_cmp_eq_u32_sdwa vcc, v1, v2 src0_sel:WORD_0 src1_sel:DWORD
	v_cndmask_b32_e32 v0, v0, v1, vcc
; %bb.1070:                             ;   in Loop: Header=BB8_1033 Depth=3
	s_or_b64 exec, exec, s[94:95]
	v_and_b32_e32 v1, 0xffff0000, v12
	v_and_b32_e32 v3, 0xffff0000, v8
	v_max_f32_e32 v3, v3, v3
	v_max_f32_e32 v1, v1, v1
	v_min_f32_e32 v12, v1, v3
	v_max_f32_e32 v1, v1, v3
	v_cndmask_b32_e64 v3, v1, v12, s[28:29]
	v_and_b32_e32 v1, 0x7f800000, v3
	v_cmp_ne_u32_e32 vcc, s96, v1
                                        ; implicit-def: $vgpr1
	s_and_saveexec_b64 s[94:95], vcc
	s_xor_b64 s[94:95], exec, s[94:95]
; %bb.1071:                             ;   in Loop: Header=BB8_1033 Depth=3
	v_bfe_u32 v1, v3, 16, 1
	v_add3_u32 v1, v3, v1, s97
                                        ; implicit-def: $vgpr3
; %bb.1072:                             ;   in Loop: Header=BB8_1033 Depth=3
	s_andn2_saveexec_b64 s[94:95], s[94:95]
; %bb.1073:                             ;   in Loop: Header=BB8_1033 Depth=3
	v_or_b32_e32 v1, 0x10000, v3
	v_cmp_eq_u32_sdwa vcc, v3, v2 src0_sel:WORD_0 src1_sel:DWORD
	v_cndmask_b32_e32 v1, v1, v3, vcc
; %bb.1074:                             ;   in Loop: Header=BB8_1033 Depth=3
	s_or_b64 exec, exec, s[94:95]
	v_lshlrev_b32_e32 v3, 16, v13
	v_lshlrev_b32_e32 v12, 16, v9
	v_max_f32_e32 v12, v12, v12
	v_max_f32_e32 v3, v3, v3
	v_min_f32_e32 v43, v3, v12
	v_max_f32_e32 v3, v3, v12
	v_cndmask_b32_e64 v3, v3, v43, s[28:29]
	v_and_b32_e32 v12, 0x7f800000, v3
	v_cmp_ne_u32_e32 vcc, s96, v12
                                        ; implicit-def: $vgpr12
	s_and_saveexec_b64 s[94:95], vcc
	s_xor_b64 s[94:95], exec, s[94:95]
; %bb.1075:                             ;   in Loop: Header=BB8_1033 Depth=3
	v_bfe_u32 v12, v3, 16, 1
	v_add3_u32 v12, v3, v12, s97
                                        ; implicit-def: $vgpr3
; %bb.1076:                             ;   in Loop: Header=BB8_1033 Depth=3
	s_andn2_saveexec_b64 s[94:95], s[94:95]
; %bb.1077:                             ;   in Loop: Header=BB8_1033 Depth=3
	v_or_b32_e32 v12, 0x10000, v3
	v_cmp_eq_u32_sdwa vcc, v3, v2 src0_sel:WORD_0 src1_sel:DWORD
	v_cndmask_b32_e32 v12, v12, v3, vcc
; %bb.1078:                             ;   in Loop: Header=BB8_1033 Depth=3
	s_or_b64 exec, exec, s[94:95]
	v_and_b32_e32 v3, 0xffff0000, v13
	v_and_b32_e32 v13, 0xffff0000, v9
	v_max_f32_e32 v13, v13, v13
	v_max_f32_e32 v3, v3, v3
	v_min_f32_e32 v43, v3, v13
	v_max_f32_e32 v3, v3, v13
	v_cndmask_b32_e64 v3, v3, v43, s[28:29]
	v_and_b32_e32 v13, 0x7f800000, v3
	v_cmp_ne_u32_e32 vcc, s96, v13
                                        ; implicit-def: $vgpr13
	s_and_saveexec_b64 s[94:95], vcc
	s_xor_b64 s[94:95], exec, s[94:95]
; %bb.1079:                             ;   in Loop: Header=BB8_1033 Depth=3
	v_bfe_u32 v13, v3, 16, 1
	v_add3_u32 v13, v3, v13, s97
                                        ; implicit-def: $vgpr3
; %bb.1080:                             ;   in Loop: Header=BB8_1033 Depth=3
	s_andn2_saveexec_b64 s[94:95], s[94:95]
; %bb.1081:                             ;   in Loop: Header=BB8_1033 Depth=3
	v_or_b32_e32 v13, 0x10000, v3
	v_cmp_eq_u32_sdwa vcc, v3, v2 src0_sel:WORD_0 src1_sel:DWORD
	v_cndmask_b32_e32 v13, v13, v3, vcc
; %bb.1082:                             ;   in Loop: Header=BB8_1033 Depth=3
	s_or_b64 exec, exec, s[94:95]
	v_lshlrev_b32_e32 v3, 16, v14
	v_lshlrev_b32_e32 v43, 16, v10
	v_max_f32_e32 v43, v43, v43
	v_max_f32_e32 v3, v3, v3
	v_min_f32_e32 v57, v3, v43
	v_max_f32_e32 v3, v3, v43
	v_cndmask_b32_e64 v58, v3, v57, s[28:29]
	v_and_b32_e32 v3, 0x7f800000, v58
	v_cmp_ne_u32_e32 vcc, s96, v3
                                        ; implicit-def: $vgpr3
	s_and_saveexec_b64 s[94:95], vcc
	s_xor_b64 s[94:95], exec, s[94:95]
; %bb.1083:                             ;   in Loop: Header=BB8_1033 Depth=3
	v_bfe_u32 v3, v58, 16, 1
	v_add3_u32 v3, v58, v3, s97
                                        ; implicit-def: $vgpr58
; %bb.1084:                             ;   in Loop: Header=BB8_1033 Depth=3
	s_andn2_saveexec_b64 s[94:95], s[94:95]
; %bb.1085:                             ;   in Loop: Header=BB8_1033 Depth=3
	v_or_b32_e32 v3, 0x10000, v58
	v_cmp_eq_u32_sdwa vcc, v58, v2 src0_sel:WORD_0 src1_sel:DWORD
	v_cndmask_b32_e32 v3, v3, v58, vcc
; %bb.1086:                             ;   in Loop: Header=BB8_1033 Depth=3
	s_or_b64 exec, exec, s[94:95]
	v_and_b32_e32 v14, 0xffff0000, v14
	v_and_b32_e32 v43, 0xffff0000, v10
	v_max_f32_e32 v43, v43, v43
	v_max_f32_e32 v14, v14, v14
	v_min_f32_e32 v57, v14, v43
	v_max_f32_e32 v14, v14, v43
	v_cndmask_b32_e64 v58, v14, v57, s[28:29]
	v_and_b32_e32 v14, 0x7f800000, v58
	v_cmp_ne_u32_e32 vcc, s96, v14
                                        ; implicit-def: $vgpr14
	s_and_saveexec_b64 s[94:95], vcc
	s_xor_b64 s[94:95], exec, s[94:95]
; %bb.1087:                             ;   in Loop: Header=BB8_1033 Depth=3
	v_bfe_u32 v14, v58, 16, 1
	v_add3_u32 v14, v58, v14, s97
                                        ; implicit-def: $vgpr58
; %bb.1088:                             ;   in Loop: Header=BB8_1033 Depth=3
	s_andn2_saveexec_b64 s[94:95], s[94:95]
; %bb.1089:                             ;   in Loop: Header=BB8_1033 Depth=3
	v_or_b32_e32 v14, 0x10000, v58
	v_cmp_eq_u32_sdwa vcc, v58, v2 src0_sel:WORD_0 src1_sel:DWORD
	v_cndmask_b32_e32 v14, v14, v58, vcc
; %bb.1090:                             ;   in Loop: Header=BB8_1033 Depth=3
	s_or_b64 exec, exec, s[94:95]
	v_lshlrev_b32_e32 v43, 16, v15
	v_lshlrev_b32_e32 v57, 16, v11
	v_max_f32_e32 v57, v57, v57
	v_max_f32_e32 v43, v43, v43
	v_min_f32_e32 v58, v43, v57
	v_max_f32_e32 v43, v43, v57
	v_cndmask_b32_e64 v43, v43, v58, s[28:29]
	v_and_b32_e32 v57, 0x7f800000, v43
	v_cmp_ne_u32_e32 vcc, s96, v57
                                        ; implicit-def: $vgpr58
	s_and_saveexec_b64 s[94:95], vcc
	s_xor_b64 s[94:95], exec, s[94:95]
; %bb.1091:                             ;   in Loop: Header=BB8_1033 Depth=3
	v_bfe_u32 v57, v43, 16, 1
	v_add3_u32 v58, v43, v57, s97
                                        ; implicit-def: $vgpr43
; %bb.1092:                             ;   in Loop: Header=BB8_1033 Depth=3
	s_andn2_saveexec_b64 s[94:95], s[94:95]
; %bb.1093:                             ;   in Loop: Header=BB8_1033 Depth=3
	v_or_b32_e32 v57, 0x10000, v43
	v_cmp_eq_u32_sdwa vcc, v43, v2 src0_sel:WORD_0 src1_sel:DWORD
	v_cndmask_b32_e32 v58, v57, v43, vcc
; %bb.1094:                             ;   in Loop: Header=BB8_1033 Depth=3
	s_or_b64 exec, exec, s[94:95]
	v_and_b32_e32 v15, 0xffff0000, v15
	v_and_b32_e32 v43, 0xffff0000, v11
	v_max_f32_e32 v43, v43, v43
	v_max_f32_e32 v15, v15, v15
	v_min_f32_e32 v57, v15, v43
	v_max_f32_e32 v15, v15, v43
	v_cndmask_b32_e64 v43, v15, v57, s[28:29]
	v_and_b32_e32 v15, 0x7f800000, v43
	v_cmp_ne_u32_e32 vcc, s96, v15
                                        ; implicit-def: $vgpr15
	s_and_saveexec_b64 s[94:95], vcc
	s_xor_b64 s[94:95], exec, s[94:95]
; %bb.1095:                             ;   in Loop: Header=BB8_1033 Depth=3
	v_bfe_u32 v15, v43, 16, 1
	v_add3_u32 v15, v43, v15, s97
                                        ; implicit-def: $vgpr43
; %bb.1096:                             ;   in Loop: Header=BB8_1033 Depth=3
	s_andn2_saveexec_b64 s[94:95], s[94:95]
; %bb.1097:                             ;   in Loop: Header=BB8_1033 Depth=3
	v_or_b32_e32 v15, 0x10000, v43
	v_cmp_eq_u32_sdwa vcc, v43, v2 src0_sel:WORD_0 src1_sel:DWORD
	v_cndmask_b32_e32 v15, v15, v43, vcc
; %bb.1098:                             ;   in Loop: Header=BB8_1033 Depth=3
	s_or_b64 exec, exec, s[94:95]
	v_lshrrev_b32_e32 v43, 16, v61
	v_and_or_b32 v21, v21, s56, v43
	buffer_load_dword v43, off, s[0:3], s33 offset:284 ; 4-byte Folded Reload
	v_lshrrev_b32_e32 v5, 16, v5
	v_lshrrev_b32_e32 v0, 16, v0
	;; [unrolled: 1-line block ×3, first 2 shown]
	v_and_or_b32 v23, v23, s56, v5
	v_lshrrev_b32_e32 v5, 16, v12
	v_and_or_b32 v12, v1, s56, v0
	v_lshrrev_b32_e32 v0, 16, v3
	v_and_or_b32 v22, v22, s56, v42
	v_and_or_b32 v14, v14, s56, v0
	v_lshrrev_b32_e32 v0, 16, v58
	v_and_or_b32 v13, v13, s56, v5
	v_and_or_b32 v15, v15, s56, v0
	s_waitcnt vmcnt(0)
	v_lshrrev_b32_e32 v43, 16, v43
	v_and_or_b32 v20, v20, s56, v43
	global_store_dwordx4 v[28:29], v[20:23], off glc slc
	global_store_dwordx4 v[28:29], v[12:15], off offset:1024 glc slc
	global_store_dwordx4 v[44:45], v[20:23], off glc slc
	global_store_dwordx4 v[44:45], v[12:15], off offset:1024 glc slc
	buffer_load_dword v0, off, s[0:3], s33 offset:140 ; 4-byte Folded Reload
	buffer_load_dword v1, off, s[0:3], s33 offset:144 ; 4-byte Folded Reload
	s_waitcnt vmcnt(1)
	v_add_co_u32_e32 v28, vcc, v28, v0
	s_waitcnt vmcnt(0)
	v_addc_co_u32_e32 v29, vcc, v29, v1, vcc
	v_add_co_u32_e32 v44, vcc, v44, v0
	v_addc_co_u32_e32 v45, vcc, v45, v1, vcc
.LBB8_1099:                             ;   in Loop: Header=BB8_1033 Depth=3
	s_or_b64 exec, exec, s[30:31]
	buffer_load_dword v0, off, s[0:3], s33 offset:140 ; 4-byte Folded Reload
	buffer_load_dword v1, off, s[0:3], s33 offset:144 ; 4-byte Folded Reload
	v_sub_u32_e32 v4, v4, v52
	v_cmp_lt_i32_e64 s[94:95], 0, v4
	s_waitcnt vmcnt(1)
	v_add_co_u32_e32 v6, vcc, v6, v0
	s_waitcnt vmcnt(0)
	v_addc_co_u32_e32 v7, vcc, v7, v1, vcc
	v_add_co_u32_e32 v59, vcc, v59, v0
	v_addc_co_u32_e32 v60, vcc, v60, v1, vcc
	s_and_saveexec_b64 s[30:31], s[94:95]
	s_cbranch_execz .LBB8_1101
; %bb.1100:                             ;   in Loop: Header=BB8_1033 Depth=3
	global_load_dwordx4 v[20:23], v[6:7], off glc slc
	global_load_dwordx4 v[12:15], v[6:7], off offset:1024 glc slc
	global_load_dwordx4 v[16:19], v[59:60], off glc slc
	global_load_dwordx4 v[8:11], v[59:60], off offset:1024 glc slc
	v_add_co_u32_e32 v6, vcc, 0x800, v6
	v_addc_co_u32_e32 v7, vcc, 0, v7, vcc
	v_add_co_u32_e32 v59, vcc, 0x800, v59
	v_addc_co_u32_e32 v60, vcc, 0, v60, vcc
.LBB8_1101:                             ;   in Loop: Header=BB8_1033 Depth=3
	s_or_b64 exec, exec, s[30:31]
	v_lshlrev_b32_e32 v0, 16, v36
	v_lshlrev_b32_e32 v1, 16, v48
	v_max_f32_e32 v1, v1, v1
	v_max_f32_e32 v0, v0, v0
	v_min_f32_e32 v3, v0, v1
	v_max_f32_e32 v0, v0, v1
	v_cndmask_b32_e64 v0, v0, v3, s[28:29]
	v_and_b32_e32 v1, 0x7f800000, v0
	v_cmp_ne_u32_e32 vcc, s96, v1
                                        ; implicit-def: $vgpr43
	s_and_saveexec_b64 s[30:31], vcc
	s_xor_b64 vcc, exec, s[30:31]
; %bb.1102:                             ;   in Loop: Header=BB8_1033 Depth=3
	v_bfe_u32 v1, v0, 16, 1
	v_add3_u32 v43, v0, v1, s97
                                        ; implicit-def: $vgpr0
; %bb.1103:                             ;   in Loop: Header=BB8_1033 Depth=3
	s_andn2_saveexec_b64 s[30:31], vcc
; %bb.1104:                             ;   in Loop: Header=BB8_1033 Depth=3
	v_or_b32_e32 v1, 0x10000, v0
	v_cmp_eq_u32_sdwa vcc, v0, v2 src0_sel:WORD_0 src1_sel:DWORD
	v_cndmask_b32_e32 v43, v1, v0, vcc
; %bb.1105:                             ;   in Loop: Header=BB8_1033 Depth=3
	s_or_b64 exec, exec, s[30:31]
	v_and_b32_e32 v0, 0xffff0000, v36
	v_and_b32_e32 v1, 0xffff0000, v48
	v_max_f32_e32 v1, v1, v1
	v_max_f32_e32 v0, v0, v0
	v_min_f32_e32 v3, v0, v1
	v_max_f32_e32 v0, v0, v1
	v_cndmask_b32_e64 v0, v0, v3, s[28:29]
	v_and_b32_e32 v1, 0x7f800000, v0
	v_cmp_ne_u32_e32 vcc, s96, v1
                                        ; implicit-def: $vgpr36
	s_and_saveexec_b64 s[30:31], vcc
	s_xor_b64 vcc, exec, s[30:31]
; %bb.1106:                             ;   in Loop: Header=BB8_1033 Depth=3
	v_bfe_u32 v1, v0, 16, 1
	v_add3_u32 v36, v0, v1, s97
                                        ; implicit-def: $vgpr0
; %bb.1107:                             ;   in Loop: Header=BB8_1033 Depth=3
	s_andn2_saveexec_b64 s[30:31], vcc
; %bb.1108:                             ;   in Loop: Header=BB8_1033 Depth=3
	v_or_b32_e32 v1, 0x10000, v0
	v_cmp_eq_u32_sdwa vcc, v0, v2 src0_sel:WORD_0 src1_sel:DWORD
	v_cndmask_b32_e32 v36, v1, v0, vcc
; %bb.1109:                             ;   in Loop: Header=BB8_1033 Depth=3
	s_or_b64 exec, exec, s[30:31]
	v_lshlrev_b32_e32 v0, 16, v37
	v_lshlrev_b32_e32 v1, 16, v49
	v_max_f32_e32 v1, v1, v1
	v_max_f32_e32 v0, v0, v0
	v_min_f32_e32 v3, v0, v1
	v_max_f32_e32 v0, v0, v1
	v_cndmask_b32_e64 v0, v0, v3, s[28:29]
	v_and_b32_e32 v1, 0x7f800000, v0
	v_cmp_ne_u32_e32 vcc, s96, v1
                                        ; implicit-def: $vgpr48
	s_and_saveexec_b64 s[30:31], vcc
	s_xor_b64 vcc, exec, s[30:31]
; %bb.1110:                             ;   in Loop: Header=BB8_1033 Depth=3
	v_bfe_u32 v1, v0, 16, 1
	v_add3_u32 v48, v0, v1, s97
                                        ; implicit-def: $vgpr0
; %bb.1111:                             ;   in Loop: Header=BB8_1033 Depth=3
	s_andn2_saveexec_b64 s[30:31], vcc
; %bb.1112:                             ;   in Loop: Header=BB8_1033 Depth=3
	v_or_b32_e32 v1, 0x10000, v0
	v_cmp_eq_u32_sdwa vcc, v0, v2 src0_sel:WORD_0 src1_sel:DWORD
	v_cndmask_b32_e32 v48, v1, v0, vcc
; %bb.1113:                             ;   in Loop: Header=BB8_1033 Depth=3
	s_or_b64 exec, exec, s[30:31]
	v_and_b32_e32 v0, 0xffff0000, v37
	v_and_b32_e32 v1, 0xffff0000, v49
	v_max_f32_e32 v1, v1, v1
	v_max_f32_e32 v0, v0, v0
	v_min_f32_e32 v3, v0, v1
	v_max_f32_e32 v0, v0, v1
	v_cndmask_b32_e64 v0, v0, v3, s[28:29]
	v_and_b32_e32 v1, 0x7f800000, v0
	v_cmp_ne_u32_e32 vcc, s96, v1
                                        ; implicit-def: $vgpr37
	s_and_saveexec_b64 s[30:31], vcc
	s_xor_b64 vcc, exec, s[30:31]
; %bb.1114:                             ;   in Loop: Header=BB8_1033 Depth=3
	v_bfe_u32 v1, v0, 16, 1
	v_add3_u32 v37, v0, v1, s97
                                        ; implicit-def: $vgpr0
; %bb.1115:                             ;   in Loop: Header=BB8_1033 Depth=3
	s_andn2_saveexec_b64 s[30:31], vcc
; %bb.1116:                             ;   in Loop: Header=BB8_1033 Depth=3
	v_or_b32_e32 v1, 0x10000, v0
	v_cmp_eq_u32_sdwa vcc, v0, v2 src0_sel:WORD_0 src1_sel:DWORD
	v_cndmask_b32_e32 v37, v1, v0, vcc
; %bb.1117:                             ;   in Loop: Header=BB8_1033 Depth=3
	s_or_b64 exec, exec, s[30:31]
	v_lshlrev_b32_e32 v0, 16, v38
	v_lshlrev_b32_e32 v1, 16, v50
	v_max_f32_e32 v1, v1, v1
	v_max_f32_e32 v0, v0, v0
	v_min_f32_e32 v3, v0, v1
	v_max_f32_e32 v0, v0, v1
	v_cndmask_b32_e64 v0, v0, v3, s[28:29]
	v_and_b32_e32 v1, 0x7f800000, v0
	v_cmp_ne_u32_e32 vcc, s96, v1
                                        ; implicit-def: $vgpr49
	s_and_saveexec_b64 s[30:31], vcc
	s_xor_b64 vcc, exec, s[30:31]
; %bb.1118:                             ;   in Loop: Header=BB8_1033 Depth=3
	v_bfe_u32 v1, v0, 16, 1
	v_add3_u32 v49, v0, v1, s97
                                        ; implicit-def: $vgpr0
; %bb.1119:                             ;   in Loop: Header=BB8_1033 Depth=3
	s_andn2_saveexec_b64 s[30:31], vcc
; %bb.1120:                             ;   in Loop: Header=BB8_1033 Depth=3
	v_or_b32_e32 v1, 0x10000, v0
	v_cmp_eq_u32_sdwa vcc, v0, v2 src0_sel:WORD_0 src1_sel:DWORD
	v_cndmask_b32_e32 v49, v1, v0, vcc
; %bb.1121:                             ;   in Loop: Header=BB8_1033 Depth=3
	s_or_b64 exec, exec, s[30:31]
	v_and_b32_e32 v0, 0xffff0000, v38
	v_and_b32_e32 v1, 0xffff0000, v50
	v_max_f32_e32 v1, v1, v1
	v_max_f32_e32 v0, v0, v0
	v_min_f32_e32 v3, v0, v1
	v_max_f32_e32 v0, v0, v1
	v_cndmask_b32_e64 v0, v0, v3, s[28:29]
	v_and_b32_e32 v1, 0x7f800000, v0
	v_cmp_ne_u32_e32 vcc, s96, v1
                                        ; implicit-def: $vgpr38
	s_and_saveexec_b64 s[30:31], vcc
	s_xor_b64 vcc, exec, s[30:31]
; %bb.1122:                             ;   in Loop: Header=BB8_1033 Depth=3
	v_bfe_u32 v1, v0, 16, 1
	v_add3_u32 v38, v0, v1, s97
                                        ; implicit-def: $vgpr0
; %bb.1123:                             ;   in Loop: Header=BB8_1033 Depth=3
	s_andn2_saveexec_b64 s[30:31], vcc
; %bb.1124:                             ;   in Loop: Header=BB8_1033 Depth=3
	v_or_b32_e32 v1, 0x10000, v0
	v_cmp_eq_u32_sdwa vcc, v0, v2 src0_sel:WORD_0 src1_sel:DWORD
	v_cndmask_b32_e32 v38, v1, v0, vcc
; %bb.1125:                             ;   in Loop: Header=BB8_1033 Depth=3
	s_or_b64 exec, exec, s[30:31]
	v_lshlrev_b32_e32 v0, 16, v39
	v_lshlrev_b32_e32 v1, 16, v51
	v_max_f32_e32 v1, v1, v1
	v_max_f32_e32 v0, v0, v0
	v_min_f32_e32 v3, v0, v1
	v_max_f32_e32 v0, v0, v1
	v_cndmask_b32_e64 v0, v0, v3, s[28:29]
	v_and_b32_e32 v1, 0x7f800000, v0
	v_cmp_ne_u32_e32 vcc, s96, v1
                                        ; implicit-def: $vgpr5
	s_and_saveexec_b64 s[30:31], vcc
	s_xor_b64 vcc, exec, s[30:31]
; %bb.1126:                             ;   in Loop: Header=BB8_1033 Depth=3
	v_bfe_u32 v1, v0, 16, 1
	v_add3_u32 v5, v0, v1, s97
                                        ; implicit-def: $vgpr0
; %bb.1127:                             ;   in Loop: Header=BB8_1033 Depth=3
	s_andn2_saveexec_b64 s[30:31], vcc
; %bb.1128:                             ;   in Loop: Header=BB8_1033 Depth=3
	v_or_b32_e32 v1, 0x10000, v0
	v_cmp_eq_u32_sdwa vcc, v0, v2 src0_sel:WORD_0 src1_sel:DWORD
	v_cndmask_b32_e32 v5, v1, v0, vcc
; %bb.1129:                             ;   in Loop: Header=BB8_1033 Depth=3
	s_or_b64 exec, exec, s[30:31]
	v_and_b32_e32 v0, 0xffff0000, v39
	v_and_b32_e32 v1, 0xffff0000, v51
	v_max_f32_e32 v1, v1, v1
	v_max_f32_e32 v0, v0, v0
	v_min_f32_e32 v3, v0, v1
	v_max_f32_e32 v0, v0, v1
	v_cndmask_b32_e64 v0, v0, v3, s[28:29]
	v_and_b32_e32 v1, 0x7f800000, v0
	v_cmp_ne_u32_e32 vcc, s96, v1
                                        ; implicit-def: $vgpr39
	s_and_saveexec_b64 s[30:31], vcc
	s_xor_b64 vcc, exec, s[30:31]
; %bb.1130:                             ;   in Loop: Header=BB8_1033 Depth=3
	v_bfe_u32 v1, v0, 16, 1
	v_add3_u32 v39, v0, v1, s97
                                        ; implicit-def: $vgpr0
; %bb.1131:                             ;   in Loop: Header=BB8_1033 Depth=3
	s_andn2_saveexec_b64 s[30:31], vcc
; %bb.1132:                             ;   in Loop: Header=BB8_1033 Depth=3
	v_or_b32_e32 v1, 0x10000, v0
	v_cmp_eq_u32_sdwa vcc, v0, v2 src0_sel:WORD_0 src1_sel:DWORD
	v_cndmask_b32_e32 v39, v1, v0, vcc
; %bb.1133:                             ;   in Loop: Header=BB8_1033 Depth=3
	s_or_b64 exec, exec, s[30:31]
	v_lshlrev_b32_e32 v0, 16, v24
	v_lshlrev_b32_e32 v1, 16, v32
	v_max_f32_e32 v1, v1, v1
	v_max_f32_e32 v0, v0, v0
	v_min_f32_e32 v3, v0, v1
	v_max_f32_e32 v0, v0, v1
	v_cndmask_b32_e64 v1, v0, v3, s[28:29]
	v_and_b32_e32 v0, 0x7f800000, v1
	v_cmp_ne_u32_e32 vcc, s96, v0
                                        ; implicit-def: $vgpr0
	s_and_saveexec_b64 s[30:31], vcc
	s_xor_b64 vcc, exec, s[30:31]
; %bb.1134:                             ;   in Loop: Header=BB8_1033 Depth=3
	v_bfe_u32 v0, v1, 16, 1
	v_add3_u32 v0, v1, v0, s97
                                        ; implicit-def: $vgpr1
; %bb.1135:                             ;   in Loop: Header=BB8_1033 Depth=3
	s_andn2_saveexec_b64 s[30:31], vcc
; %bb.1136:                             ;   in Loop: Header=BB8_1033 Depth=3
	v_or_b32_e32 v0, 0x10000, v1
	v_cmp_eq_u32_sdwa vcc, v1, v2 src0_sel:WORD_0 src1_sel:DWORD
	v_cndmask_b32_e32 v0, v0, v1, vcc
; %bb.1137:                             ;   in Loop: Header=BB8_1033 Depth=3
	s_or_b64 exec, exec, s[30:31]
	v_and_b32_e32 v1, 0xffff0000, v24
	v_and_b32_e32 v3, 0xffff0000, v32
	v_max_f32_e32 v3, v3, v3
	v_max_f32_e32 v1, v1, v1
	v_min_f32_e32 v24, v1, v3
	v_max_f32_e32 v1, v1, v3
	v_cndmask_b32_e64 v3, v1, v24, s[28:29]
	v_and_b32_e32 v1, 0x7f800000, v3
	v_cmp_ne_u32_e32 vcc, s96, v1
                                        ; implicit-def: $vgpr1
	s_and_saveexec_b64 s[30:31], vcc
	s_xor_b64 vcc, exec, s[30:31]
; %bb.1138:                             ;   in Loop: Header=BB8_1033 Depth=3
	v_bfe_u32 v1, v3, 16, 1
	v_add3_u32 v1, v3, v1, s97
                                        ; implicit-def: $vgpr3
; %bb.1139:                             ;   in Loop: Header=BB8_1033 Depth=3
	s_andn2_saveexec_b64 s[30:31], vcc
; %bb.1140:                             ;   in Loop: Header=BB8_1033 Depth=3
	v_or_b32_e32 v1, 0x10000, v3
	v_cmp_eq_u32_sdwa vcc, v3, v2 src0_sel:WORD_0 src1_sel:DWORD
	v_cndmask_b32_e32 v1, v1, v3, vcc
; %bb.1141:                             ;   in Loop: Header=BB8_1033 Depth=3
	s_or_b64 exec, exec, s[30:31]
	v_lshlrev_b32_e32 v3, 16, v25
	v_lshlrev_b32_e32 v24, 16, v33
	v_max_f32_e32 v24, v24, v24
	v_max_f32_e32 v3, v3, v3
	v_min_f32_e32 v32, v3, v24
	v_max_f32_e32 v3, v3, v24
	v_cndmask_b32_e64 v3, v3, v32, s[28:29]
	v_and_b32_e32 v24, 0x7f800000, v3
	v_cmp_ne_u32_e32 vcc, s96, v24
                                        ; implicit-def: $vgpr24
	s_and_saveexec_b64 s[30:31], vcc
	s_xor_b64 vcc, exec, s[30:31]
; %bb.1142:                             ;   in Loop: Header=BB8_1033 Depth=3
	v_bfe_u32 v24, v3, 16, 1
	v_add3_u32 v24, v3, v24, s97
                                        ; implicit-def: $vgpr3
; %bb.1143:                             ;   in Loop: Header=BB8_1033 Depth=3
	s_andn2_saveexec_b64 s[30:31], vcc
; %bb.1144:                             ;   in Loop: Header=BB8_1033 Depth=3
	v_or_b32_e32 v24, 0x10000, v3
	v_cmp_eq_u32_sdwa vcc, v3, v2 src0_sel:WORD_0 src1_sel:DWORD
	v_cndmask_b32_e32 v24, v24, v3, vcc
; %bb.1145:                             ;   in Loop: Header=BB8_1033 Depth=3
	s_or_b64 exec, exec, s[30:31]
	v_and_b32_e32 v3, 0xffff0000, v25
	v_and_b32_e32 v25, 0xffff0000, v33
	v_max_f32_e32 v25, v25, v25
	v_max_f32_e32 v3, v3, v3
	v_min_f32_e32 v32, v3, v25
	v_max_f32_e32 v3, v3, v25
	v_cndmask_b32_e64 v3, v3, v32, s[28:29]
	v_and_b32_e32 v25, 0x7f800000, v3
	v_cmp_ne_u32_e32 vcc, s96, v25
                                        ; implicit-def: $vgpr25
	s_and_saveexec_b64 s[30:31], vcc
	s_xor_b64 vcc, exec, s[30:31]
; %bb.1146:                             ;   in Loop: Header=BB8_1033 Depth=3
	v_bfe_u32 v25, v3, 16, 1
	v_add3_u32 v25, v3, v25, s97
                                        ; implicit-def: $vgpr3
; %bb.1147:                             ;   in Loop: Header=BB8_1033 Depth=3
	s_andn2_saveexec_b64 s[30:31], vcc
; %bb.1148:                             ;   in Loop: Header=BB8_1033 Depth=3
	v_or_b32_e32 v25, 0x10000, v3
	v_cmp_eq_u32_sdwa vcc, v3, v2 src0_sel:WORD_0 src1_sel:DWORD
	v_cndmask_b32_e32 v25, v25, v3, vcc
; %bb.1149:                             ;   in Loop: Header=BB8_1033 Depth=3
	s_or_b64 exec, exec, s[30:31]
	v_lshlrev_b32_e32 v3, 16, v26
	v_lshlrev_b32_e32 v32, 16, v34
	v_max_f32_e32 v32, v32, v32
	v_max_f32_e32 v3, v3, v3
	v_min_f32_e32 v33, v3, v32
	v_max_f32_e32 v3, v3, v32
	v_cndmask_b32_e64 v32, v3, v33, s[28:29]
	v_and_b32_e32 v3, 0x7f800000, v32
	v_cmp_ne_u32_e32 vcc, s96, v3
                                        ; implicit-def: $vgpr3
	s_and_saveexec_b64 s[30:31], vcc
	s_xor_b64 vcc, exec, s[30:31]
; %bb.1150:                             ;   in Loop: Header=BB8_1033 Depth=3
	v_bfe_u32 v3, v32, 16, 1
	v_add3_u32 v3, v32, v3, s97
                                        ; implicit-def: $vgpr32
; %bb.1151:                             ;   in Loop: Header=BB8_1033 Depth=3
	s_andn2_saveexec_b64 s[30:31], vcc
; %bb.1152:                             ;   in Loop: Header=BB8_1033 Depth=3
	v_or_b32_e32 v3, 0x10000, v32
	v_cmp_eq_u32_sdwa vcc, v32, v2 src0_sel:WORD_0 src1_sel:DWORD
	v_cndmask_b32_e32 v3, v3, v32, vcc
; %bb.1153:                             ;   in Loop: Header=BB8_1033 Depth=3
	s_or_b64 exec, exec, s[30:31]
	v_and_b32_e32 v26, 0xffff0000, v26
	v_and_b32_e32 v32, 0xffff0000, v34
	v_max_f32_e32 v32, v32, v32
	v_max_f32_e32 v26, v26, v26
	v_min_f32_e32 v33, v26, v32
	v_max_f32_e32 v26, v26, v32
	v_cndmask_b32_e64 v32, v26, v33, s[28:29]
	v_and_b32_e32 v26, 0x7f800000, v32
	v_cmp_ne_u32_e32 vcc, s96, v26
                                        ; implicit-def: $vgpr26
	s_and_saveexec_b64 s[30:31], vcc
	s_xor_b64 vcc, exec, s[30:31]
; %bb.1154:                             ;   in Loop: Header=BB8_1033 Depth=3
	v_bfe_u32 v26, v32, 16, 1
	v_add3_u32 v26, v32, v26, s97
                                        ; implicit-def: $vgpr32
; %bb.1155:                             ;   in Loop: Header=BB8_1033 Depth=3
	s_andn2_saveexec_b64 s[30:31], vcc
; %bb.1156:                             ;   in Loop: Header=BB8_1033 Depth=3
	v_or_b32_e32 v26, 0x10000, v32
	v_cmp_eq_u32_sdwa vcc, v32, v2 src0_sel:WORD_0 src1_sel:DWORD
	v_cndmask_b32_e32 v26, v26, v32, vcc
; %bb.1157:                             ;   in Loop: Header=BB8_1033 Depth=3
	s_or_b64 exec, exec, s[30:31]
	v_lshlrev_b32_e32 v32, 16, v27
	v_lshlrev_b32_e32 v33, 16, v35
	v_max_f32_e32 v33, v33, v33
	v_max_f32_e32 v32, v32, v32
	v_min_f32_e32 v34, v32, v33
	v_max_f32_e32 v32, v32, v33
	v_cndmask_b32_e64 v33, v32, v34, s[28:29]
	v_and_b32_e32 v32, 0x7f800000, v33
	v_cmp_ne_u32_e32 vcc, s96, v32
                                        ; implicit-def: $vgpr32
	s_and_saveexec_b64 s[30:31], vcc
	s_xor_b64 vcc, exec, s[30:31]
; %bb.1158:                             ;   in Loop: Header=BB8_1033 Depth=3
	v_bfe_u32 v32, v33, 16, 1
	v_add3_u32 v32, v33, v32, s97
                                        ; implicit-def: $vgpr33
; %bb.1159:                             ;   in Loop: Header=BB8_1033 Depth=3
	s_andn2_saveexec_b64 s[30:31], vcc
; %bb.1160:                             ;   in Loop: Header=BB8_1033 Depth=3
	v_or_b32_e32 v32, 0x10000, v33
	v_cmp_eq_u32_sdwa vcc, v33, v2 src0_sel:WORD_0 src1_sel:DWORD
	v_cndmask_b32_e32 v32, v32, v33, vcc
; %bb.1161:                             ;   in Loop: Header=BB8_1033 Depth=3
	s_or_b64 exec, exec, s[30:31]
	v_and_b32_e32 v27, 0xffff0000, v27
	v_and_b32_e32 v33, 0xffff0000, v35
	v_max_f32_e32 v33, v33, v33
	v_max_f32_e32 v27, v27, v27
	v_min_f32_e32 v34, v27, v33
	v_max_f32_e32 v27, v27, v33
	v_cndmask_b32_e64 v33, v27, v34, s[28:29]
	v_and_b32_e32 v27, 0x7f800000, v33
	v_cmp_ne_u32_e32 vcc, s96, v27
                                        ; implicit-def: $vgpr27
	s_and_saveexec_b64 s[30:31], vcc
	s_xor_b64 vcc, exec, s[30:31]
; %bb.1162:                             ;   in Loop: Header=BB8_1033 Depth=3
	v_bfe_u32 v27, v33, 16, 1
	v_add3_u32 v27, v33, v27, s97
                                        ; implicit-def: $vgpr33
; %bb.1163:                             ;   in Loop: Header=BB8_1033 Depth=3
	s_andn2_saveexec_b64 s[30:31], vcc
; %bb.1164:                             ;   in Loop: Header=BB8_1033 Depth=3
	v_or_b32_e32 v27, 0x10000, v33
	v_cmp_eq_u32_sdwa vcc, v33, v2 src0_sel:WORD_0 src1_sel:DWORD
	v_cndmask_b32_e32 v27, v27, v33, vcc
; %bb.1165:                             ;   in Loop: Header=BB8_1033 Depth=3
	s_or_b64 exec, exec, s[30:31]
	v_lshrrev_b32_e32 v33, 16, v48
	v_and_or_b32 v34, v37, s56, v33
	v_lshrrev_b32_e32 v33, 16, v43
	v_lshrrev_b32_e32 v5, 16, v5
	;; [unrolled: 1-line block ×3, first 2 shown]
	v_and_or_b32 v33, v36, s56, v33
	v_lshrrev_b32_e32 v35, 16, v49
	v_and_or_b32 v36, v39, s56, v5
	v_lshrrev_b32_e32 v5, 16, v24
	;; [unrolled: 2-line block ×3, first 2 shown]
	v_and_or_b32 v35, v38, s56, v35
	v_and_or_b32 v26, v26, s56, v0
	v_lshrrev_b32_e32 v0, 16, v32
	v_and_or_b32 v25, v25, s56, v5
	v_and_or_b32 v27, v27, s56, v0
	global_store_dwordx4 v[28:29], v[33:36], off glc slc
	global_store_dwordx4 v[28:29], v[24:27], off offset:1024 glc slc
	v_add_co_u32_e32 v28, vcc, 0x800, v28
	v_addc_co_u32_e32 v29, vcc, 0, v29, vcc
	global_store_dwordx4 v[44:45], v[33:36], off glc slc
	global_store_dwordx4 v[44:45], v[24:27], off offset:1024 glc slc
	v_add_co_u32_e32 v44, vcc, 0x800, v44
	v_addc_co_u32_e32 v45, vcc, 0, v45, vcc
	s_and_saveexec_b64 s[30:31], s[94:95]
	s_cbranch_execz .LBB8_1032
; %bb.1166:                             ;   in Loop: Header=BB8_1033 Depth=3
	buffer_load_dword v0, off, s[0:3], s33 offset:160 ; 4-byte Folded Reload
	buffer_load_dword v1, off, s[0:3], s33 offset:164 ; 4-byte Folded Reload
	v_sub_u32_e32 v4, v4, v52
	s_waitcnt vmcnt(1)
	v_add_co_u32_e32 v28, vcc, v28, v0
	s_waitcnt vmcnt(0)
	v_addc_co_u32_e32 v29, vcc, v29, v1, vcc
	v_add_co_u32_e32 v44, vcc, v44, v0
	v_addc_co_u32_e32 v45, vcc, v45, v1, vcc
	v_add_co_u32_e32 v6, vcc, v6, v0
	;; [unrolled: 2-line block ×3, first 2 shown]
	v_addc_co_u32_e32 v60, vcc, v60, v1, vcc
	s_branch .LBB8_1032
.LBB8_1167:                             ;   in Loop: Header=BB8_955 Depth=2
	s_mov_b64 s[28:29], 0
	s_and_saveexec_b64 s[40:41], s[10:11]
	s_cbranch_execnz .LBB8_1959
	s_branch .LBB8_1977
.LBB8_1168:                             ;   in Loop: Header=BB8_955 Depth=2
	s_mov_b64 s[92:93], 0
                                        ; implicit-def: $sgpr46
	s_andn2_b64 vcc, exec, s[40:41]
	v_mov_b32_e32 v14, 0
	s_cbranch_vccz .LBB8_1030
.LBB8_1169:                             ;   in Loop: Header=BB8_955 Depth=2
	buffer_load_dword v15, off, s[0:3], s33 offset:292 ; 4-byte Folded Reload
	buffer_load_dword v0, off, s[0:3], s33 offset:268 ; 4-byte Folded Reload
	;; [unrolled: 1-line block ×3, first 2 shown]
	s_and_saveexec_b64 s[44:45], s[92:93]
	s_cbranch_execnz .LBB8_1358
	s_branch .LBB8_1498
.LBB8_1170:                             ;   in Loop: Header=BB8_955 Depth=2
	s_or_b64 exec, exec, s[42:43]
	buffer_load_dword v26, off, s[0:3], s33 offset:352 ; 4-byte Folded Reload
	buffer_load_dword v27, off, s[0:3], s33 offset:356 ; 4-byte Folded Reload
	s_and_b64 s[28:29], s[44:45], exec
.LBB8_1171:                             ;   in Loop: Header=BB8_955 Depth=2
	s_or_b64 exec, exec, s[40:41]
	s_and_saveexec_b64 s[40:41], s[28:29]
	s_cbranch_execz .LBB8_1237
; %bb.1172:                             ;   in Loop: Header=BB8_955 Depth=2
	s_and_b32 s28, 0xffff, s46
	s_waitcnt vmcnt(9)
	v_lshlrev_b32_e32 v0, 16, v20
	s_waitcnt vmcnt(7)
	v_lshlrev_b32_e32 v1, 16, v16
	s_cmp_eq_u32 s28, 0
	v_max_f32_e32 v1, v1, v1
	v_max_f32_e32 v0, v0, v0
	v_min_f32_e32 v3, v0, v1
	v_max_f32_e32 v0, v0, v1
	s_cselect_b64 vcc, -1, 0
	v_cndmask_b32_e32 v0, v0, v3, vcc
	v_and_b32_e32 v1, 0x7f800000, v0
	v_cmp_ne_u32_e64 s[28:29], s96, v1
                                        ; implicit-def: $vgpr6
	s_and_saveexec_b64 s[42:43], s[28:29]
	s_xor_b64 s[28:29], exec, s[42:43]
; %bb.1173:                             ;   in Loop: Header=BB8_955 Depth=2
	v_bfe_u32 v1, v0, 16, 1
	v_add3_u32 v6, v0, v1, s97
                                        ; implicit-def: $vgpr0
; %bb.1174:                             ;   in Loop: Header=BB8_955 Depth=2
	s_andn2_saveexec_b64 s[42:43], s[28:29]
; %bb.1175:                             ;   in Loop: Header=BB8_955 Depth=2
	v_or_b32_e32 v1, 0x10000, v0
	v_cmp_eq_u32_sdwa s[28:29], v0, v2 src0_sel:WORD_0 src1_sel:DWORD
	v_cndmask_b32_e64 v6, v1, v0, s[28:29]
; %bb.1176:                             ;   in Loop: Header=BB8_955 Depth=2
	s_or_b64 exec, exec, s[42:43]
	v_and_b32_e32 v0, 0xffff0000, v20
	v_and_b32_e32 v1, 0xffff0000, v16
	v_max_f32_e32 v1, v1, v1
	v_max_f32_e32 v0, v0, v0
	v_min_f32_e32 v3, v0, v1
	v_max_f32_e32 v0, v0, v1
	v_cndmask_b32_e32 v0, v0, v3, vcc
	v_and_b32_e32 v1, 0x7f800000, v0
	v_cmp_ne_u32_e64 s[28:29], s96, v1
                                        ; implicit-def: $vgpr7
	s_and_saveexec_b64 s[42:43], s[28:29]
	s_xor_b64 s[28:29], exec, s[42:43]
; %bb.1177:                             ;   in Loop: Header=BB8_955 Depth=2
	v_bfe_u32 v1, v0, 16, 1
	v_add3_u32 v7, v0, v1, s97
                                        ; implicit-def: $vgpr0
; %bb.1178:                             ;   in Loop: Header=BB8_955 Depth=2
	s_andn2_saveexec_b64 s[42:43], s[28:29]
; %bb.1179:                             ;   in Loop: Header=BB8_955 Depth=2
	v_or_b32_e32 v1, 0x10000, v0
	v_cmp_eq_u32_sdwa s[28:29], v0, v2 src0_sel:WORD_0 src1_sel:DWORD
	v_cndmask_b32_e64 v7, v1, v0, s[28:29]
; %bb.1180:                             ;   in Loop: Header=BB8_955 Depth=2
	s_or_b64 exec, exec, s[42:43]
	v_lshlrev_b32_e32 v0, 16, v21
	v_lshlrev_b32_e32 v1, 16, v17
	v_max_f32_e32 v1, v1, v1
	v_max_f32_e32 v0, v0, v0
	v_min_f32_e32 v3, v0, v1
	v_max_f32_e32 v0, v0, v1
	v_cndmask_b32_e32 v0, v0, v3, vcc
	v_and_b32_e32 v1, 0x7f800000, v0
	v_cmp_ne_u32_e64 s[28:29], s96, v1
                                        ; implicit-def: $vgpr16
	s_and_saveexec_b64 s[42:43], s[28:29]
	s_xor_b64 s[28:29], exec, s[42:43]
; %bb.1181:                             ;   in Loop: Header=BB8_955 Depth=2
	v_bfe_u32 v1, v0, 16, 1
	v_add3_u32 v16, v0, v1, s97
                                        ; implicit-def: $vgpr0
; %bb.1182:                             ;   in Loop: Header=BB8_955 Depth=2
	s_andn2_saveexec_b64 s[42:43], s[28:29]
; %bb.1183:                             ;   in Loop: Header=BB8_955 Depth=2
	v_or_b32_e32 v1, 0x10000, v0
	v_cmp_eq_u32_sdwa s[28:29], v0, v2 src0_sel:WORD_0 src1_sel:DWORD
	v_cndmask_b32_e64 v16, v1, v0, s[28:29]
; %bb.1184:                             ;   in Loop: Header=BB8_955 Depth=2
	s_or_b64 exec, exec, s[42:43]
	v_and_b32_e32 v0, 0xffff0000, v21
	v_and_b32_e32 v1, 0xffff0000, v17
	v_max_f32_e32 v1, v1, v1
	v_max_f32_e32 v0, v0, v0
	v_min_f32_e32 v3, v0, v1
	v_max_f32_e32 v0, v0, v1
	v_cndmask_b32_e32 v0, v0, v3, vcc
	v_and_b32_e32 v1, 0x7f800000, v0
	v_cmp_ne_u32_e64 s[28:29], s96, v1
                                        ; implicit-def: $vgpr17
	s_and_saveexec_b64 s[42:43], s[28:29]
	s_xor_b64 s[28:29], exec, s[42:43]
; %bb.1185:                             ;   in Loop: Header=BB8_955 Depth=2
	v_bfe_u32 v1, v0, 16, 1
	v_add3_u32 v17, v0, v1, s97
                                        ; implicit-def: $vgpr0
; %bb.1186:                             ;   in Loop: Header=BB8_955 Depth=2
	s_andn2_saveexec_b64 s[42:43], s[28:29]
; %bb.1187:                             ;   in Loop: Header=BB8_955 Depth=2
	v_or_b32_e32 v1, 0x10000, v0
	v_cmp_eq_u32_sdwa s[28:29], v0, v2 src0_sel:WORD_0 src1_sel:DWORD
	v_cndmask_b32_e64 v17, v1, v0, s[28:29]
; %bb.1188:                             ;   in Loop: Header=BB8_955 Depth=2
	s_or_b64 exec, exec, s[42:43]
	v_lshlrev_b32_e32 v0, 16, v22
	v_lshlrev_b32_e32 v1, 16, v18
	v_max_f32_e32 v1, v1, v1
	v_max_f32_e32 v0, v0, v0
	v_min_f32_e32 v3, v0, v1
	v_max_f32_e32 v0, v0, v1
	v_cndmask_b32_e32 v0, v0, v3, vcc
	v_and_b32_e32 v1, 0x7f800000, v0
	v_cmp_ne_u32_e64 s[28:29], s96, v1
                                        ; implicit-def: $vgpr20
	s_and_saveexec_b64 s[42:43], s[28:29]
	s_xor_b64 s[28:29], exec, s[42:43]
; %bb.1189:                             ;   in Loop: Header=BB8_955 Depth=2
	v_bfe_u32 v1, v0, 16, 1
	v_add3_u32 v20, v0, v1, s97
                                        ; implicit-def: $vgpr0
; %bb.1190:                             ;   in Loop: Header=BB8_955 Depth=2
	s_andn2_saveexec_b64 s[42:43], s[28:29]
; %bb.1191:                             ;   in Loop: Header=BB8_955 Depth=2
	v_or_b32_e32 v1, 0x10000, v0
	v_cmp_eq_u32_sdwa s[28:29], v0, v2 src0_sel:WORD_0 src1_sel:DWORD
	v_cndmask_b32_e64 v20, v1, v0, s[28:29]
; %bb.1192:                             ;   in Loop: Header=BB8_955 Depth=2
	s_or_b64 exec, exec, s[42:43]
	v_and_b32_e32 v0, 0xffff0000, v22
	v_and_b32_e32 v1, 0xffff0000, v18
	v_max_f32_e32 v1, v1, v1
	v_max_f32_e32 v0, v0, v0
	v_min_f32_e32 v3, v0, v1
	v_max_f32_e32 v0, v0, v1
	v_cndmask_b32_e32 v0, v0, v3, vcc
	v_and_b32_e32 v1, 0x7f800000, v0
	v_cmp_ne_u32_e64 s[28:29], s96, v1
                                        ; implicit-def: $vgpr18
	s_and_saveexec_b64 s[42:43], s[28:29]
	s_xor_b64 s[28:29], exec, s[42:43]
; %bb.1193:                             ;   in Loop: Header=BB8_955 Depth=2
	v_bfe_u32 v1, v0, 16, 1
	v_add3_u32 v18, v0, v1, s97
                                        ; implicit-def: $vgpr0
; %bb.1194:                             ;   in Loop: Header=BB8_955 Depth=2
	s_andn2_saveexec_b64 s[42:43], s[28:29]
; %bb.1195:                             ;   in Loop: Header=BB8_955 Depth=2
	v_or_b32_e32 v1, 0x10000, v0
	v_cmp_eq_u32_sdwa s[28:29], v0, v2 src0_sel:WORD_0 src1_sel:DWORD
	v_cndmask_b32_e64 v18, v1, v0, s[28:29]
; %bb.1196:                             ;   in Loop: Header=BB8_955 Depth=2
	s_or_b64 exec, exec, s[42:43]
	v_lshlrev_b32_e32 v0, 16, v23
	v_lshlrev_b32_e32 v1, 16, v19
	v_max_f32_e32 v1, v1, v1
	v_max_f32_e32 v0, v0, v0
	v_min_f32_e32 v3, v0, v1
	v_max_f32_e32 v0, v0, v1
	v_cndmask_b32_e32 v0, v0, v3, vcc
	v_and_b32_e32 v1, 0x7f800000, v0
	v_cmp_ne_u32_e64 s[28:29], s96, v1
                                        ; implicit-def: $vgpr5
	s_and_saveexec_b64 s[42:43], s[28:29]
	s_xor_b64 s[28:29], exec, s[42:43]
; %bb.1197:                             ;   in Loop: Header=BB8_955 Depth=2
	v_bfe_u32 v1, v0, 16, 1
	v_add3_u32 v5, v0, v1, s97
                                        ; implicit-def: $vgpr0
; %bb.1198:                             ;   in Loop: Header=BB8_955 Depth=2
	s_andn2_saveexec_b64 s[42:43], s[28:29]
; %bb.1199:                             ;   in Loop: Header=BB8_955 Depth=2
	v_or_b32_e32 v1, 0x10000, v0
	v_cmp_eq_u32_sdwa s[28:29], v0, v2 src0_sel:WORD_0 src1_sel:DWORD
	v_cndmask_b32_e64 v5, v1, v0, s[28:29]
; %bb.1200:                             ;   in Loop: Header=BB8_955 Depth=2
	s_or_b64 exec, exec, s[42:43]
	v_and_b32_e32 v0, 0xffff0000, v23
	v_and_b32_e32 v1, 0xffff0000, v19
	v_max_f32_e32 v1, v1, v1
	v_max_f32_e32 v0, v0, v0
	v_min_f32_e32 v3, v0, v1
	v_max_f32_e32 v0, v0, v1
	v_cndmask_b32_e32 v0, v0, v3, vcc
	v_and_b32_e32 v1, 0x7f800000, v0
	v_cmp_ne_u32_e64 s[28:29], s96, v1
                                        ; implicit-def: $vgpr19
	s_and_saveexec_b64 s[42:43], s[28:29]
	s_xor_b64 s[28:29], exec, s[42:43]
; %bb.1201:                             ;   in Loop: Header=BB8_955 Depth=2
	v_bfe_u32 v1, v0, 16, 1
	v_add3_u32 v19, v0, v1, s97
                                        ; implicit-def: $vgpr0
; %bb.1202:                             ;   in Loop: Header=BB8_955 Depth=2
	s_andn2_saveexec_b64 s[42:43], s[28:29]
; %bb.1203:                             ;   in Loop: Header=BB8_955 Depth=2
	v_or_b32_e32 v1, 0x10000, v0
	v_cmp_eq_u32_sdwa s[28:29], v0, v2 src0_sel:WORD_0 src1_sel:DWORD
	v_cndmask_b32_e64 v19, v1, v0, s[28:29]
; %bb.1204:                             ;   in Loop: Header=BB8_955 Depth=2
	s_or_b64 exec, exec, s[42:43]
	v_lshlrev_b32_e32 v0, 16, v12
	s_waitcnt vmcnt(6)
	v_lshlrev_b32_e32 v1, 16, v8
	v_max_f32_e32 v1, v1, v1
	v_max_f32_e32 v0, v0, v0
	v_min_f32_e32 v3, v0, v1
	v_max_f32_e32 v0, v0, v1
	v_cndmask_b32_e32 v1, v0, v3, vcc
	v_and_b32_e32 v0, 0x7f800000, v1
	v_cmp_ne_u32_e64 s[28:29], s96, v0
                                        ; implicit-def: $vgpr0
	s_and_saveexec_b64 s[42:43], s[28:29]
	s_xor_b64 s[28:29], exec, s[42:43]
; %bb.1205:                             ;   in Loop: Header=BB8_955 Depth=2
	v_bfe_u32 v0, v1, 16, 1
	v_add3_u32 v0, v1, v0, s97
                                        ; implicit-def: $vgpr1
; %bb.1206:                             ;   in Loop: Header=BB8_955 Depth=2
	s_andn2_saveexec_b64 s[42:43], s[28:29]
; %bb.1207:                             ;   in Loop: Header=BB8_955 Depth=2
	v_or_b32_e32 v0, 0x10000, v1
	v_cmp_eq_u32_sdwa s[28:29], v1, v2 src0_sel:WORD_0 src1_sel:DWORD
	v_cndmask_b32_e64 v0, v0, v1, s[28:29]
; %bb.1208:                             ;   in Loop: Header=BB8_955 Depth=2
	s_or_b64 exec, exec, s[42:43]
	v_and_b32_e32 v1, 0xffff0000, v12
	v_and_b32_e32 v3, 0xffff0000, v8
	v_max_f32_e32 v3, v3, v3
	v_max_f32_e32 v1, v1, v1
	v_min_f32_e32 v8, v1, v3
	v_max_f32_e32 v1, v1, v3
	v_cndmask_b32_e32 v3, v1, v8, vcc
	v_and_b32_e32 v1, 0x7f800000, v3
	v_cmp_ne_u32_e64 s[28:29], s96, v1
                                        ; implicit-def: $vgpr1
	s_and_saveexec_b64 s[42:43], s[28:29]
	s_xor_b64 s[28:29], exec, s[42:43]
; %bb.1209:                             ;   in Loop: Header=BB8_955 Depth=2
	v_bfe_u32 v1, v3, 16, 1
	v_add3_u32 v1, v3, v1, s97
                                        ; implicit-def: $vgpr3
; %bb.1210:                             ;   in Loop: Header=BB8_955 Depth=2
	s_andn2_saveexec_b64 s[42:43], s[28:29]
; %bb.1211:                             ;   in Loop: Header=BB8_955 Depth=2
	v_or_b32_e32 v1, 0x10000, v3
	v_cmp_eq_u32_sdwa s[28:29], v3, v2 src0_sel:WORD_0 src1_sel:DWORD
	v_cndmask_b32_e64 v1, v1, v3, s[28:29]
; %bb.1212:                             ;   in Loop: Header=BB8_955 Depth=2
	s_or_b64 exec, exec, s[42:43]
	v_lshlrev_b32_e32 v3, 16, v13
	v_lshlrev_b32_e32 v8, 16, v9
	v_max_f32_e32 v8, v8, v8
	v_max_f32_e32 v3, v3, v3
	v_min_f32_e32 v12, v3, v8
	v_max_f32_e32 v3, v3, v8
	v_cndmask_b32_e32 v3, v3, v12, vcc
	v_and_b32_e32 v8, 0x7f800000, v3
	v_cmp_ne_u32_e64 s[28:29], s96, v8
                                        ; implicit-def: $vgpr8
	s_and_saveexec_b64 s[42:43], s[28:29]
	s_xor_b64 s[28:29], exec, s[42:43]
; %bb.1213:                             ;   in Loop: Header=BB8_955 Depth=2
	v_bfe_u32 v8, v3, 16, 1
	v_add3_u32 v8, v3, v8, s97
                                        ; implicit-def: $vgpr3
; %bb.1214:                             ;   in Loop: Header=BB8_955 Depth=2
	s_andn2_saveexec_b64 s[42:43], s[28:29]
; %bb.1215:                             ;   in Loop: Header=BB8_955 Depth=2
	v_or_b32_e32 v8, 0x10000, v3
	v_cmp_eq_u32_sdwa s[28:29], v3, v2 src0_sel:WORD_0 src1_sel:DWORD
	v_cndmask_b32_e64 v8, v8, v3, s[28:29]
; %bb.1216:                             ;   in Loop: Header=BB8_955 Depth=2
	s_or_b64 exec, exec, s[42:43]
	v_and_b32_e32 v3, 0xffff0000, v13
	v_and_b32_e32 v9, 0xffff0000, v9
	v_max_f32_e32 v9, v9, v9
	v_max_f32_e32 v3, v3, v3
	v_min_f32_e32 v12, v3, v9
	v_max_f32_e32 v3, v3, v9
	v_cndmask_b32_e32 v3, v3, v12, vcc
	v_and_b32_e32 v9, 0x7f800000, v3
	v_cmp_ne_u32_e64 s[28:29], s96, v9
                                        ; implicit-def: $vgpr9
	s_and_saveexec_b64 s[42:43], s[28:29]
	s_xor_b64 s[28:29], exec, s[42:43]
; %bb.1217:                             ;   in Loop: Header=BB8_955 Depth=2
	v_bfe_u32 v9, v3, 16, 1
	v_add3_u32 v9, v3, v9, s97
                                        ; implicit-def: $vgpr3
; %bb.1218:                             ;   in Loop: Header=BB8_955 Depth=2
	s_andn2_saveexec_b64 s[42:43], s[28:29]
; %bb.1219:                             ;   in Loop: Header=BB8_955 Depth=2
	v_or_b32_e32 v9, 0x10000, v3
	v_cmp_eq_u32_sdwa s[28:29], v3, v2 src0_sel:WORD_0 src1_sel:DWORD
	v_cndmask_b32_e64 v9, v9, v3, s[28:29]
; %bb.1220:                             ;   in Loop: Header=BB8_955 Depth=2
	s_or_b64 exec, exec, s[42:43]
	v_lshlrev_b32_e32 v3, 16, v14
	v_lshlrev_b32_e32 v12, 16, v10
	v_max_f32_e32 v12, v12, v12
	v_max_f32_e32 v3, v3, v3
	v_min_f32_e32 v13, v3, v12
	v_max_f32_e32 v3, v3, v12
	v_cndmask_b32_e32 v12, v3, v13, vcc
	v_and_b32_e32 v3, 0x7f800000, v12
	v_cmp_ne_u32_e64 s[28:29], s96, v3
                                        ; implicit-def: $vgpr3
	s_and_saveexec_b64 s[42:43], s[28:29]
	s_xor_b64 s[28:29], exec, s[42:43]
; %bb.1221:                             ;   in Loop: Header=BB8_955 Depth=2
	v_bfe_u32 v3, v12, 16, 1
	v_add3_u32 v3, v12, v3, s97
                                        ; implicit-def: $vgpr12
; %bb.1222:                             ;   in Loop: Header=BB8_955 Depth=2
	s_andn2_saveexec_b64 s[42:43], s[28:29]
; %bb.1223:                             ;   in Loop: Header=BB8_955 Depth=2
	v_or_b32_e32 v3, 0x10000, v12
	v_cmp_eq_u32_sdwa s[28:29], v12, v2 src0_sel:WORD_0 src1_sel:DWORD
	v_cndmask_b32_e64 v3, v3, v12, s[28:29]
; %bb.1224:                             ;   in Loop: Header=BB8_955 Depth=2
	s_or_b64 exec, exec, s[42:43]
	v_and_b32_e32 v12, 0xffff0000, v14
	v_and_b32_e32 v10, 0xffff0000, v10
	v_max_f32_e32 v10, v10, v10
	v_max_f32_e32 v12, v12, v12
	v_min_f32_e32 v13, v12, v10
	v_max_f32_e32 v10, v12, v10
	v_cndmask_b32_e32 v12, v10, v13, vcc
	v_and_b32_e32 v10, 0x7f800000, v12
	v_cmp_ne_u32_e64 s[28:29], s96, v10
                                        ; implicit-def: $vgpr10
	s_and_saveexec_b64 s[42:43], s[28:29]
	s_xor_b64 s[28:29], exec, s[42:43]
; %bb.1225:                             ;   in Loop: Header=BB8_955 Depth=2
	v_bfe_u32 v10, v12, 16, 1
	v_add3_u32 v10, v12, v10, s97
                                        ; implicit-def: $vgpr12
; %bb.1226:                             ;   in Loop: Header=BB8_955 Depth=2
	s_andn2_saveexec_b64 s[42:43], s[28:29]
; %bb.1227:                             ;   in Loop: Header=BB8_955 Depth=2
	v_or_b32_e32 v10, 0x10000, v12
	v_cmp_eq_u32_sdwa s[28:29], v12, v2 src0_sel:WORD_0 src1_sel:DWORD
	v_cndmask_b32_e64 v10, v10, v12, s[28:29]
; %bb.1228:                             ;   in Loop: Header=BB8_955 Depth=2
	s_or_b64 exec, exec, s[42:43]
	v_lshlrev_b32_e32 v12, 16, v15
	v_lshlrev_b32_e32 v13, 16, v11
	v_max_f32_e32 v13, v13, v13
	v_max_f32_e32 v12, v12, v12
	v_min_f32_e32 v14, v12, v13
	v_max_f32_e32 v12, v12, v13
	v_cndmask_b32_e32 v13, v12, v14, vcc
	v_and_b32_e32 v12, 0x7f800000, v13
	v_cmp_ne_u32_e64 s[28:29], s96, v12
                                        ; implicit-def: $vgpr12
	s_and_saveexec_b64 s[42:43], s[28:29]
	s_xor_b64 s[28:29], exec, s[42:43]
; %bb.1229:                             ;   in Loop: Header=BB8_955 Depth=2
	v_bfe_u32 v12, v13, 16, 1
	v_add3_u32 v12, v13, v12, s97
                                        ; implicit-def: $vgpr13
; %bb.1230:                             ;   in Loop: Header=BB8_955 Depth=2
	s_andn2_saveexec_b64 s[42:43], s[28:29]
; %bb.1231:                             ;   in Loop: Header=BB8_955 Depth=2
	v_or_b32_e32 v12, 0x10000, v13
	v_cmp_eq_u32_sdwa s[28:29], v13, v2 src0_sel:WORD_0 src1_sel:DWORD
	v_cndmask_b32_e64 v12, v12, v13, s[28:29]
; %bb.1232:                             ;   in Loop: Header=BB8_955 Depth=2
	s_or_b64 exec, exec, s[42:43]
	v_and_b32_e32 v13, 0xffff0000, v15
	v_and_b32_e32 v11, 0xffff0000, v11
	v_max_f32_e32 v11, v11, v11
	v_max_f32_e32 v13, v13, v13
	v_min_f32_e32 v14, v13, v11
	v_max_f32_e32 v11, v13, v11
	v_cndmask_b32_e32 v13, v11, v14, vcc
	v_and_b32_e32 v11, 0x7f800000, v13
	v_cmp_ne_u32_e32 vcc, s96, v11
                                        ; implicit-def: $vgpr11
	s_and_saveexec_b64 s[28:29], vcc
	s_xor_b64 s[28:29], exec, s[28:29]
; %bb.1233:                             ;   in Loop: Header=BB8_955 Depth=2
	v_bfe_u32 v11, v13, 16, 1
	v_add3_u32 v11, v13, v11, s97
                                        ; implicit-def: $vgpr13
; %bb.1234:                             ;   in Loop: Header=BB8_955 Depth=2
	s_andn2_saveexec_b64 s[28:29], s[28:29]
; %bb.1235:                             ;   in Loop: Header=BB8_955 Depth=2
	v_or_b32_e32 v11, 0x10000, v13
	v_cmp_eq_u32_sdwa vcc, v13, v2 src0_sel:WORD_0 src1_sel:DWORD
	v_cndmask_b32_e32 v11, v11, v13, vcc
; %bb.1236:                             ;   in Loop: Header=BB8_955 Depth=2
	s_or_b64 exec, exec, s[28:29]
	v_lshrrev_b32_e32 v13, 16, v16
	v_lshrrev_b32_e32 v6, 16, v6
	;; [unrolled: 1-line block ×3, first 2 shown]
	v_and_or_b32 v14, v17, s56, v13
	v_and_or_b32 v13, v7, s56, v6
	v_lshrrev_b32_e32 v6, 16, v20
	v_and_or_b32 v16, v19, s56, v5
	v_lshrrev_b32_e32 v5, 16, v8
	v_lshrrev_b32_e32 v0, 16, v0
	v_and_or_b32 v15, v18, s56, v6
	v_and_or_b32 v6, v9, s56, v5
	;; [unrolled: 1-line block ×3, first 2 shown]
	v_lshrrev_b32_e32 v0, 16, v3
	v_and_or_b32 v7, v10, s56, v0
	v_lshrrev_b32_e32 v0, 16, v12
	v_and_or_b32 v8, v11, s56, v0
	global_store_dwordx4 v[28:29], v[13:16], off glc slc
	global_store_dwordx4 v[28:29], v[5:8], off offset:1024 glc slc
	global_store_dwordx4 v[44:45], v[13:16], off glc slc
	global_store_dwordx4 v[44:45], v[5:8], off offset:1024 glc slc
.LBB8_1237:                             ;   in Loop: Header=BB8_955 Depth=2
	s_or_b64 exec, exec, s[40:41]
	buffer_load_dword v0, off, s[0:3], s33 offset:292 ; 4-byte Folded Reload
	v_lshlrev_b32_e32 v5, 11, v30
                                        ; implicit-def: $vgpr15
                                        ; implicit-def: $vgpr14
                                        ; implicit-def: $vgpr16
	s_waitcnt vmcnt(0)
	v_cmp_ne_u32_e32 vcc, v0, v5
                                        ; implicit-def: $vgpr0
	s_and_saveexec_b64 s[94:95], vcc
	s_cbranch_execz .LBB8_1357
; %bb.1238:                             ;   in Loop: Header=BB8_955 Depth=2
	buffer_load_dword v0, off, s[0:3], s33 offset:292 ; 4-byte Folded Reload
	buffer_load_dword v3, off, s[0:3], s33 offset:252 ; 4-byte Folded Reload
	s_mov_b64 s[40:41], 0
	s_waitcnt vmcnt(1)
	v_sub_u32_e32 v1, v0, v5
	v_lshlrev_b32_e32 v0, 6, v4
	s_waitcnt vmcnt(0)
	v_sub_u32_e32 v0, v3, v0
	v_ashrrev_i32_e32 v3, 31, v0
	v_lshrrev_b32_e32 v3, 26, v3
	v_add_u32_e32 v3, v0, v3
	v_ashrrev_i32_e32 v8, 6, v3
	v_and_b32_e32 v3, 0xffffffc0, v3
	v_sub_u32_e32 v4, v0, v3
	v_lshlrev_b32_e32 v0, 4, v4
	v_lshl_add_u32 v3, v8, 10, v0
	v_add_u32_e32 v0, v3, v5
	v_sub_u32_e32 v17, v1, v3
	v_ashrrev_i32_e32 v3, 31, v1
	v_lshrrev_b32_e32 v3, 22, v3
	v_add_u32_e32 v3, v1, v3
	v_and_b32_e32 v6, 0xfffffc00, v3
	v_sub_u32_e32 v7, v1, v6
	v_ashrrev_i32_e32 v9, 10, v3
	v_cmp_lt_i32_e64 s[28:29], 15, v7
	v_addc_co_u32_e64 v3, vcc, 0, v9, s[28:29]
	v_sub_u32_e32 v12, v3, v8
	buffer_load_dword v8, off, s[0:3], s33 offset:304 ; 4-byte Folded Reload
	buffer_load_dword v9, off, s[0:3], s33 offset:308 ; 4-byte Folded Reload
	v_ashrrev_i32_e32 v1, 31, v0
	s_waitcnt vmcnt(1)
	v_add_co_u32_e32 v13, vcc, v0, v8
	s_waitcnt vmcnt(0)
	v_addc_co_u32_e32 v14, vcc, v1, v9, vcc
	v_add_co_u32_e32 v15, vcc, v0, v26
	v_addc_co_u32_e32 v16, vcc, v1, v27, vcc
	v_cmp_lt_i32_e32 vcc, 15, v17
	s_and_saveexec_b64 s[30:31], vcc
	s_cbranch_execz .LBB8_1319
; %bb.1239:                             ;   in Loop: Header=BB8_955 Depth=2
	s_trap 2
	ds_read_b64 v[8:9], v0
	buffer_load_dword v10, off, s[0:3], s33 offset:296 ; 4-byte Folded Reload
	buffer_load_dword v11, off, s[0:3], s33 offset:300 ; 4-byte Folded Reload
	s_and_b32 s40, 0xffff, s46
	s_cmp_eq_u32 s40, 0
	s_mov_b64 s[38:39], 0
	s_mov_b64 s[34:35], 0
	s_cselect_b64 s[40:41], -1, 0
                                        ; implicit-def: $sgpr36_sgpr37
	s_waitcnt vmcnt(1)
	v_add_co_u32_e32 v18, vcc, v0, v10
	s_waitcnt vmcnt(0)
	v_addc_co_u32_e32 v19, vcc, v1, v11, vcc
	s_waitcnt lgkmcnt(0)
	v_add_co_u32_e32 v20, vcc, v8, v0
	v_addc_co_u32_e32 v21, vcc, v9, v1, vcc
	s_branch .LBB8_1241
.LBB8_1240:                             ;   in Loop: Header=BB8_1241 Depth=3
	s_or_b64 exec, exec, s[42:43]
	v_cmp_gt_i32_e32 vcc, 16, v17
	s_or_b64 s[34:35], vcc, s[34:35]
	s_andn2_b64 s[42:43], s[36:37], exec
	s_and_b64 s[44:45], s[38:39], exec
	s_or_b64 s[36:37], s[42:43], s[44:45]
	s_andn2_b64 exec, exec, s[34:35]
	s_cbranch_execz .LBB8_1318
.LBB8_1241:                             ;   Parent Loop BB8_47 Depth=1
                                        ;     Parent Loop BB8_955 Depth=2
                                        ; =>    This Loop Header: Depth=3
                                        ;         Child Loop BB8_1242 Depth 4
                                        ;         Child Loop BB8_1277 Depth 4
	;; [unrolled: 1-line block ×4, first 2 shown]
	s_lshr_b32 s47, s33, 6
	s_add_i32 s47, s47, 64
	s_mov_b64 s[44:45], -1
	s_mov_b64 s[48:49], 0
.LBB8_1242:                             ;   Parent Loop BB8_47 Depth=1
                                        ;     Parent Loop BB8_955 Depth=2
                                        ;       Parent Loop BB8_1241 Depth=3
                                        ; =>      This Inner Loop Header: Depth=4
	s_cmp_eq_u32 s48, 1
	s_cselect_b64 s[42:43], -1, 0
	v_cndmask_b32_e64 v1, v19, v21, s[42:43]
	v_cndmask_b32_e64 v0, v18, v20, s[42:43]
	global_load_dwordx4 v[8:11], v[0:1], off glc slc
	v_add_co_u32_e32 v0, vcc, s55, v0
	v_addc_co_u32_e32 v1, vcc, 0, v1, vcc
	s_cmp_eq_u32 s48, 0
	s_cselect_b64 vcc, -1, 0
	v_mov_b32_e32 v3, s47
	v_cndmask_b32_e32 v19, v19, v1, vcc
	v_cndmask_b32_e32 v18, v18, v0, vcc
	v_cndmask_b32_e64 v21, v21, v1, s[42:43]
	v_cndmask_b32_e64 v20, v20, v0, s[42:43]
	s_mov_b64 s[48:49], 1
	s_and_b64 vcc, exec, s[44:45]
	s_mov_b64 s[44:45], 0
	s_mov_b32 s47, s81
	s_waitcnt vmcnt(0)
	buffer_store_dword v9, v3, s[0:3], 0 offen offset:4
	buffer_store_dword v8, v3, s[0:3], 0 offen
	buffer_store_dword v11, v3, s[0:3], 0 offen offset:12
	buffer_store_dword v10, v3, s[0:3], 0 offen offset:8
	s_cbranch_vccnz .LBB8_1242
; %bb.1243:                             ;   in Loop: Header=BB8_1241 Depth=3
	s_and_saveexec_b64 s[48:49], s[38:39]
	s_cbranch_execz .LBB8_1279
; %bb.1244:                             ;   in Loop: Header=BB8_1241 Depth=3
	buffer_load_dword v9, off, s[0:3], s33 offset:96
	buffer_load_dword v10, off, s[0:3], s33 offset:112
	;; [unrolled: 1-line block ×8, first 2 shown]
	s_waitcnt vmcnt(7)
	v_lshlrev_b32_e32 v0, 16, v9
	s_waitcnt vmcnt(6)
	v_lshlrev_b32_e32 v24, 16, v10
	v_max_f32_e32 v24, v24, v24
	v_max_f32_e32 v0, v0, v0
	v_min_f32_e32 v25, v0, v24
	v_max_f32_e32 v0, v0, v24
	v_cndmask_b32_e64 v24, v0, v25, s[40:41]
	v_and_b32_e32 v0, 0x7f800000, v24
	v_cmp_ne_u32_e32 vcc, s96, v0
                                        ; implicit-def: $vgpr0
	s_and_saveexec_b64 s[42:43], vcc
	s_xor_b64 s[42:43], exec, s[42:43]
; %bb.1245:                             ;   in Loop: Header=BB8_1241 Depth=3
	v_bfe_u32 v0, v24, 16, 1
	v_add3_u32 v0, v24, v0, s97
                                        ; implicit-def: $vgpr24
; %bb.1246:                             ;   in Loop: Header=BB8_1241 Depth=3
	s_andn2_saveexec_b64 s[42:43], s[42:43]
; %bb.1247:                             ;   in Loop: Header=BB8_1241 Depth=3
	v_or_b32_e32 v0, 0x10000, v24
	v_cmp_eq_u32_sdwa vcc, v24, v2 src0_sel:WORD_0 src1_sel:DWORD
	v_cndmask_b32_e32 v0, v0, v24, vcc
; %bb.1248:                             ;   in Loop: Header=BB8_1241 Depth=3
	s_or_b64 exec, exec, s[42:43]
	v_and_b32_e32 v9, 0xffff0000, v9
	v_and_b32_e32 v10, 0xffff0000, v10
	v_max_f32_e32 v10, v10, v10
	v_max_f32_e32 v9, v9, v9
	v_min_f32_e32 v24, v9, v10
	v_max_f32_e32 v9, v9, v10
	v_cndmask_b32_e64 v9, v9, v24, s[40:41]
	v_and_b32_e32 v10, 0x7f800000, v9
	v_cmp_ne_u32_e32 vcc, s96, v10
                                        ; implicit-def: $vgpr10
	s_and_saveexec_b64 s[42:43], vcc
	s_xor_b64 s[42:43], exec, s[42:43]
; %bb.1249:                             ;   in Loop: Header=BB8_1241 Depth=3
	v_bfe_u32 v10, v9, 16, 1
	v_add3_u32 v10, v9, v10, s97
                                        ; implicit-def: $vgpr9
; %bb.1250:                             ;   in Loop: Header=BB8_1241 Depth=3
	s_andn2_saveexec_b64 s[42:43], s[42:43]
; %bb.1251:                             ;   in Loop: Header=BB8_1241 Depth=3
	v_or_b32_e32 v10, 0x10000, v9
	v_cmp_eq_u32_sdwa vcc, v9, v2 src0_sel:WORD_0 src1_sel:DWORD
	v_cndmask_b32_e32 v10, v10, v9, vcc
; %bb.1252:                             ;   in Loop: Header=BB8_1241 Depth=3
	s_or_b64 exec, exec, s[42:43]
	s_waitcnt vmcnt(5)
	v_lshlrev_b32_e32 v9, 16, v3
	s_waitcnt vmcnt(3)
	v_lshlrev_b32_e32 v24, 16, v23
	v_max_f32_e32 v24, v24, v24
	v_max_f32_e32 v9, v9, v9
	v_min_f32_e32 v25, v9, v24
	v_max_f32_e32 v9, v9, v24
	v_cndmask_b32_e64 v24, v9, v25, s[40:41]
	v_and_b32_e32 v9, 0x7f800000, v24
	v_cmp_ne_u32_e32 vcc, s96, v9
                                        ; implicit-def: $vgpr9
	s_and_saveexec_b64 s[42:43], vcc
	s_xor_b64 s[42:43], exec, s[42:43]
; %bb.1253:                             ;   in Loop: Header=BB8_1241 Depth=3
	v_bfe_u32 v9, v24, 16, 1
	v_add3_u32 v9, v24, v9, s97
                                        ; implicit-def: $vgpr24
; %bb.1254:                             ;   in Loop: Header=BB8_1241 Depth=3
	s_andn2_saveexec_b64 s[42:43], s[42:43]
; %bb.1255:                             ;   in Loop: Header=BB8_1241 Depth=3
	v_or_b32_e32 v9, 0x10000, v24
	v_cmp_eq_u32_sdwa vcc, v24, v2 src0_sel:WORD_0 src1_sel:DWORD
	v_cndmask_b32_e32 v9, v9, v24, vcc
; %bb.1256:                             ;   in Loop: Header=BB8_1241 Depth=3
	s_or_b64 exec, exec, s[42:43]
	v_and_b32_e32 v3, 0xffff0000, v3
	v_and_b32_e32 v23, 0xffff0000, v23
	v_max_f32_e32 v23, v23, v23
	v_max_f32_e32 v3, v3, v3
	v_min_f32_e32 v24, v3, v23
	v_max_f32_e32 v3, v3, v23
	v_cndmask_b32_e64 v3, v3, v24, s[40:41]
	v_and_b32_e32 v23, 0x7f800000, v3
	v_cmp_ne_u32_e32 vcc, s96, v23
                                        ; implicit-def: $vgpr23
	s_and_saveexec_b64 s[42:43], vcc
	s_xor_b64 s[42:43], exec, s[42:43]
; %bb.1257:                             ;   in Loop: Header=BB8_1241 Depth=3
	v_bfe_u32 v23, v3, 16, 1
	v_add3_u32 v23, v3, v23, s97
                                        ; implicit-def: $vgpr3
; %bb.1258:                             ;   in Loop: Header=BB8_1241 Depth=3
	s_andn2_saveexec_b64 s[42:43], s[42:43]
; %bb.1259:                             ;   in Loop: Header=BB8_1241 Depth=3
	v_or_b32_e32 v23, 0x10000, v3
	v_cmp_eq_u32_sdwa vcc, v3, v2 src0_sel:WORD_0 src1_sel:DWORD
	v_cndmask_b32_e32 v23, v23, v3, vcc
; %bb.1260:                             ;   in Loop: Header=BB8_1241 Depth=3
	s_or_b64 exec, exec, s[42:43]
	v_lshlrev_b32_e32 v3, 16, v11
	s_waitcnt vmcnt(2)
	v_lshlrev_b32_e32 v24, 16, v22
	v_max_f32_e32 v24, v24, v24
	v_max_f32_e32 v3, v3, v3
	v_min_f32_e32 v25, v3, v24
	v_max_f32_e32 v3, v3, v24
	v_cndmask_b32_e64 v24, v3, v25, s[40:41]
	v_and_b32_e32 v3, 0x7f800000, v24
	v_cmp_ne_u32_e32 vcc, s96, v3
                                        ; implicit-def: $vgpr3
	s_and_saveexec_b64 s[42:43], vcc
	s_xor_b64 s[42:43], exec, s[42:43]
; %bb.1261:                             ;   in Loop: Header=BB8_1241 Depth=3
	v_bfe_u32 v3, v24, 16, 1
	v_add3_u32 v3, v24, v3, s97
                                        ; implicit-def: $vgpr24
; %bb.1262:                             ;   in Loop: Header=BB8_1241 Depth=3
	s_andn2_saveexec_b64 s[42:43], s[42:43]
; %bb.1263:                             ;   in Loop: Header=BB8_1241 Depth=3
	v_or_b32_e32 v3, 0x10000, v24
	v_cmp_eq_u32_sdwa vcc, v24, v2 src0_sel:WORD_0 src1_sel:DWORD
	v_cndmask_b32_e32 v3, v3, v24, vcc
; %bb.1264:                             ;   in Loop: Header=BB8_1241 Depth=3
	s_or_b64 exec, exec, s[42:43]
	v_and_b32_e32 v11, 0xffff0000, v11
	v_and_b32_e32 v22, 0xffff0000, v22
	v_max_f32_e32 v22, v22, v22
	v_max_f32_e32 v11, v11, v11
	v_min_f32_e32 v24, v11, v22
	v_max_f32_e32 v11, v11, v22
	v_cndmask_b32_e64 v22, v11, v24, s[40:41]
	v_and_b32_e32 v11, 0x7f800000, v22
	v_cmp_ne_u32_e32 vcc, s96, v11
                                        ; implicit-def: $vgpr11
	s_and_saveexec_b64 s[42:43], vcc
	s_xor_b64 s[42:43], exec, s[42:43]
; %bb.1265:                             ;   in Loop: Header=BB8_1241 Depth=3
	v_bfe_u32 v11, v22, 16, 1
	v_add3_u32 v11, v22, v11, s97
                                        ; implicit-def: $vgpr22
; %bb.1266:                             ;   in Loop: Header=BB8_1241 Depth=3
	s_andn2_saveexec_b64 s[42:43], s[42:43]
; %bb.1267:                             ;   in Loop: Header=BB8_1241 Depth=3
	v_or_b32_e32 v11, 0x10000, v22
	v_cmp_eq_u32_sdwa vcc, v22, v2 src0_sel:WORD_0 src1_sel:DWORD
	v_cndmask_b32_e32 v11, v11, v22, vcc
; %bb.1268:                             ;   in Loop: Header=BB8_1241 Depth=3
	s_or_b64 exec, exec, s[42:43]
	s_waitcnt vmcnt(0)
	v_lshlrev_b32_e32 v22, 16, v8
	v_lshlrev_b32_e32 v24, 16, v1
	v_max_f32_e32 v24, v24, v24
	v_max_f32_e32 v22, v22, v22
	v_min_f32_e32 v25, v22, v24
	v_max_f32_e32 v22, v22, v24
	v_cndmask_b32_e64 v24, v22, v25, s[40:41]
	v_and_b32_e32 v22, 0x7f800000, v24
	v_cmp_ne_u32_e32 vcc, s96, v22
                                        ; implicit-def: $vgpr22
	s_and_saveexec_b64 s[42:43], vcc
	s_xor_b64 s[42:43], exec, s[42:43]
; %bb.1269:                             ;   in Loop: Header=BB8_1241 Depth=3
	v_bfe_u32 v22, v24, 16, 1
	v_add3_u32 v22, v24, v22, s97
                                        ; implicit-def: $vgpr24
; %bb.1270:                             ;   in Loop: Header=BB8_1241 Depth=3
	s_andn2_saveexec_b64 s[42:43], s[42:43]
; %bb.1271:                             ;   in Loop: Header=BB8_1241 Depth=3
	v_or_b32_e32 v22, 0x10000, v24
	v_cmp_eq_u32_sdwa vcc, v24, v2 src0_sel:WORD_0 src1_sel:DWORD
	v_cndmask_b32_e32 v22, v22, v24, vcc
; %bb.1272:                             ;   in Loop: Header=BB8_1241 Depth=3
	s_or_b64 exec, exec, s[42:43]
	v_and_b32_e32 v8, 0xffff0000, v8
	v_and_b32_e32 v1, 0xffff0000, v1
	v_max_f32_e32 v1, v1, v1
	v_max_f32_e32 v8, v8, v8
	v_min_f32_e32 v24, v8, v1
	v_max_f32_e32 v1, v8, v1
	v_cndmask_b32_e64 v8, v1, v24, s[40:41]
	v_and_b32_e32 v1, 0x7f800000, v8
	v_cmp_ne_u32_e32 vcc, s96, v1
                                        ; implicit-def: $vgpr1
	s_and_saveexec_b64 s[42:43], vcc
	s_xor_b64 s[42:43], exec, s[42:43]
; %bb.1273:                             ;   in Loop: Header=BB8_1241 Depth=3
	v_bfe_u32 v1, v8, 16, 1
	v_add3_u32 v1, v8, v1, s97
                                        ; implicit-def: $vgpr8
; %bb.1274:                             ;   in Loop: Header=BB8_1241 Depth=3
	s_andn2_saveexec_b64 s[42:43], s[42:43]
; %bb.1275:                             ;   in Loop: Header=BB8_1241 Depth=3
	v_or_b32_e32 v1, 0x10000, v8
	v_cmp_eq_u32_sdwa vcc, v8, v2 src0_sel:WORD_0 src1_sel:DWORD
	v_cndmask_b32_e32 v1, v1, v8, vcc
; %bb.1276:                             ;   in Loop: Header=BB8_1241 Depth=3
	s_or_b64 exec, exec, s[42:43]
	v_lshrrev_b32_e32 v8, 16, v9
	v_lshrrev_b32_e32 v0, 16, v0
	v_and_or_b32 v9, v23, s56, v8
	v_and_or_b32 v8, v10, s56, v0
	v_lshrrev_b32_e32 v0, 16, v3
	v_and_or_b32 v10, v11, s56, v0
	v_lshrrev_b32_e32 v0, 16, v22
	v_and_or_b32 v11, v1, s56, v0
	s_mov_b64 s[50:51], 0
	s_mov_b64 s[38:39], -1
	buffer_store_dword v9, off, s[0:3], s33 offset:100
	buffer_store_dword v8, off, s[0:3], s33 offset:96
	;; [unrolled: 1-line block ×4, first 2 shown]
.LBB8_1277:                             ;   Parent Loop BB8_47 Depth=1
                                        ;     Parent Loop BB8_955 Depth=2
                                        ;       Parent Loop BB8_1241 Depth=3
                                        ; =>      This Inner Loop Header: Depth=4
	s_cmp_eq_u32 s50, 1
	s_cselect_b64 s[42:43], -1, 0
	v_cndmask_b32_e64 v1, v14, v16, s[42:43]
	v_cndmask_b32_e64 v0, v13, v15, s[42:43]
	global_store_dwordx4 v[0:1], v[8:11], off glc slc
	v_add_co_u32_e32 v0, vcc, 0x400, v0
	s_cmp_eq_u32 s50, 0
	v_addc_co_u32_e32 v1, vcc, 0, v1, vcc
	s_cselect_b64 vcc, -1, 0
	s_and_b64 s[44:45], exec, s[38:39]
	s_mov_b64 s[50:51], 1
	v_cndmask_b32_e64 v15, v15, v0, s[42:43]
	s_mov_b64 s[38:39], 0
	v_cndmask_b32_e64 v16, v16, v1, s[42:43]
	v_cndmask_b32_e32 v14, v14, v1, vcc
	v_cndmask_b32_e32 v13, v13, v0, vcc
	s_mov_b64 vcc, s[44:45]
	s_cbranch_vccnz .LBB8_1277
; %bb.1278:                             ;   in Loop: Header=BB8_1241 Depth=3
	v_add_co_u32_e32 v13, vcc, v13, v54
	v_addc_co_u32_e32 v14, vcc, v14, v55, vcc
	v_add_co_u32_e32 v15, vcc, v15, v54
	v_addc_co_u32_e32 v16, vcc, v16, v55, vcc
.LBB8_1279:                             ;   in Loop: Header=BB8_1241 Depth=3
	s_or_b64 exec, exec, s[48:49]
	buffer_load_dword v0, off, s[0:3], s33 offset:168 ; 4-byte Folded Reload
	v_add_co_u32_e32 v18, vcc, v18, v54
	v_addc_co_u32_e32 v19, vcc, v19, v55, vcc
	v_add_co_u32_e32 v20, vcc, v20, v54
	v_addc_co_u32_e32 v21, vcc, v21, v55, vcc
	s_waitcnt vmcnt(0)
	v_sub_u32_e32 v17, v17, v0
	v_cmp_lt_i32_e64 s[38:39], 15, v17
	s_and_saveexec_b64 s[44:45], s[38:39]
	s_cbranch_execz .LBB8_1282
; %bb.1280:                             ;   in Loop: Header=BB8_1241 Depth=3
	s_lshr_b32 s47, s33, 6
	s_addk_i32 s47, 0x60
	s_mov_b64 s[50:51], 0
	s_mov_b64 s[48:49], -1
.LBB8_1281:                             ;   Parent Loop BB8_47 Depth=1
                                        ;     Parent Loop BB8_955 Depth=2
                                        ;       Parent Loop BB8_1241 Depth=3
                                        ; =>      This Inner Loop Header: Depth=4
	s_cmp_eq_u32 s50, 1
	s_cselect_b64 s[42:43], -1, 0
	v_cndmask_b32_e64 v1, v19, v21, s[42:43]
	v_cndmask_b32_e64 v0, v18, v20, s[42:43]
	global_load_dwordx4 v[8:11], v[0:1], off glc slc
	v_add_co_u32_e32 v0, vcc, s55, v0
	v_addc_co_u32_e32 v1, vcc, 0, v1, vcc
	s_cmp_eq_u32 s50, 0
	s_cselect_b64 vcc, -1, 0
	v_mov_b32_e32 v3, s47
	v_cndmask_b32_e32 v19, v19, v1, vcc
	v_cndmask_b32_e32 v18, v18, v0, vcc
	v_cndmask_b32_e64 v21, v21, v1, s[42:43]
	v_cndmask_b32_e64 v20, v20, v0, s[42:43]
	s_mov_b64 s[50:51], 1
	s_and_b64 vcc, exec, s[48:49]
	s_mov_b64 s[48:49], 0
	s_mov_b32 s47, s80
	s_waitcnt vmcnt(0)
	buffer_store_dword v9, v3, s[0:3], 0 offen offset:4
	buffer_store_dword v8, v3, s[0:3], 0 offen
	buffer_store_dword v11, v3, s[0:3], 0 offen offset:12
	buffer_store_dword v10, v3, s[0:3], 0 offen offset:8
	s_cbranch_vccnz .LBB8_1281
.LBB8_1282:                             ;   in Loop: Header=BB8_1241 Depth=3
	s_or_b64 exec, exec, s[44:45]
	buffer_load_dword v9, off, s[0:3], s33 offset:64
	buffer_load_dword v10, off, s[0:3], s33 offset:80
	;; [unrolled: 1-line block ×8, first 2 shown]
	s_waitcnt vmcnt(7)
	v_lshlrev_b32_e32 v0, 16, v9
	s_waitcnt vmcnt(6)
	v_lshlrev_b32_e32 v24, 16, v10
	v_max_f32_e32 v24, v24, v24
	v_max_f32_e32 v0, v0, v0
	v_min_f32_e32 v25, v0, v24
	v_max_f32_e32 v0, v0, v24
	v_cndmask_b32_e64 v24, v0, v25, s[40:41]
	v_and_b32_e32 v0, 0x7f800000, v24
	v_cmp_ne_u32_e32 vcc, s96, v0
                                        ; implicit-def: $vgpr0
	s_and_saveexec_b64 s[42:43], vcc
	s_xor_b64 s[42:43], exec, s[42:43]
; %bb.1283:                             ;   in Loop: Header=BB8_1241 Depth=3
	v_bfe_u32 v0, v24, 16, 1
	v_add3_u32 v0, v24, v0, s97
                                        ; implicit-def: $vgpr24
; %bb.1284:                             ;   in Loop: Header=BB8_1241 Depth=3
	s_andn2_saveexec_b64 s[42:43], s[42:43]
; %bb.1285:                             ;   in Loop: Header=BB8_1241 Depth=3
	v_or_b32_e32 v0, 0x10000, v24
	v_cmp_eq_u32_sdwa vcc, v24, v2 src0_sel:WORD_0 src1_sel:DWORD
	v_cndmask_b32_e32 v0, v0, v24, vcc
; %bb.1286:                             ;   in Loop: Header=BB8_1241 Depth=3
	s_or_b64 exec, exec, s[42:43]
	v_and_b32_e32 v9, 0xffff0000, v9
	v_and_b32_e32 v10, 0xffff0000, v10
	v_max_f32_e32 v10, v10, v10
	v_max_f32_e32 v9, v9, v9
	v_min_f32_e32 v24, v9, v10
	v_max_f32_e32 v9, v9, v10
	v_cndmask_b32_e64 v9, v9, v24, s[40:41]
	v_and_b32_e32 v10, 0x7f800000, v9
	v_cmp_ne_u32_e32 vcc, s96, v10
                                        ; implicit-def: $vgpr10
	s_and_saveexec_b64 s[42:43], vcc
	s_xor_b64 s[42:43], exec, s[42:43]
; %bb.1287:                             ;   in Loop: Header=BB8_1241 Depth=3
	v_bfe_u32 v10, v9, 16, 1
	v_add3_u32 v10, v9, v10, s97
                                        ; implicit-def: $vgpr9
; %bb.1288:                             ;   in Loop: Header=BB8_1241 Depth=3
	s_andn2_saveexec_b64 s[42:43], s[42:43]
; %bb.1289:                             ;   in Loop: Header=BB8_1241 Depth=3
	v_or_b32_e32 v10, 0x10000, v9
	v_cmp_eq_u32_sdwa vcc, v9, v2 src0_sel:WORD_0 src1_sel:DWORD
	v_cndmask_b32_e32 v10, v10, v9, vcc
; %bb.1290:                             ;   in Loop: Header=BB8_1241 Depth=3
	s_or_b64 exec, exec, s[42:43]
	s_waitcnt vmcnt(5)
	v_lshlrev_b32_e32 v9, 16, v3
	s_waitcnt vmcnt(3)
	v_lshlrev_b32_e32 v24, 16, v23
	v_max_f32_e32 v24, v24, v24
	v_max_f32_e32 v9, v9, v9
	v_min_f32_e32 v25, v9, v24
	v_max_f32_e32 v9, v9, v24
	v_cndmask_b32_e64 v24, v9, v25, s[40:41]
	v_and_b32_e32 v9, 0x7f800000, v24
	v_cmp_ne_u32_e32 vcc, s96, v9
                                        ; implicit-def: $vgpr9
	s_and_saveexec_b64 s[42:43], vcc
	s_xor_b64 s[42:43], exec, s[42:43]
; %bb.1291:                             ;   in Loop: Header=BB8_1241 Depth=3
	v_bfe_u32 v9, v24, 16, 1
	v_add3_u32 v9, v24, v9, s97
                                        ; implicit-def: $vgpr24
; %bb.1292:                             ;   in Loop: Header=BB8_1241 Depth=3
	s_andn2_saveexec_b64 s[42:43], s[42:43]
; %bb.1293:                             ;   in Loop: Header=BB8_1241 Depth=3
	v_or_b32_e32 v9, 0x10000, v24
	v_cmp_eq_u32_sdwa vcc, v24, v2 src0_sel:WORD_0 src1_sel:DWORD
	v_cndmask_b32_e32 v9, v9, v24, vcc
; %bb.1294:                             ;   in Loop: Header=BB8_1241 Depth=3
	s_or_b64 exec, exec, s[42:43]
	v_and_b32_e32 v3, 0xffff0000, v3
	v_and_b32_e32 v23, 0xffff0000, v23
	v_max_f32_e32 v23, v23, v23
	v_max_f32_e32 v3, v3, v3
	v_min_f32_e32 v24, v3, v23
	v_max_f32_e32 v3, v3, v23
	v_cndmask_b32_e64 v3, v3, v24, s[40:41]
	v_and_b32_e32 v23, 0x7f800000, v3
	v_cmp_ne_u32_e32 vcc, s96, v23
                                        ; implicit-def: $vgpr23
	s_and_saveexec_b64 s[42:43], vcc
	s_xor_b64 s[42:43], exec, s[42:43]
; %bb.1295:                             ;   in Loop: Header=BB8_1241 Depth=3
	v_bfe_u32 v23, v3, 16, 1
	v_add3_u32 v23, v3, v23, s97
                                        ; implicit-def: $vgpr3
; %bb.1296:                             ;   in Loop: Header=BB8_1241 Depth=3
	s_andn2_saveexec_b64 s[42:43], s[42:43]
; %bb.1297:                             ;   in Loop: Header=BB8_1241 Depth=3
	v_or_b32_e32 v23, 0x10000, v3
	v_cmp_eq_u32_sdwa vcc, v3, v2 src0_sel:WORD_0 src1_sel:DWORD
	v_cndmask_b32_e32 v23, v23, v3, vcc
; %bb.1298:                             ;   in Loop: Header=BB8_1241 Depth=3
	s_or_b64 exec, exec, s[42:43]
	v_lshlrev_b32_e32 v3, 16, v11
	s_waitcnt vmcnt(2)
	v_lshlrev_b32_e32 v24, 16, v22
	v_max_f32_e32 v24, v24, v24
	v_max_f32_e32 v3, v3, v3
	v_min_f32_e32 v25, v3, v24
	v_max_f32_e32 v3, v3, v24
	v_cndmask_b32_e64 v24, v3, v25, s[40:41]
	v_and_b32_e32 v3, 0x7f800000, v24
	v_cmp_ne_u32_e32 vcc, s96, v3
                                        ; implicit-def: $vgpr3
	s_and_saveexec_b64 s[42:43], vcc
	s_xor_b64 s[42:43], exec, s[42:43]
; %bb.1299:                             ;   in Loop: Header=BB8_1241 Depth=3
	v_bfe_u32 v3, v24, 16, 1
	v_add3_u32 v3, v24, v3, s97
                                        ; implicit-def: $vgpr24
; %bb.1300:                             ;   in Loop: Header=BB8_1241 Depth=3
	s_andn2_saveexec_b64 s[42:43], s[42:43]
; %bb.1301:                             ;   in Loop: Header=BB8_1241 Depth=3
	v_or_b32_e32 v3, 0x10000, v24
	v_cmp_eq_u32_sdwa vcc, v24, v2 src0_sel:WORD_0 src1_sel:DWORD
	v_cndmask_b32_e32 v3, v3, v24, vcc
; %bb.1302:                             ;   in Loop: Header=BB8_1241 Depth=3
	s_or_b64 exec, exec, s[42:43]
	v_and_b32_e32 v11, 0xffff0000, v11
	v_and_b32_e32 v22, 0xffff0000, v22
	v_max_f32_e32 v22, v22, v22
	v_max_f32_e32 v11, v11, v11
	v_min_f32_e32 v24, v11, v22
	v_max_f32_e32 v11, v11, v22
	v_cndmask_b32_e64 v22, v11, v24, s[40:41]
	v_and_b32_e32 v11, 0x7f800000, v22
	v_cmp_ne_u32_e32 vcc, s96, v11
                                        ; implicit-def: $vgpr11
	s_and_saveexec_b64 s[42:43], vcc
	s_xor_b64 s[42:43], exec, s[42:43]
; %bb.1303:                             ;   in Loop: Header=BB8_1241 Depth=3
	v_bfe_u32 v11, v22, 16, 1
	v_add3_u32 v11, v22, v11, s97
                                        ; implicit-def: $vgpr22
; %bb.1304:                             ;   in Loop: Header=BB8_1241 Depth=3
	s_andn2_saveexec_b64 s[42:43], s[42:43]
; %bb.1305:                             ;   in Loop: Header=BB8_1241 Depth=3
	v_or_b32_e32 v11, 0x10000, v22
	v_cmp_eq_u32_sdwa vcc, v22, v2 src0_sel:WORD_0 src1_sel:DWORD
	v_cndmask_b32_e32 v11, v11, v22, vcc
; %bb.1306:                             ;   in Loop: Header=BB8_1241 Depth=3
	s_or_b64 exec, exec, s[42:43]
	s_waitcnt vmcnt(0)
	v_lshlrev_b32_e32 v22, 16, v8
	v_lshlrev_b32_e32 v24, 16, v1
	v_max_f32_e32 v24, v24, v24
	v_max_f32_e32 v22, v22, v22
	v_min_f32_e32 v25, v22, v24
	v_max_f32_e32 v22, v22, v24
	v_cndmask_b32_e64 v24, v22, v25, s[40:41]
	v_and_b32_e32 v22, 0x7f800000, v24
	v_cmp_ne_u32_e32 vcc, s96, v22
                                        ; implicit-def: $vgpr22
	s_and_saveexec_b64 s[42:43], vcc
	s_xor_b64 s[42:43], exec, s[42:43]
; %bb.1307:                             ;   in Loop: Header=BB8_1241 Depth=3
	v_bfe_u32 v22, v24, 16, 1
	v_add3_u32 v22, v24, v22, s97
                                        ; implicit-def: $vgpr24
; %bb.1308:                             ;   in Loop: Header=BB8_1241 Depth=3
	s_andn2_saveexec_b64 s[42:43], s[42:43]
; %bb.1309:                             ;   in Loop: Header=BB8_1241 Depth=3
	v_or_b32_e32 v22, 0x10000, v24
	v_cmp_eq_u32_sdwa vcc, v24, v2 src0_sel:WORD_0 src1_sel:DWORD
	v_cndmask_b32_e32 v22, v22, v24, vcc
; %bb.1310:                             ;   in Loop: Header=BB8_1241 Depth=3
	s_or_b64 exec, exec, s[42:43]
	v_and_b32_e32 v8, 0xffff0000, v8
	v_and_b32_e32 v1, 0xffff0000, v1
	v_max_f32_e32 v1, v1, v1
	v_max_f32_e32 v8, v8, v8
	v_min_f32_e32 v24, v8, v1
	v_max_f32_e32 v1, v8, v1
	v_cndmask_b32_e64 v8, v1, v24, s[40:41]
	v_and_b32_e32 v1, 0x7f800000, v8
	v_cmp_ne_u32_e32 vcc, s96, v1
                                        ; implicit-def: $vgpr1
	s_and_saveexec_b64 s[42:43], vcc
	s_xor_b64 s[42:43], exec, s[42:43]
; %bb.1311:                             ;   in Loop: Header=BB8_1241 Depth=3
	v_bfe_u32 v1, v8, 16, 1
	v_add3_u32 v1, v8, v1, s97
                                        ; implicit-def: $vgpr8
; %bb.1312:                             ;   in Loop: Header=BB8_1241 Depth=3
	s_andn2_saveexec_b64 s[42:43], s[42:43]
; %bb.1313:                             ;   in Loop: Header=BB8_1241 Depth=3
	v_or_b32_e32 v1, 0x10000, v8
	v_cmp_eq_u32_sdwa vcc, v8, v2 src0_sel:WORD_0 src1_sel:DWORD
	v_cndmask_b32_e32 v1, v1, v8, vcc
; %bb.1314:                             ;   in Loop: Header=BB8_1241 Depth=3
	s_or_b64 exec, exec, s[42:43]
	v_lshrrev_b32_e32 v8, 16, v9
	v_lshrrev_b32_e32 v0, 16, v0
	v_and_or_b32 v9, v23, s56, v8
	v_and_or_b32 v8, v10, s56, v0
	v_lshrrev_b32_e32 v0, 16, v3
	v_and_or_b32 v10, v11, s56, v0
	v_lshrrev_b32_e32 v0, 16, v22
	v_and_or_b32 v11, v1, s56, v0
	s_mov_b64 s[50:51], 0
	s_mov_b64 s[48:49], -1
	buffer_store_dword v9, off, s[0:3], s33 offset:68
	buffer_store_dword v8, off, s[0:3], s33 offset:64
	;; [unrolled: 1-line block ×4, first 2 shown]
.LBB8_1315:                             ;   Parent Loop BB8_47 Depth=1
                                        ;     Parent Loop BB8_955 Depth=2
                                        ;       Parent Loop BB8_1241 Depth=3
                                        ; =>      This Inner Loop Header: Depth=4
	s_cmp_eq_u32 s50, 1
	s_cselect_b64 s[42:43], -1, 0
	v_cndmask_b32_e64 v1, v14, v16, s[42:43]
	v_cndmask_b32_e64 v0, v13, v15, s[42:43]
	global_store_dwordx4 v[0:1], v[8:11], off glc slc
	v_add_co_u32_e32 v0, vcc, 0x400, v0
	s_cmp_eq_u32 s50, 0
	v_addc_co_u32_e32 v1, vcc, 0, v1, vcc
	s_cselect_b64 vcc, -1, 0
	s_and_b64 s[44:45], exec, s[48:49]
	s_mov_b64 s[50:51], 1
	v_cndmask_b32_e64 v15, v15, v0, s[42:43]
	s_mov_b64 s[48:49], 0
	v_cndmask_b32_e64 v16, v16, v1, s[42:43]
	v_cndmask_b32_e32 v14, v14, v1, vcc
	v_cndmask_b32_e32 v13, v13, v0, vcc
	s_mov_b64 vcc, s[44:45]
	s_cbranch_vccnz .LBB8_1315
; %bb.1316:                             ;   in Loop: Header=BB8_1241 Depth=3
	v_sub_u32_e32 v12, v12, v52
	s_and_saveexec_b64 s[42:43], s[38:39]
	s_cbranch_execz .LBB8_1240
; %bb.1317:                             ;   in Loop: Header=BB8_1241 Depth=3
	buffer_load_dword v0, off, s[0:3], s33 offset:168 ; 4-byte Folded Reload
	v_add_co_u32_e32 v13, vcc, v13, v54
	v_addc_co_u32_e32 v14, vcc, v14, v55, vcc
	v_add_co_u32_e32 v15, vcc, v15, v54
	v_addc_co_u32_e32 v16, vcc, v16, v55, vcc
	;; [unrolled: 2-line block ×4, first 2 shown]
	v_sub_u32_e32 v12, v12, v52
	s_waitcnt vmcnt(0)
	v_sub_u32_e32 v17, v17, v0
	s_branch .LBB8_1240
.LBB8_1318:                             ;   in Loop: Header=BB8_955 Depth=2
	s_or_b64 exec, exec, s[34:35]
	s_and_b64 s[40:41], s[36:37], exec
.LBB8_1319:                             ;   in Loop: Header=BB8_955 Depth=2
	s_or_b64 exec, exec, s[30:31]
	s_and_saveexec_b64 s[44:45], s[40:41]
	s_cbranch_execz .LBB8_1354
; %bb.1320:                             ;   in Loop: Header=BB8_955 Depth=2
	buffer_load_dword v9, off, s[0:3], s33 offset:96
	buffer_load_dword v10, off, s[0:3], s33 offset:112
	;; [unrolled: 1-line block ×8, first 2 shown]
	s_and_b32 s40, 0xffff, s46
	s_cmp_eq_u32 s40, 0
	s_cselect_b64 vcc, -1, 0
	s_waitcnt vmcnt(7)
	v_lshlrev_b32_e32 v0, 16, v9
	s_waitcnt vmcnt(6)
	v_lshlrev_b32_e32 v19, 16, v10
	v_max_f32_e32 v19, v19, v19
	v_max_f32_e32 v0, v0, v0
	v_min_f32_e32 v20, v0, v19
	v_max_f32_e32 v0, v0, v19
	v_cndmask_b32_e32 v19, v0, v20, vcc
	v_and_b32_e32 v0, 0x7f800000, v19
	v_cmp_ne_u32_e64 s[40:41], s96, v0
                                        ; implicit-def: $vgpr0
	s_and_saveexec_b64 s[42:43], s[40:41]
	s_xor_b64 s[40:41], exec, s[42:43]
; %bb.1321:                             ;   in Loop: Header=BB8_955 Depth=2
	v_bfe_u32 v0, v19, 16, 1
	v_add3_u32 v0, v19, v0, s97
                                        ; implicit-def: $vgpr19
; %bb.1322:                             ;   in Loop: Header=BB8_955 Depth=2
	s_andn2_saveexec_b64 s[42:43], s[40:41]
; %bb.1323:                             ;   in Loop: Header=BB8_955 Depth=2
	v_or_b32_e32 v0, 0x10000, v19
	v_cmp_eq_u32_sdwa s[40:41], v19, v2 src0_sel:WORD_0 src1_sel:DWORD
	v_cndmask_b32_e64 v0, v0, v19, s[40:41]
; %bb.1324:                             ;   in Loop: Header=BB8_955 Depth=2
	s_or_b64 exec, exec, s[42:43]
	v_and_b32_e32 v9, 0xffff0000, v9
	v_and_b32_e32 v10, 0xffff0000, v10
	v_max_f32_e32 v10, v10, v10
	v_max_f32_e32 v9, v9, v9
	v_min_f32_e32 v19, v9, v10
	v_max_f32_e32 v9, v9, v10
	v_cndmask_b32_e32 v9, v9, v19, vcc
	v_and_b32_e32 v10, 0x7f800000, v9
	v_cmp_ne_u32_e64 s[40:41], s96, v10
                                        ; implicit-def: $vgpr10
	s_and_saveexec_b64 s[42:43], s[40:41]
	s_xor_b64 s[40:41], exec, s[42:43]
; %bb.1325:                             ;   in Loop: Header=BB8_955 Depth=2
	v_bfe_u32 v10, v9, 16, 1
	v_add3_u32 v10, v9, v10, s97
                                        ; implicit-def: $vgpr9
; %bb.1326:                             ;   in Loop: Header=BB8_955 Depth=2
	s_andn2_saveexec_b64 s[42:43], s[40:41]
; %bb.1327:                             ;   in Loop: Header=BB8_955 Depth=2
	v_or_b32_e32 v10, 0x10000, v9
	v_cmp_eq_u32_sdwa s[40:41], v9, v2 src0_sel:WORD_0 src1_sel:DWORD
	v_cndmask_b32_e64 v10, v10, v9, s[40:41]
; %bb.1328:                             ;   in Loop: Header=BB8_955 Depth=2
	s_or_b64 exec, exec, s[42:43]
	s_waitcnt vmcnt(5)
	v_lshlrev_b32_e32 v9, 16, v3
	s_waitcnt vmcnt(3)
	v_lshlrev_b32_e32 v19, 16, v18
	v_max_f32_e32 v19, v19, v19
	v_max_f32_e32 v9, v9, v9
	v_min_f32_e32 v20, v9, v19
	v_max_f32_e32 v9, v9, v19
	v_cndmask_b32_e32 v19, v9, v20, vcc
	v_and_b32_e32 v9, 0x7f800000, v19
	v_cmp_ne_u32_e64 s[40:41], s96, v9
                                        ; implicit-def: $vgpr9
	s_and_saveexec_b64 s[42:43], s[40:41]
	s_xor_b64 s[40:41], exec, s[42:43]
; %bb.1329:                             ;   in Loop: Header=BB8_955 Depth=2
	v_bfe_u32 v9, v19, 16, 1
	v_add3_u32 v9, v19, v9, s97
                                        ; implicit-def: $vgpr19
; %bb.1330:                             ;   in Loop: Header=BB8_955 Depth=2
	s_andn2_saveexec_b64 s[42:43], s[40:41]
; %bb.1331:                             ;   in Loop: Header=BB8_955 Depth=2
	v_or_b32_e32 v9, 0x10000, v19
	v_cmp_eq_u32_sdwa s[40:41], v19, v2 src0_sel:WORD_0 src1_sel:DWORD
	v_cndmask_b32_e64 v9, v9, v19, s[40:41]
; %bb.1332:                             ;   in Loop: Header=BB8_955 Depth=2
	s_or_b64 exec, exec, s[42:43]
	v_and_b32_e32 v3, 0xffff0000, v3
	v_and_b32_e32 v18, 0xffff0000, v18
	v_max_f32_e32 v18, v18, v18
	v_max_f32_e32 v3, v3, v3
	v_min_f32_e32 v19, v3, v18
	v_max_f32_e32 v3, v3, v18
	v_cndmask_b32_e32 v3, v3, v19, vcc
	v_and_b32_e32 v18, 0x7f800000, v3
	v_cmp_ne_u32_e64 s[40:41], s96, v18
                                        ; implicit-def: $vgpr18
	s_and_saveexec_b64 s[42:43], s[40:41]
	s_xor_b64 s[40:41], exec, s[42:43]
; %bb.1333:                             ;   in Loop: Header=BB8_955 Depth=2
	v_bfe_u32 v18, v3, 16, 1
	v_add3_u32 v18, v3, v18, s97
                                        ; implicit-def: $vgpr3
; %bb.1334:                             ;   in Loop: Header=BB8_955 Depth=2
	s_andn2_saveexec_b64 s[42:43], s[40:41]
; %bb.1335:                             ;   in Loop: Header=BB8_955 Depth=2
	v_or_b32_e32 v18, 0x10000, v3
	v_cmp_eq_u32_sdwa s[40:41], v3, v2 src0_sel:WORD_0 src1_sel:DWORD
	v_cndmask_b32_e64 v18, v18, v3, s[40:41]
; %bb.1336:                             ;   in Loop: Header=BB8_955 Depth=2
	s_or_b64 exec, exec, s[42:43]
	v_lshlrev_b32_e32 v3, 16, v11
	s_waitcnt vmcnt(2)
	v_lshlrev_b32_e32 v19, 16, v17
	v_max_f32_e32 v19, v19, v19
	v_max_f32_e32 v3, v3, v3
	v_min_f32_e32 v20, v3, v19
	v_max_f32_e32 v3, v3, v19
	v_cndmask_b32_e32 v19, v3, v20, vcc
	v_and_b32_e32 v3, 0x7f800000, v19
	v_cmp_ne_u32_e64 s[40:41], s96, v3
                                        ; implicit-def: $vgpr3
	s_and_saveexec_b64 s[42:43], s[40:41]
	s_xor_b64 s[40:41], exec, s[42:43]
; %bb.1337:                             ;   in Loop: Header=BB8_955 Depth=2
	v_bfe_u32 v3, v19, 16, 1
	v_add3_u32 v3, v19, v3, s97
                                        ; implicit-def: $vgpr19
; %bb.1338:                             ;   in Loop: Header=BB8_955 Depth=2
	s_andn2_saveexec_b64 s[42:43], s[40:41]
; %bb.1339:                             ;   in Loop: Header=BB8_955 Depth=2
	v_or_b32_e32 v3, 0x10000, v19
	v_cmp_eq_u32_sdwa s[40:41], v19, v2 src0_sel:WORD_0 src1_sel:DWORD
	v_cndmask_b32_e64 v3, v3, v19, s[40:41]
; %bb.1340:                             ;   in Loop: Header=BB8_955 Depth=2
	s_or_b64 exec, exec, s[42:43]
	v_and_b32_e32 v11, 0xffff0000, v11
	v_and_b32_e32 v17, 0xffff0000, v17
	v_max_f32_e32 v17, v17, v17
	v_max_f32_e32 v11, v11, v11
	v_min_f32_e32 v19, v11, v17
	v_max_f32_e32 v11, v11, v17
	v_cndmask_b32_e32 v17, v11, v19, vcc
	v_and_b32_e32 v11, 0x7f800000, v17
	v_cmp_ne_u32_e64 s[40:41], s96, v11
                                        ; implicit-def: $vgpr11
	s_and_saveexec_b64 s[42:43], s[40:41]
	s_xor_b64 s[40:41], exec, s[42:43]
; %bb.1341:                             ;   in Loop: Header=BB8_955 Depth=2
	v_bfe_u32 v11, v17, 16, 1
	v_add3_u32 v11, v17, v11, s97
                                        ; implicit-def: $vgpr17
; %bb.1342:                             ;   in Loop: Header=BB8_955 Depth=2
	s_andn2_saveexec_b64 s[42:43], s[40:41]
; %bb.1343:                             ;   in Loop: Header=BB8_955 Depth=2
	v_or_b32_e32 v11, 0x10000, v17
	v_cmp_eq_u32_sdwa s[40:41], v17, v2 src0_sel:WORD_0 src1_sel:DWORD
	v_cndmask_b32_e64 v11, v11, v17, s[40:41]
; %bb.1344:                             ;   in Loop: Header=BB8_955 Depth=2
	s_or_b64 exec, exec, s[42:43]
	s_waitcnt vmcnt(0)
	v_lshlrev_b32_e32 v17, 16, v8
	v_lshlrev_b32_e32 v19, 16, v1
	v_max_f32_e32 v19, v19, v19
	v_max_f32_e32 v17, v17, v17
	v_min_f32_e32 v20, v17, v19
	v_max_f32_e32 v17, v17, v19
	v_cndmask_b32_e32 v19, v17, v20, vcc
	v_and_b32_e32 v17, 0x7f800000, v19
	v_cmp_ne_u32_e64 s[40:41], s96, v17
                                        ; implicit-def: $vgpr17
	s_and_saveexec_b64 s[42:43], s[40:41]
	s_xor_b64 s[40:41], exec, s[42:43]
; %bb.1345:                             ;   in Loop: Header=BB8_955 Depth=2
	v_bfe_u32 v17, v19, 16, 1
	v_add3_u32 v17, v19, v17, s97
                                        ; implicit-def: $vgpr19
; %bb.1346:                             ;   in Loop: Header=BB8_955 Depth=2
	s_andn2_saveexec_b64 s[42:43], s[40:41]
; %bb.1347:                             ;   in Loop: Header=BB8_955 Depth=2
	v_or_b32_e32 v17, 0x10000, v19
	v_cmp_eq_u32_sdwa s[40:41], v19, v2 src0_sel:WORD_0 src1_sel:DWORD
	v_cndmask_b32_e64 v17, v17, v19, s[40:41]
; %bb.1348:                             ;   in Loop: Header=BB8_955 Depth=2
	s_or_b64 exec, exec, s[42:43]
	v_and_b32_e32 v8, 0xffff0000, v8
	v_and_b32_e32 v1, 0xffff0000, v1
	v_max_f32_e32 v1, v1, v1
	v_max_f32_e32 v8, v8, v8
	v_min_f32_e32 v19, v8, v1
	v_max_f32_e32 v1, v8, v1
	v_cndmask_b32_e32 v8, v1, v19, vcc
	v_and_b32_e32 v1, 0x7f800000, v8
	v_cmp_ne_u32_e32 vcc, s96, v1
                                        ; implicit-def: $vgpr1
	s_and_saveexec_b64 s[40:41], vcc
	s_xor_b64 s[40:41], exec, s[40:41]
; %bb.1349:                             ;   in Loop: Header=BB8_955 Depth=2
	v_bfe_u32 v1, v8, 16, 1
	v_add3_u32 v1, v8, v1, s97
                                        ; implicit-def: $vgpr8
; %bb.1350:                             ;   in Loop: Header=BB8_955 Depth=2
	s_andn2_saveexec_b64 s[40:41], s[40:41]
; %bb.1351:                             ;   in Loop: Header=BB8_955 Depth=2
	v_or_b32_e32 v1, 0x10000, v8
	v_cmp_eq_u32_sdwa vcc, v8, v2 src0_sel:WORD_0 src1_sel:DWORD
	v_cndmask_b32_e32 v1, v1, v8, vcc
; %bb.1352:                             ;   in Loop: Header=BB8_955 Depth=2
	s_or_b64 exec, exec, s[40:41]
	v_lshrrev_b32_e32 v8, 16, v9
	v_lshrrev_b32_e32 v0, 16, v0
	v_and_or_b32 v9, v18, s56, v8
	v_and_or_b32 v8, v10, s56, v0
	v_lshrrev_b32_e32 v0, 16, v3
	v_and_or_b32 v10, v11, s56, v0
	v_lshrrev_b32_e32 v0, 16, v17
	v_and_or_b32 v11, v1, s56, v0
	s_mov_b64 s[34:35], 0
	s_mov_b64 s[30:31], -1
.LBB8_1353:                             ;   Parent Loop BB8_47 Depth=1
                                        ;     Parent Loop BB8_955 Depth=2
                                        ; =>    This Inner Loop Header: Depth=3
	s_cmp_eq_u32 s34, 1
	s_cselect_b64 s[40:41], -1, 0
	v_cndmask_b32_e64 v1, v14, v16, s[40:41]
	v_cndmask_b32_e64 v0, v13, v15, s[40:41]
	global_store_dwordx4 v[0:1], v[8:11], off glc slc
	v_add_co_u32_e32 v0, vcc, 0x400, v0
	s_cmp_eq_u32 s34, 0
	v_addc_co_u32_e32 v1, vcc, 0, v1, vcc
	s_cselect_b64 vcc, -1, 0
	s_and_b64 s[42:43], exec, s[30:31]
	s_mov_b64 s[34:35], 1
	v_cndmask_b32_e64 v15, v15, v0, s[40:41]
	s_mov_b64 s[30:31], 0
	v_cndmask_b32_e64 v16, v16, v1, s[40:41]
	v_cndmask_b32_e32 v14, v14, v1, vcc
	v_cndmask_b32_e32 v13, v13, v0, vcc
	s_mov_b64 vcc, s[42:43]
	s_cbranch_vccnz .LBB8_1353
.LBB8_1354:                             ;   in Loop: Header=BB8_955 Depth=2
	s_or_b64 exec, exec, s[44:45]
	buffer_load_dword v0, off, s[0:3], s33 offset:292 ; 4-byte Folded Reload
	s_mov_b64 s[40:41], s[92:93]
                                        ; implicit-def: $vgpr14
                                        ; implicit-def: $vgpr16
	s_waitcnt vmcnt(0)
	v_and_b32_e32 v1, 14, v0
	v_cndmask_b32_e64 v15, v7, v1, s[28:29]
	v_cmp_ne_u32_e32 vcc, 0, v15
                                        ; implicit-def: $vgpr0
	s_and_saveexec_b64 s[42:43], vcc
	s_cbranch_execz .LBB8_1356
; %bb.1355:                             ;   in Loop: Header=BB8_955 Depth=2
	v_sub_u32_e32 v0, v7, v1
	v_cndmask_b32_e64 v0, 0, v0, s[28:29]
	v_cmp_lt_i32_e32 vcc, 0, v12
	v_add3_u32 v14, v6, v5, v0
	v_cndmask_b32_e32 v0, 0, v52, vcc
	v_sub_u32_e32 v0, v0, v12
	v_lshl_add_u32 v0, v0, 6, v4
	v_ashrrev_i32_e32 v1, 31, v0
	v_lshrrev_b32_e32 v1, 26, v1
	v_add_u32_e32 v1, v0, v1
	v_and_b32_e32 v1, 0xffffffc0, v1
	v_sub_u32_e32 v16, v0, v1
	s_or_b64 s[40:41], s[92:93], exec
.LBB8_1356:                             ;   in Loop: Header=BB8_955 Depth=2
	s_or_b64 exec, exec, s[42:43]
	s_andn2_b64 s[28:29], s[92:93], exec
	s_and_b64 s[40:41], s[40:41], exec
	s_or_b64 s[92:93], s[28:29], s[40:41]
.LBB8_1357:                             ;   in Loop: Header=BB8_955 Depth=2
	s_or_b64 exec, exec, s[94:95]
	s_and_saveexec_b64 s[44:45], s[92:93]
	s_cbranch_execz .LBB8_1498
.LBB8_1358:                             ;   in Loop: Header=BB8_955 Depth=2
	s_waitcnt vmcnt(1)
	v_ashrrev_i32_e32 v1, 31, v0
	v_lshrrev_b32_e32 v1, 26, v1
	v_add_u32_e32 v0, v0, v1
	v_ashrrev_i32_e32 v0, 6, v0
	v_lshlrev_b32_e32 v1, 10, v0
	s_waitcnt vmcnt(0)
	v_lshlrev_b32_e32 v3, 1, v16
	v_add3_u32 v21, v14, v3, v1
	v_ashrrev_i32_e32 v1, 31, v15
	v_lshrrev_b32_e32 v1, 22, v1
	v_add_u32_e32 v1, v15, v1
	v_ashrrev_i32_e32 v5, 10, v1
	v_sub_u32_e32 v4, v5, v0
	buffer_load_dword v0, off, s[0:3], s33 offset:304 ; 4-byte Folded Reload
	buffer_load_dword v1, off, s[0:3], s33 offset:308 ; 4-byte Folded Reload
	v_ashrrev_i32_e32 v22, 31, v21
	s_mov_b64 s[28:29], 0
	v_mov_b32_e32 v34, 0
	v_mov_b32_e32 v33, 0
	v_mov_b32_e32 v29, 0
	v_mov_b32_e32 v19, 0
	v_mov_b32_e32 v13, 0
	v_mov_b32_e32 v10, 0
	v_mov_b32_e32 v36, 0
	v_mov_b32_e32 v18, 0
	v_mov_b32_e32 v3, 0
	v_mov_b32_e32 v32, 0
	v_mov_b32_e32 v20, 0
	v_mov_b32_e32 v17, 0
	v_mov_b32_e32 v12, 0
	v_mov_b32_e32 v11, 0
	s_waitcnt vmcnt(1)
	v_add_co_u32_e32 v8, vcc, v0, v21
	s_waitcnt vmcnt(0)
	v_addc_co_u32_e32 v9, vcc, v1, v22, vcc
	v_add_co_u32_e32 v6, vcc, v26, v21
	v_addc_co_u32_e32 v7, vcc, v27, v22, vcc
	v_cmp_lt_i32_e32 vcc, 0, v4
	v_mov_b32_e32 v1, 0
	v_mov_b32_e32 v0, 0
	s_and_saveexec_b64 s[40:41], vcc
	s_cbranch_execz .LBB8_1432
; %bb.1359:                             ;   in Loop: Header=BB8_955 Depth=2
	s_trap 2
	ds_read_b64 v[0:1], v0
	buffer_load_dword v10, off, s[0:3], s33 offset:296 ; 4-byte Folded Reload
	buffer_load_dword v11, off, s[0:3], s33 offset:300 ; 4-byte Folded Reload
	s_and_b32 s28, s46, 0xff
	v_mov_b32_e32 v58, v27
	s_cmp_eq_u32 s28, 0
	v_mov_b32_e32 v57, v26
	s_mov_b64 s[94:95], 0
	s_mov_b64 s[92:93], 0
	s_cselect_b64 s[28:29], -1, 0
                                        ; implicit-def: $sgpr42_sgpr43
                                        ; implicit-def: $vgpr50
                                        ; implicit-def: $vgpr38
                                        ; implicit-def: $vgpr35
                                        ; implicit-def: $vgpr32
                                        ; implicit-def: $vgpr28
                                        ; implicit-def: $vgpr27
                                        ; implicit-def: $vgpr26
                                        ; implicit-def: $vgpr25
                                        ; implicit-def: $vgpr17
                                        ; implicit-def: $vgpr18
                                        ; implicit-def: $vgpr19
                                        ; implicit-def: $vgpr20
                                        ; implicit-def: $vgpr23
                                        ; implicit-def: $vgpr24
	s_waitcnt vmcnt(1)
	v_add_co_u32_e32 v10, vcc, v21, v10
	s_waitcnt vmcnt(0)
	v_addc_co_u32_e32 v11, vcc, v22, v11, vcc
	s_waitcnt lgkmcnt(0)
	v_add_co_u32_e32 v12, vcc, v0, v21
	v_addc_co_u32_e32 v13, vcc, v1, v22, vcc
                                        ; implicit-def: $vgpr21
                                        ; implicit-def: $vgpr22
	s_branch .LBB8_1361
.LBB8_1360:                             ;   in Loop: Header=BB8_1361 Depth=3
	s_or_b64 exec, exec, s[30:31]
	v_cmp_gt_i32_e32 vcc, 1, v4
	s_or_b64 s[92:93], vcc, s[92:93]
	s_andn2_b64 s[42:43], s[42:43], exec
	s_and_b64 vcc, s[94:95], exec
	s_or_b64 s[42:43], s[42:43], vcc
	s_andn2_b64 exec, exec, s[92:93]
	s_cbranch_execz .LBB8_1431
.LBB8_1361:                             ;   Parent Loop BB8_47 Depth=1
                                        ;     Parent Loop BB8_955 Depth=2
                                        ; =>    This Inner Loop Header: Depth=3
	flat_load_ushort v61, v[10:11] glc slc
	flat_load_ushort v59, v[10:11] offset:128 glc slc
	flat_load_ushort v43, v[10:11] offset:256 glc slc
	;; [unrolled: 1-line block ×7, first 2 shown]
	flat_load_ushort v42, v[12:13] glc slc
	flat_load_ushort v60, v[12:13] offset:128 glc slc
	flat_load_ushort v45, v[12:13] offset:256 glc slc
	;; [unrolled: 1-line block ×7, first 2 shown]
	s_and_saveexec_b64 s[30:31], s[94:95]
	s_cbranch_execz .LBB8_1395
; %bb.1362:                             ;   in Loop: Header=BB8_1361 Depth=3
	s_waitcnt vmcnt(0)
	v_lshlrev_b32_e32 v0, 16, v50
	v_lshlrev_b32_e32 v1, 16, v17
	v_max_f32_e32 v1, v1, v1
	v_max_f32_e32 v0, v0, v0
	v_min_f32_e32 v3, v0, v1
	v_max_f32_e32 v0, v0, v1
	v_cndmask_b32_e64 v1, v0, v3, s[28:29]
	v_and_b32_e32 v0, 0x7f800000, v1
	v_cmp_ne_u32_e32 vcc, s96, v0
                                        ; implicit-def: $vgpr0
	s_and_saveexec_b64 s[94:95], vcc
	s_xor_b64 s[94:95], exec, s[94:95]
; %bb.1363:                             ;   in Loop: Header=BB8_1361 Depth=3
	v_bfe_u32 v0, v1, 16, 1
	v_add3_u32 v0, v1, v0, s97
                                        ; implicit-def: $vgpr1
; %bb.1364:                             ;   in Loop: Header=BB8_1361 Depth=3
	s_andn2_saveexec_b64 s[94:95], s[94:95]
; %bb.1365:                             ;   in Loop: Header=BB8_1361 Depth=3
	v_or_b32_e32 v0, 0x10000, v1
	v_cmp_eq_u32_sdwa vcc, v1, v2 src0_sel:WORD_0 src1_sel:DWORD
	v_cndmask_b32_e32 v0, v0, v1, vcc
; %bb.1366:                             ;   in Loop: Header=BB8_1361 Depth=3
	s_or_b64 exec, exec, s[94:95]
	v_lshlrev_b32_e32 v1, 16, v38
	v_lshlrev_b32_e32 v3, 16, v18
	v_max_f32_e32 v3, v3, v3
	v_max_f32_e32 v1, v1, v1
	v_min_f32_e32 v38, v1, v3
	v_max_f32_e32 v1, v1, v3
	v_cndmask_b32_e64 v3, v1, v38, s[28:29]
	v_and_b32_e32 v1, 0x7f800000, v3
	v_cmp_ne_u32_e32 vcc, s96, v1
                                        ; implicit-def: $vgpr1
	s_and_saveexec_b64 s[94:95], vcc
	s_xor_b64 s[94:95], exec, s[94:95]
; %bb.1367:                             ;   in Loop: Header=BB8_1361 Depth=3
	v_bfe_u32 v1, v3, 16, 1
	v_add3_u32 v1, v3, v1, s97
                                        ; implicit-def: $vgpr3
; %bb.1368:                             ;   in Loop: Header=BB8_1361 Depth=3
	s_andn2_saveexec_b64 s[94:95], s[94:95]
; %bb.1369:                             ;   in Loop: Header=BB8_1361 Depth=3
	v_or_b32_e32 v1, 0x10000, v3
	v_cmp_eq_u32_sdwa vcc, v3, v2 src0_sel:WORD_0 src1_sel:DWORD
	v_cndmask_b32_e32 v1, v1, v3, vcc
; %bb.1370:                             ;   in Loop: Header=BB8_1361 Depth=3
	s_or_b64 exec, exec, s[94:95]
	v_lshlrev_b32_e32 v3, 16, v35
	v_lshlrev_b32_e32 v35, 16, v19
	v_max_f32_e32 v35, v35, v35
	v_max_f32_e32 v3, v3, v3
	v_min_f32_e32 v38, v3, v35
	v_max_f32_e32 v3, v3, v35
	v_cndmask_b32_e64 v3, v3, v38, s[28:29]
	v_and_b32_e32 v35, 0x7f800000, v3
	v_cmp_ne_u32_e32 vcc, s96, v35
                                        ; implicit-def: $vgpr35
	s_and_saveexec_b64 s[94:95], vcc
	s_xor_b64 s[94:95], exec, s[94:95]
; %bb.1371:                             ;   in Loop: Header=BB8_1361 Depth=3
	v_bfe_u32 v35, v3, 16, 1
	v_add3_u32 v35, v3, v35, s97
                                        ; implicit-def: $vgpr3
; %bb.1372:                             ;   in Loop: Header=BB8_1361 Depth=3
	s_andn2_saveexec_b64 s[94:95], s[94:95]
; %bb.1373:                             ;   in Loop: Header=BB8_1361 Depth=3
	v_or_b32_e32 v35, 0x10000, v3
	v_cmp_eq_u32_sdwa vcc, v3, v2 src0_sel:WORD_0 src1_sel:DWORD
	v_cndmask_b32_e32 v35, v35, v3, vcc
; %bb.1374:                             ;   in Loop: Header=BB8_1361 Depth=3
	s_or_b64 exec, exec, s[94:95]
	v_lshlrev_b32_e32 v3, 16, v32
	v_lshlrev_b32_e32 v32, 16, v20
	v_max_f32_e32 v32, v32, v32
	v_max_f32_e32 v3, v3, v3
	v_min_f32_e32 v38, v3, v32
	v_max_f32_e32 v3, v3, v32
	v_cndmask_b32_e64 v3, v3, v38, s[28:29]
	v_and_b32_e32 v32, 0x7f800000, v3
	v_cmp_ne_u32_e32 vcc, s96, v32
                                        ; implicit-def: $vgpr32
	s_and_saveexec_b64 s[94:95], vcc
	s_xor_b64 s[94:95], exec, s[94:95]
; %bb.1375:                             ;   in Loop: Header=BB8_1361 Depth=3
	v_bfe_u32 v32, v3, 16, 1
	v_add3_u32 v32, v3, v32, s97
                                        ; implicit-def: $vgpr3
; %bb.1376:                             ;   in Loop: Header=BB8_1361 Depth=3
	s_andn2_saveexec_b64 s[94:95], s[94:95]
; %bb.1377:                             ;   in Loop: Header=BB8_1361 Depth=3
	v_or_b32_e32 v32, 0x10000, v3
	v_cmp_eq_u32_sdwa vcc, v3, v2 src0_sel:WORD_0 src1_sel:DWORD
	v_cndmask_b32_e32 v32, v32, v3, vcc
; %bb.1378:                             ;   in Loop: Header=BB8_1361 Depth=3
	s_or_b64 exec, exec, s[94:95]
	v_lshlrev_b32_e32 v3, 16, v28
	v_lshlrev_b32_e32 v28, 16, v21
	v_max_f32_e32 v28, v28, v28
	v_max_f32_e32 v3, v3, v3
	v_min_f32_e32 v38, v3, v28
	v_max_f32_e32 v3, v3, v28
	v_cndmask_b32_e64 v28, v3, v38, s[28:29]
	v_and_b32_e32 v3, 0x7f800000, v28
	v_cmp_ne_u32_e32 vcc, s96, v3
                                        ; implicit-def: $vgpr3
	s_and_saveexec_b64 s[94:95], vcc
	s_xor_b64 s[94:95], exec, s[94:95]
; %bb.1379:                             ;   in Loop: Header=BB8_1361 Depth=3
	v_bfe_u32 v3, v28, 16, 1
	v_add3_u32 v3, v28, v3, s97
                                        ; implicit-def: $vgpr28
; %bb.1380:                             ;   in Loop: Header=BB8_1361 Depth=3
	s_andn2_saveexec_b64 s[94:95], s[94:95]
; %bb.1381:                             ;   in Loop: Header=BB8_1361 Depth=3
	v_or_b32_e32 v3, 0x10000, v28
	v_cmp_eq_u32_sdwa vcc, v28, v2 src0_sel:WORD_0 src1_sel:DWORD
	v_cndmask_b32_e32 v3, v3, v28, vcc
; %bb.1382:                             ;   in Loop: Header=BB8_1361 Depth=3
	s_or_b64 exec, exec, s[94:95]
	v_lshlrev_b32_e32 v27, 16, v27
	v_lshlrev_b32_e32 v28, 16, v22
	v_max_f32_e32 v28, v28, v28
	v_max_f32_e32 v27, v27, v27
	v_min_f32_e32 v38, v27, v28
	v_max_f32_e32 v27, v27, v28
	v_cndmask_b32_e64 v28, v27, v38, s[28:29]
	v_and_b32_e32 v27, 0x7f800000, v28
	v_cmp_ne_u32_e32 vcc, s96, v27
                                        ; implicit-def: $vgpr27
	s_and_saveexec_b64 s[94:95], vcc
	s_xor_b64 s[94:95], exec, s[94:95]
; %bb.1383:                             ;   in Loop: Header=BB8_1361 Depth=3
	v_bfe_u32 v27, v28, 16, 1
	v_add3_u32 v27, v28, v27, s97
                                        ; implicit-def: $vgpr28
; %bb.1384:                             ;   in Loop: Header=BB8_1361 Depth=3
	s_andn2_saveexec_b64 s[94:95], s[94:95]
; %bb.1385:                             ;   in Loop: Header=BB8_1361 Depth=3
	v_or_b32_e32 v27, 0x10000, v28
	v_cmp_eq_u32_sdwa vcc, v28, v2 src0_sel:WORD_0 src1_sel:DWORD
	v_cndmask_b32_e32 v27, v27, v28, vcc
; %bb.1386:                             ;   in Loop: Header=BB8_1361 Depth=3
	s_or_b64 exec, exec, s[94:95]
	v_lshlrev_b32_e32 v26, 16, v26
	v_lshlrev_b32_e32 v28, 16, v23
	v_max_f32_e32 v28, v28, v28
	v_max_f32_e32 v26, v26, v26
	v_min_f32_e32 v38, v26, v28
	v_max_f32_e32 v26, v26, v28
	v_cndmask_b32_e64 v28, v26, v38, s[28:29]
	v_and_b32_e32 v26, 0x7f800000, v28
	v_cmp_ne_u32_e32 vcc, s96, v26
                                        ; implicit-def: $vgpr26
	s_and_saveexec_b64 s[94:95], vcc
	s_xor_b64 s[94:95], exec, s[94:95]
; %bb.1387:                             ;   in Loop: Header=BB8_1361 Depth=3
	v_bfe_u32 v26, v28, 16, 1
	v_add3_u32 v26, v28, v26, s97
                                        ; implicit-def: $vgpr28
; %bb.1388:                             ;   in Loop: Header=BB8_1361 Depth=3
	s_andn2_saveexec_b64 s[94:95], s[94:95]
; %bb.1389:                             ;   in Loop: Header=BB8_1361 Depth=3
	v_or_b32_e32 v26, 0x10000, v28
	v_cmp_eq_u32_sdwa vcc, v28, v2 src0_sel:WORD_0 src1_sel:DWORD
	v_cndmask_b32_e32 v26, v26, v28, vcc
; %bb.1390:                             ;   in Loop: Header=BB8_1361 Depth=3
	s_or_b64 exec, exec, s[94:95]
	v_lshlrev_b32_e32 v25, 16, v25
	v_lshlrev_b32_e32 v28, 16, v24
	v_max_f32_e32 v28, v28, v28
	v_max_f32_e32 v25, v25, v25
	v_min_f32_e32 v38, v25, v28
	v_max_f32_e32 v25, v25, v28
	v_cndmask_b32_e64 v28, v25, v38, s[28:29]
	v_and_b32_e32 v25, 0x7f800000, v28
	v_cmp_ne_u32_e32 vcc, s96, v25
                                        ; implicit-def: $vgpr25
	s_and_saveexec_b64 s[94:95], vcc
	s_xor_b64 s[94:95], exec, s[94:95]
; %bb.1391:                             ;   in Loop: Header=BB8_1361 Depth=3
	v_bfe_u32 v25, v28, 16, 1
	v_add3_u32 v25, v28, v25, s97
                                        ; implicit-def: $vgpr28
; %bb.1392:                             ;   in Loop: Header=BB8_1361 Depth=3
	s_andn2_saveexec_b64 s[94:95], s[94:95]
; %bb.1393:                             ;   in Loop: Header=BB8_1361 Depth=3
	v_or_b32_e32 v25, 0x10000, v28
	v_cmp_eq_u32_sdwa vcc, v28, v2 src0_sel:WORD_0 src1_sel:DWORD
	v_cndmask_b32_e32 v25, v25, v28, vcc
; %bb.1394:                             ;   in Loop: Header=BB8_1361 Depth=3
	s_or_b64 exec, exec, s[94:95]
	v_lshrrev_b32_e32 v50, 16, v0
	v_lshrrev_b32_e32 v26, 16, v26
	;; [unrolled: 1-line block ×8, first 2 shown]
	flat_store_short v[8:9], v50 glc slc
	flat_store_short v[8:9], v38 offset:128 glc slc
	flat_store_short v[8:9], v35 offset:256 glc slc
	flat_store_short v[8:9], v32 offset:384 glc slc
	flat_store_short v[8:9], v28 offset:512 glc slc
	flat_store_short v[8:9], v27 offset:640 glc slc
	flat_store_short v[8:9], v26 offset:768 glc slc
	flat_store_short v[8:9], v25 offset:896 glc slc
	flat_store_short v[6:7], v50 glc slc
	flat_store_short v[6:7], v38 offset:128 glc slc
	flat_store_short v[6:7], v35 offset:256 glc slc
	;; [unrolled: 1-line block ×7, first 2 shown]
	buffer_load_dword v0, off, s[0:3], s33 offset:128 ; 4-byte Folded Reload
	v_mov_b32_e32 v1, v53
	s_waitcnt vmcnt(0)
	v_add_co_u32_e32 v8, vcc, v8, v0
	v_addc_co_u32_e32 v9, vcc, v9, v1, vcc
	v_add_co_u32_e32 v6, vcc, v6, v0
	v_addc_co_u32_e32 v7, vcc, v7, v1, vcc
.LBB8_1395:                             ;   in Loop: Header=BB8_1361 Depth=3
	s_or_b64 exec, exec, s[30:31]
	buffer_load_dword v0, off, s[0:3], s33 offset:128 ; 4-byte Folded Reload
	v_mov_b32_e32 v1, v53
	v_sub_u32_e32 v4, v4, v52
	v_cmp_lt_i32_e64 s[94:95], 0, v4
	s_waitcnt vmcnt(0)
	v_add_co_u32_e32 v10, vcc, v10, v0
	v_addc_co_u32_e32 v11, vcc, v11, v1, vcc
	v_add_co_u32_e32 v12, vcc, v12, v0
	v_addc_co_u32_e32 v13, vcc, v13, v1, vcc
	s_and_saveexec_b64 s[30:31], s[94:95]
	s_cbranch_execz .LBB8_1397
; %bb.1396:                             ;   in Loop: Header=BB8_1361 Depth=3
	flat_load_ushort v50, v[10:11] glc slc
	flat_load_ushort v38, v[10:11] offset:128 glc slc
	flat_load_ushort v35, v[10:11] offset:256 glc slc
	;; [unrolled: 1-line block ×7, first 2 shown]
	flat_load_ushort v17, v[12:13] glc slc
	flat_load_ushort v18, v[12:13] offset:128 glc slc
	flat_load_ushort v19, v[12:13] offset:256 glc slc
	;; [unrolled: 1-line block ×7, first 2 shown]
	v_add_co_u32_e32 v10, vcc, 0x400, v10
	v_addc_co_u32_e32 v11, vcc, 0, v11, vcc
	v_add_co_u32_e32 v12, vcc, 0x400, v12
	v_addc_co_u32_e32 v13, vcc, 0, v13, vcc
.LBB8_1397:                             ;   in Loop: Header=BB8_1361 Depth=3
	s_or_b64 exec, exec, s[30:31]
	s_waitcnt lgkmcnt(0)
	v_lshlrev_b32_e32 v0, 16, v61
	v_lshlrev_b32_e32 v1, 16, v42
	v_max_f32_e32 v1, v1, v1
	v_max_f32_e32 v0, v0, v0
	v_min_f32_e32 v3, v0, v1
	v_max_f32_e32 v0, v0, v1
	v_cndmask_b32_e64 v1, v0, v3, s[28:29]
	v_and_b32_e32 v0, 0x7f800000, v1
	v_cmp_ne_u32_e32 vcc, s96, v0
                                        ; implicit-def: $vgpr0
	s_and_saveexec_b64 s[30:31], vcc
	s_xor_b64 vcc, exec, s[30:31]
; %bb.1398:                             ;   in Loop: Header=BB8_1361 Depth=3
	v_bfe_u32 v0, v1, 16, 1
	v_add3_u32 v0, v1, v0, s97
                                        ; implicit-def: $vgpr1
; %bb.1399:                             ;   in Loop: Header=BB8_1361 Depth=3
	s_andn2_saveexec_b64 s[30:31], vcc
; %bb.1400:                             ;   in Loop: Header=BB8_1361 Depth=3
	v_or_b32_e32 v0, 0x10000, v1
	v_cmp_eq_u32_sdwa vcc, v1, v2 src0_sel:WORD_0 src1_sel:DWORD
	v_cndmask_b32_e32 v0, v0, v1, vcc
; %bb.1401:                             ;   in Loop: Header=BB8_1361 Depth=3
	s_or_b64 exec, exec, s[30:31]
	v_lshlrev_b32_e32 v1, 16, v59
	v_lshlrev_b32_e32 v3, 16, v60
	v_max_f32_e32 v3, v3, v3
	v_max_f32_e32 v1, v1, v1
	v_min_f32_e32 v42, v1, v3
	v_max_f32_e32 v1, v1, v3
	v_cndmask_b32_e64 v3, v1, v42, s[28:29]
	v_and_b32_e32 v1, 0x7f800000, v3
	v_cmp_ne_u32_e32 vcc, s96, v1
                                        ; implicit-def: $vgpr1
	s_and_saveexec_b64 s[30:31], vcc
	s_xor_b64 vcc, exec, s[30:31]
; %bb.1402:                             ;   in Loop: Header=BB8_1361 Depth=3
	v_bfe_u32 v1, v3, 16, 1
	v_add3_u32 v1, v3, v1, s97
                                        ; implicit-def: $vgpr3
; %bb.1403:                             ;   in Loop: Header=BB8_1361 Depth=3
	s_andn2_saveexec_b64 s[30:31], vcc
; %bb.1404:                             ;   in Loop: Header=BB8_1361 Depth=3
	v_or_b32_e32 v1, 0x10000, v3
	v_cmp_eq_u32_sdwa vcc, v3, v2 src0_sel:WORD_0 src1_sel:DWORD
	v_cndmask_b32_e32 v1, v1, v3, vcc
; %bb.1405:                             ;   in Loop: Header=BB8_1361 Depth=3
	s_or_b64 exec, exec, s[30:31]
	v_lshlrev_b32_e32 v3, 16, v43
	v_lshlrev_b32_e32 v42, 16, v45
	v_max_f32_e32 v42, v42, v42
	v_max_f32_e32 v3, v3, v3
	v_min_f32_e32 v43, v3, v42
	v_max_f32_e32 v3, v3, v42
	v_cndmask_b32_e64 v3, v3, v43, s[28:29]
	v_and_b32_e32 v42, 0x7f800000, v3
	v_cmp_ne_u32_e32 vcc, s96, v42
                                        ; implicit-def: $vgpr42
	s_and_saveexec_b64 s[30:31], vcc
	s_xor_b64 vcc, exec, s[30:31]
; %bb.1406:                             ;   in Loop: Header=BB8_1361 Depth=3
	v_bfe_u32 v42, v3, 16, 1
	v_add3_u32 v42, v3, v42, s97
                                        ; implicit-def: $vgpr3
; %bb.1407:                             ;   in Loop: Header=BB8_1361 Depth=3
	s_andn2_saveexec_b64 s[30:31], vcc
; %bb.1408:                             ;   in Loop: Header=BB8_1361 Depth=3
	v_or_b32_e32 v42, 0x10000, v3
	v_cmp_eq_u32_sdwa vcc, v3, v2 src0_sel:WORD_0 src1_sel:DWORD
	v_cndmask_b32_e32 v42, v42, v3, vcc
; %bb.1409:                             ;   in Loop: Header=BB8_1361 Depth=3
	s_or_b64 exec, exec, s[30:31]
	v_lshlrev_b32_e32 v3, 16, v51
	v_lshlrev_b32_e32 v51, 16, v44
	v_max_f32_e32 v51, v51, v51
	v_max_f32_e32 v3, v3, v3
	v_min_f32_e32 v43, v3, v51
	v_max_f32_e32 v3, v3, v51
	v_cndmask_b32_e64 v3, v3, v43, s[28:29]
	v_and_b32_e32 v51, 0x7f800000, v3
	v_cmp_ne_u32_e32 vcc, s96, v51
                                        ; implicit-def: $vgpr51
	s_and_saveexec_b64 s[30:31], vcc
	s_xor_b64 vcc, exec, s[30:31]
; %bb.1410:                             ;   in Loop: Header=BB8_1361 Depth=3
	v_bfe_u32 v51, v3, 16, 1
	v_add3_u32 v51, v3, v51, s97
                                        ; implicit-def: $vgpr3
; %bb.1411:                             ;   in Loop: Header=BB8_1361 Depth=3
	s_andn2_saveexec_b64 s[30:31], vcc
; %bb.1412:                             ;   in Loop: Header=BB8_1361 Depth=3
	v_or_b32_e32 v51, 0x10000, v3
	v_cmp_eq_u32_sdwa vcc, v3, v2 src0_sel:WORD_0 src1_sel:DWORD
	v_cndmask_b32_e32 v51, v51, v3, vcc
; %bb.1413:                             ;   in Loop: Header=BB8_1361 Depth=3
	s_or_b64 exec, exec, s[30:31]
	v_lshlrev_b32_e32 v3, 16, v48
	v_lshlrev_b32_e32 v48, 16, v49
	v_max_f32_e32 v48, v48, v48
	v_max_f32_e32 v3, v3, v3
	v_min_f32_e32 v49, v3, v48
	v_max_f32_e32 v3, v3, v48
	v_cndmask_b32_e64 v48, v3, v49, s[28:29]
	v_and_b32_e32 v3, 0x7f800000, v48
	v_cmp_ne_u32_e32 vcc, s96, v3
                                        ; implicit-def: $vgpr3
	s_and_saveexec_b64 s[30:31], vcc
	s_xor_b64 vcc, exec, s[30:31]
; %bb.1414:                             ;   in Loop: Header=BB8_1361 Depth=3
	v_bfe_u32 v3, v48, 16, 1
	v_add3_u32 v3, v48, v3, s97
                                        ; implicit-def: $vgpr48
; %bb.1415:                             ;   in Loop: Header=BB8_1361 Depth=3
	s_andn2_saveexec_b64 s[30:31], vcc
; %bb.1416:                             ;   in Loop: Header=BB8_1361 Depth=3
	v_or_b32_e32 v3, 0x10000, v48
	v_cmp_eq_u32_sdwa vcc, v48, v2 src0_sel:WORD_0 src1_sel:DWORD
	v_cndmask_b32_e32 v3, v3, v48, vcc
; %bb.1417:                             ;   in Loop: Header=BB8_1361 Depth=3
	s_or_b64 exec, exec, s[30:31]
	v_lshlrev_b32_e32 v37, 16, v37
	v_lshlrev_b32_e32 v39, 16, v39
	v_max_f32_e32 v39, v39, v39
	v_max_f32_e32 v37, v37, v37
	v_min_f32_e32 v48, v37, v39
	v_max_f32_e32 v37, v37, v39
	v_cndmask_b32_e64 v39, v37, v48, s[28:29]
	v_and_b32_e32 v37, 0x7f800000, v39
	v_cmp_ne_u32_e32 vcc, s96, v37
                                        ; implicit-def: $vgpr37
	s_and_saveexec_b64 s[30:31], vcc
	s_xor_b64 vcc, exec, s[30:31]
; %bb.1418:                             ;   in Loop: Header=BB8_1361 Depth=3
	v_bfe_u32 v37, v39, 16, 1
	v_add3_u32 v37, v39, v37, s97
                                        ; implicit-def: $vgpr39
; %bb.1419:                             ;   in Loop: Header=BB8_1361 Depth=3
	s_andn2_saveexec_b64 s[30:31], vcc
; %bb.1420:                             ;   in Loop: Header=BB8_1361 Depth=3
	v_or_b32_e32 v37, 0x10000, v39
	v_cmp_eq_u32_sdwa vcc, v39, v2 src0_sel:WORD_0 src1_sel:DWORD
	v_cndmask_b32_e32 v37, v37, v39, vcc
; %bb.1421:                             ;   in Loop: Header=BB8_1361 Depth=3
	s_or_b64 exec, exec, s[30:31]
	v_lshlrev_b32_e32 v34, 16, v34
	v_lshlrev_b32_e32 v36, 16, v36
	v_max_f32_e32 v36, v36, v36
	v_max_f32_e32 v34, v34, v34
	v_min_f32_e32 v39, v34, v36
	v_max_f32_e32 v34, v34, v36
	v_cndmask_b32_e64 v36, v34, v39, s[28:29]
	v_and_b32_e32 v34, 0x7f800000, v36
	v_cmp_ne_u32_e32 vcc, s96, v34
                                        ; implicit-def: $vgpr34
	s_and_saveexec_b64 s[30:31], vcc
	s_xor_b64 vcc, exec, s[30:31]
; %bb.1422:                             ;   in Loop: Header=BB8_1361 Depth=3
	v_bfe_u32 v34, v36, 16, 1
	v_add3_u32 v34, v36, v34, s97
                                        ; implicit-def: $vgpr36
; %bb.1423:                             ;   in Loop: Header=BB8_1361 Depth=3
	s_andn2_saveexec_b64 s[30:31], vcc
; %bb.1424:                             ;   in Loop: Header=BB8_1361 Depth=3
	v_or_b32_e32 v34, 0x10000, v36
	v_cmp_eq_u32_sdwa vcc, v36, v2 src0_sel:WORD_0 src1_sel:DWORD
	v_cndmask_b32_e32 v34, v34, v36, vcc
; %bb.1425:                             ;   in Loop: Header=BB8_1361 Depth=3
	s_or_b64 exec, exec, s[30:31]
	v_lshlrev_b32_e32 v29, 16, v29
	v_lshlrev_b32_e32 v33, 16, v33
	v_max_f32_e32 v33, v33, v33
	v_max_f32_e32 v29, v29, v29
	v_min_f32_e32 v36, v29, v33
	v_max_f32_e32 v29, v29, v33
	v_cndmask_b32_e64 v33, v29, v36, s[28:29]
	v_and_b32_e32 v29, 0x7f800000, v33
	v_cmp_ne_u32_e32 vcc, s96, v29
                                        ; implicit-def: $vgpr29
	s_and_saveexec_b64 s[30:31], vcc
	s_xor_b64 vcc, exec, s[30:31]
; %bb.1426:                             ;   in Loop: Header=BB8_1361 Depth=3
	v_bfe_u32 v29, v33, 16, 1
	v_add3_u32 v29, v33, v29, s97
                                        ; implicit-def: $vgpr33
; %bb.1427:                             ;   in Loop: Header=BB8_1361 Depth=3
	s_andn2_saveexec_b64 s[30:31], vcc
; %bb.1428:                             ;   in Loop: Header=BB8_1361 Depth=3
	v_or_b32_e32 v29, 0x10000, v33
	v_cmp_eq_u32_sdwa vcc, v33, v2 src0_sel:WORD_0 src1_sel:DWORD
	v_cndmask_b32_e32 v29, v29, v33, vcc
; %bb.1429:                             ;   in Loop: Header=BB8_1361 Depth=3
	s_or_b64 exec, exec, s[30:31]
	v_lshrrev_b32_e32 v0, 16, v0
	v_lshrrev_b32_e32 v33, 16, v34
	;; [unrolled: 1-line block ×8, first 2 shown]
	flat_store_short v[8:9], v0 glc slc
	flat_store_short v[8:9], v1 offset:128 glc slc
	flat_store_short v[8:9], v37 offset:256 glc slc
	;; [unrolled: 1-line block ×7, first 2 shown]
	v_add_co_u32_e32 v8, vcc, s55, v8
	v_addc_co_u32_e32 v9, vcc, 0, v9, vcc
	flat_store_short v[6:7], v0 glc slc
	flat_store_short v[6:7], v1 offset:128 glc slc
	flat_store_short v[6:7], v37 offset:256 glc slc
	;; [unrolled: 1-line block ×7, first 2 shown]
	v_add_co_u32_e32 v6, vcc, 0x400, v6
	v_addc_co_u32_e32 v7, vcc, 0, v7, vcc
	s_and_saveexec_b64 s[30:31], s[94:95]
	s_cbranch_execz .LBB8_1360
; %bb.1430:                             ;   in Loop: Header=BB8_1361 Depth=3
	v_add_co_u32_e32 v8, vcc, v8, v54
	v_addc_co_u32_e32 v9, vcc, v9, v55, vcc
	v_add_co_u32_e32 v6, vcc, v6, v54
	v_addc_co_u32_e32 v7, vcc, v7, v55, vcc
	;; [unrolled: 2-line block ×4, first 2 shown]
	v_sub_u32_e32 v4, v4, v52
	s_branch .LBB8_1360
.LBB8_1431:                             ;   in Loop: Header=BB8_955 Depth=2
	s_or_b64 exec, exec, s[92:93]
	s_waitcnt vmcnt(0)
	v_lshlrev_b32_e32 v13, 16, v27
	v_lshlrev_b32_e32 v0, 16, v26
	v_mov_b32_e32 v26, v57
	v_lshlrev_b32_e32 v1, 16, v50
	v_lshlrev_b32_e32 v36, 16, v17
	;; [unrolled: 1-line block ×14, first 2 shown]
	s_and_b64 s[28:29], s[42:43], exec
	v_mov_b32_e32 v27, v58
.LBB8_1432:                             ;   in Loop: Header=BB8_955 Depth=2
	s_or_b64 exec, exec, s[40:41]
	s_and_saveexec_b64 s[40:41], s[28:29]
	s_cbranch_execz .LBB8_1466
; %bb.1433:                             ;   in Loop: Header=BB8_955 Depth=2
	s_and_b32 s28, s46, 0xff
	s_cmp_eq_u32 s28, 0
	v_max_f32_e32 v21, v36, v36
	v_max_f32_e32 v1, v1, v1
	v_min_f32_e32 v22, v1, v21
	v_max_f32_e32 v1, v1, v21
	s_cselect_b64 vcc, -1, 0
	v_cndmask_b32_e32 v21, v1, v22, vcc
	v_and_b32_e32 v1, 0x7f800000, v21
	v_cmp_ne_u32_e64 s[28:29], s96, v1
                                        ; implicit-def: $vgpr1
	s_and_saveexec_b64 s[42:43], s[28:29]
	s_xor_b64 s[28:29], exec, s[42:43]
; %bb.1434:                             ;   in Loop: Header=BB8_955 Depth=2
	v_bfe_u32 v1, v21, 16, 1
	v_add3_u32 v1, v21, v1, s97
                                        ; implicit-def: $vgpr21
; %bb.1435:                             ;   in Loop: Header=BB8_955 Depth=2
	s_andn2_saveexec_b64 s[42:43], s[28:29]
; %bb.1436:                             ;   in Loop: Header=BB8_955 Depth=2
	v_or_b32_e32 v1, 0x10000, v21
	v_cmp_eq_u32_sdwa s[28:29], v21, v2 src0_sel:WORD_0 src1_sel:DWORD
	v_cndmask_b32_e64 v1, v1, v21, s[28:29]
; %bb.1437:                             ;   in Loop: Header=BB8_955 Depth=2
	s_or_b64 exec, exec, s[42:43]
	v_max_f32_e32 v18, v18, v18
	v_max_f32_e32 v21, v34, v34
	v_min_f32_e32 v22, v21, v18
	v_max_f32_e32 v18, v21, v18
	v_cndmask_b32_e32 v21, v18, v22, vcc
	v_and_b32_e32 v18, 0x7f800000, v21
	v_cmp_ne_u32_e64 s[28:29], s96, v18
                                        ; implicit-def: $vgpr18
	s_and_saveexec_b64 s[42:43], s[28:29]
	s_xor_b64 s[28:29], exec, s[42:43]
; %bb.1438:                             ;   in Loop: Header=BB8_955 Depth=2
	v_bfe_u32 v18, v21, 16, 1
	v_add3_u32 v18, v21, v18, s97
                                        ; implicit-def: $vgpr21
; %bb.1439:                             ;   in Loop: Header=BB8_955 Depth=2
	s_andn2_saveexec_b64 s[42:43], s[28:29]
; %bb.1440:                             ;   in Loop: Header=BB8_955 Depth=2
	v_or_b32_e32 v18, 0x10000, v21
	v_cmp_eq_u32_sdwa s[28:29], v21, v2 src0_sel:WORD_0 src1_sel:DWORD
	v_cndmask_b32_e64 v18, v18, v21, s[28:29]
; %bb.1441:                             ;   in Loop: Header=BB8_955 Depth=2
	s_or_b64 exec, exec, s[42:43]
	v_max_f32_e32 v3, v3, v3
	v_max_f32_e32 v21, v33, v33
	v_min_f32_e32 v22, v21, v3
	v_max_f32_e32 v3, v21, v3
	v_cndmask_b32_e32 v3, v3, v22, vcc
	v_and_b32_e32 v21, 0x7f800000, v3
	v_cmp_ne_u32_e64 s[28:29], s96, v21
                                        ; implicit-def: $vgpr21
	s_and_saveexec_b64 s[42:43], s[28:29]
	s_xor_b64 s[28:29], exec, s[42:43]
; %bb.1442:                             ;   in Loop: Header=BB8_955 Depth=2
	v_bfe_u32 v21, v3, 16, 1
	v_add3_u32 v21, v3, v21, s97
                                        ; implicit-def: $vgpr3
; %bb.1443:                             ;   in Loop: Header=BB8_955 Depth=2
	s_andn2_saveexec_b64 s[42:43], s[28:29]
; %bb.1444:                             ;   in Loop: Header=BB8_955 Depth=2
	v_or_b32_e32 v21, 0x10000, v3
	v_cmp_eq_u32_sdwa s[28:29], v3, v2 src0_sel:WORD_0 src1_sel:DWORD
	v_cndmask_b32_e64 v21, v21, v3, s[28:29]
; %bb.1445:                             ;   in Loop: Header=BB8_955 Depth=2
	s_or_b64 exec, exec, s[42:43]
	v_max_f32_e32 v3, v32, v32
	v_max_f32_e32 v22, v29, v29
	v_min_f32_e32 v23, v22, v3
	v_max_f32_e32 v3, v22, v3
	v_cndmask_b32_e32 v3, v3, v23, vcc
	v_and_b32_e32 v22, 0x7f800000, v3
	v_cmp_ne_u32_e64 s[28:29], s96, v22
                                        ; implicit-def: $vgpr22
	s_and_saveexec_b64 s[42:43], s[28:29]
	s_xor_b64 s[28:29], exec, s[42:43]
; %bb.1446:                             ;   in Loop: Header=BB8_955 Depth=2
	v_bfe_u32 v22, v3, 16, 1
	v_add3_u32 v22, v3, v22, s97
                                        ; implicit-def: $vgpr3
; %bb.1447:                             ;   in Loop: Header=BB8_955 Depth=2
	s_andn2_saveexec_b64 s[42:43], s[28:29]
; %bb.1448:                             ;   in Loop: Header=BB8_955 Depth=2
	v_or_b32_e32 v22, 0x10000, v3
	v_cmp_eq_u32_sdwa s[28:29], v3, v2 src0_sel:WORD_0 src1_sel:DWORD
	v_cndmask_b32_e64 v22, v22, v3, s[28:29]
; %bb.1449:                             ;   in Loop: Header=BB8_955 Depth=2
	s_or_b64 exec, exec, s[42:43]
	v_max_f32_e32 v3, v20, v20
	v_max_f32_e32 v19, v19, v19
	v_min_f32_e32 v20, v19, v3
	v_max_f32_e32 v3, v19, v3
	v_cndmask_b32_e32 v19, v3, v20, vcc
	v_and_b32_e32 v3, 0x7f800000, v19
	v_cmp_ne_u32_e64 s[28:29], s96, v3
                                        ; implicit-def: $vgpr3
	s_and_saveexec_b64 s[42:43], s[28:29]
	s_xor_b64 s[28:29], exec, s[42:43]
; %bb.1450:                             ;   in Loop: Header=BB8_955 Depth=2
	v_bfe_u32 v3, v19, 16, 1
	v_add3_u32 v3, v19, v3, s97
                                        ; implicit-def: $vgpr19
; %bb.1451:                             ;   in Loop: Header=BB8_955 Depth=2
	s_andn2_saveexec_b64 s[42:43], s[28:29]
; %bb.1452:                             ;   in Loop: Header=BB8_955 Depth=2
	v_or_b32_e32 v3, 0x10000, v19
	v_cmp_eq_u32_sdwa s[28:29], v19, v2 src0_sel:WORD_0 src1_sel:DWORD
	v_cndmask_b32_e64 v3, v3, v19, s[28:29]
; %bb.1453:                             ;   in Loop: Header=BB8_955 Depth=2
	s_or_b64 exec, exec, s[42:43]
	v_max_f32_e32 v17, v17, v17
	v_max_f32_e32 v13, v13, v13
	v_min_f32_e32 v19, v13, v17
	v_max_f32_e32 v13, v13, v17
	v_cndmask_b32_e32 v17, v13, v19, vcc
	v_and_b32_e32 v13, 0x7f800000, v17
	v_cmp_ne_u32_e64 s[28:29], s96, v13
                                        ; implicit-def: $vgpr13
	s_and_saveexec_b64 s[42:43], s[28:29]
	s_xor_b64 s[28:29], exec, s[42:43]
; %bb.1454:                             ;   in Loop: Header=BB8_955 Depth=2
	v_bfe_u32 v13, v17, 16, 1
	v_add3_u32 v13, v17, v13, s97
                                        ; implicit-def: $vgpr17
; %bb.1455:                             ;   in Loop: Header=BB8_955 Depth=2
	s_andn2_saveexec_b64 s[42:43], s[28:29]
; %bb.1456:                             ;   in Loop: Header=BB8_955 Depth=2
	v_or_b32_e32 v13, 0x10000, v17
	v_cmp_eq_u32_sdwa s[28:29], v17, v2 src0_sel:WORD_0 src1_sel:DWORD
	v_cndmask_b32_e64 v13, v13, v17, s[28:29]
; %bb.1457:                             ;   in Loop: Header=BB8_955 Depth=2
	s_or_b64 exec, exec, s[42:43]
	v_max_f32_e32 v12, v12, v12
	v_max_f32_e32 v0, v0, v0
	v_min_f32_e32 v17, v0, v12
	v_max_f32_e32 v0, v0, v12
	v_cndmask_b32_e32 v12, v0, v17, vcc
	v_and_b32_e32 v0, 0x7f800000, v12
	v_cmp_ne_u32_e64 s[28:29], s96, v0
                                        ; implicit-def: $vgpr0
	s_and_saveexec_b64 s[42:43], s[28:29]
	s_xor_b64 s[28:29], exec, s[42:43]
; %bb.1458:                             ;   in Loop: Header=BB8_955 Depth=2
	v_bfe_u32 v0, v12, 16, 1
	v_add3_u32 v0, v12, v0, s97
                                        ; implicit-def: $vgpr12
; %bb.1459:                             ;   in Loop: Header=BB8_955 Depth=2
	s_andn2_saveexec_b64 s[42:43], s[28:29]
; %bb.1460:                             ;   in Loop: Header=BB8_955 Depth=2
	v_or_b32_e32 v0, 0x10000, v12
	v_cmp_eq_u32_sdwa s[28:29], v12, v2 src0_sel:WORD_0 src1_sel:DWORD
	v_cndmask_b32_e64 v0, v0, v12, s[28:29]
; %bb.1461:                             ;   in Loop: Header=BB8_955 Depth=2
	s_or_b64 exec, exec, s[42:43]
	v_max_f32_e32 v11, v11, v11
	v_max_f32_e32 v10, v10, v10
	v_min_f32_e32 v12, v10, v11
	v_max_f32_e32 v10, v10, v11
	v_cndmask_b32_e32 v11, v10, v12, vcc
	v_and_b32_e32 v10, 0x7f800000, v11
	v_cmp_ne_u32_e32 vcc, s96, v10
                                        ; implicit-def: $vgpr10
	s_and_saveexec_b64 s[28:29], vcc
	s_xor_b64 s[28:29], exec, s[28:29]
; %bb.1462:                             ;   in Loop: Header=BB8_955 Depth=2
	v_bfe_u32 v10, v11, 16, 1
	v_add3_u32 v10, v11, v10, s97
                                        ; implicit-def: $vgpr11
; %bb.1463:                             ;   in Loop: Header=BB8_955 Depth=2
	s_andn2_saveexec_b64 s[28:29], s[28:29]
; %bb.1464:                             ;   in Loop: Header=BB8_955 Depth=2
	v_or_b32_e32 v10, 0x10000, v11
	v_cmp_eq_u32_sdwa vcc, v11, v2 src0_sel:WORD_0 src1_sel:DWORD
	v_cndmask_b32_e32 v10, v10, v11, vcc
; %bb.1465:                             ;   in Loop: Header=BB8_955 Depth=2
	s_or_b64 exec, exec, s[28:29]
	v_lshrrev_b32_e32 v1, 16, v1
	v_lshrrev_b32_e32 v0, 16, v0
	;; [unrolled: 1-line block ×8, first 2 shown]
	flat_store_short v[8:9], v1 glc slc
	flat_store_short v[8:9], v17 offset:128 glc slc
	flat_store_short v[8:9], v13 offset:256 glc slc
	;; [unrolled: 1-line block ×7, first 2 shown]
	flat_store_short v[6:7], v1 glc slc
	flat_store_short v[6:7], v17 offset:128 glc slc
	flat_store_short v[6:7], v13 offset:256 glc slc
	;; [unrolled: 1-line block ×7, first 2 shown]
.LBB8_1466:                             ;   in Loop: Header=BB8_955 Depth=2
	s_or_b64 exec, exec, s[40:41]
	v_lshlrev_b32_e32 v0, 10, v5
	v_cmp_ne_u32_e32 vcc, v15, v0
	s_and_b64 exec, exec, vcc
	s_cbranch_execz .LBB8_1498
; %bb.1467:                             ;   in Loop: Header=BB8_955 Depth=2
	v_lshlrev_b32_e32 v1, 6, v4
	v_sub_u32_e32 v1, v16, v1
	v_ashrrev_i32_e32 v3, 31, v1
	v_lshrrev_b32_e32 v3, 26, v3
	v_add_u32_e32 v3, v1, v3
	v_and_b32_e32 v4, 0x7fffffc0, v3
	v_sub_u32_e32 v1, v1, v4
	v_lshlrev_b32_e32 v3, 1, v3
	v_and_b32_e32 v3, 0xffffff80, v3
	v_lshlrev_b32_e32 v1, 1, v1
	v_add3_u32 v0, v3, v1, v0
	v_sub_u32_e32 v6, v15, v0
	v_cmp_lt_i32_e32 vcc, 1, v6
	s_and_b64 exec, exec, vcc
	s_cbranch_execz .LBB8_1498
; %bb.1468:                             ;   in Loop: Header=BB8_955 Depth=2
	s_trap 2
	ds_read_b64 v[9:10], v0
	v_add_u32_e32 v3, v0, v14
	buffer_load_dword v0, off, s[0:3], s33 offset:304 ; 4-byte Folded Reload
	buffer_load_dword v1, off, s[0:3], s33 offset:308 ; 4-byte Folded Reload
	;; [unrolled: 1-line block ×4, first 2 shown]
	v_ashrrev_i32_e32 v11, 31, v3
	s_and_b32 s28, s46, 0xff
	s_cmp_eq_u32 s28, 0
	s_mov_b64 s[30:31], 0
	s_mov_b64 s[92:93], 0
	s_cselect_b64 s[28:29], -1, 0
                                        ; implicit-def: $sgpr94_sgpr95
	s_waitcnt vmcnt(0)
	v_add_co_u32_e32 v4, vcc, v0, v3
	v_addc_co_u32_e32 v5, vcc, v1, v11, vcc
	v_add_co_u32_e32 v0, vcc, v26, v3
	v_addc_co_u32_e32 v1, vcc, v27, v11, vcc
	;; [unrolled: 2-line block ×3, first 2 shown]
	s_waitcnt lgkmcnt(0)
	v_add_co_u32_e32 v9, vcc, v9, v3
	v_addc_co_u32_e32 v10, vcc, v10, v11, vcc
	s_branch .LBB8_1470
.LBB8_1469:                             ;   in Loop: Header=BB8_1470 Depth=3
	s_or_b64 exec, exec, s[40:41]
	v_cmp_gt_i32_e32 vcc, 2, v6
	s_or_b64 s[92:93], vcc, s[92:93]
	s_andn2_b64 s[40:41], s[94:95], exec
	s_and_b64 s[42:43], s[30:31], exec
	s_or_b64 s[94:95], s[40:41], s[42:43]
	s_andn2_b64 exec, exec, s[92:93]
	s_cbranch_execz .LBB8_1491
.LBB8_1470:                             ;   Parent Loop BB8_47 Depth=1
                                        ;     Parent Loop BB8_955 Depth=2
                                        ; =>    This Loop Header: Depth=3
                                        ;         Child Loop BB8_1471 Depth 4
                                        ;         Child Loop BB8_1478 Depth 4
	;; [unrolled: 1-line block ×4, first 2 shown]
	s_lshr_b32 s46, s33, 6
	s_add_i32 s46, s46, 64
	s_mov_b64 s[42:43], -1
	s_mov_b64 s[34:35], 0
.LBB8_1471:                             ;   Parent Loop BB8_47 Depth=1
                                        ;     Parent Loop BB8_955 Depth=2
                                        ;       Parent Loop BB8_1470 Depth=3
                                        ; =>      This Inner Loop Header: Depth=4
	s_cmp_eq_u32 s34, 1
	s_cselect_b64 s[40:41], -1, 0
	v_cndmask_b32_e64 v12, v8, v10, s[40:41]
	v_cndmask_b32_e64 v11, v7, v9, s[40:41]
	flat_load_ushort v3, v[11:12] glc slc
	v_mov_b32_e32 v13, s46
	s_cmp_eq_u32 s34, 0
	s_mov_b64 s[34:35], 1
	s_waitcnt vmcnt(0) lgkmcnt(0)
	buffer_store_short v3, v13, s[0:3], 0 offen
	v_add_co_u32_e32 v3, vcc, 0x80, v11
	v_addc_co_u32_e32 v11, vcc, 0, v12, vcc
	s_cselect_b64 vcc, -1, 0
	s_lshr_b32 s46, s33, 6
	s_addk_i32 s46, 0x60
	v_cndmask_b32_e32 v8, v8, v11, vcc
	v_cndmask_b32_e32 v7, v7, v3, vcc
	v_cndmask_b32_e64 v10, v10, v11, s[40:41]
	v_cndmask_b32_e64 v9, v9, v3, s[40:41]
	s_and_b64 vcc, exec, s[42:43]
	s_mov_b64 s[42:43], 0
	s_cbranch_vccnz .LBB8_1471
; %bb.1472:                             ;   in Loop: Header=BB8_1470 Depth=3
	s_and_saveexec_b64 s[34:35], s[30:31]
	s_cbranch_execz .LBB8_1480
; %bb.1473:                             ;   in Loop: Header=BB8_1470 Depth=3
	buffer_load_ushort v3, off, s[0:3], s33 offset:56
	buffer_load_ushort v11, off, s[0:3], s33 offset:58
	s_waitcnt vmcnt(1)
	v_lshlrev_b32_e32 v3, 16, v3
	s_waitcnt vmcnt(0)
	v_lshlrev_b32_e32 v11, 16, v11
	v_max_f32_e32 v11, v11, v11
	v_max_f32_e32 v3, v3, v3
	v_min_f32_e32 v12, v3, v11
	v_max_f32_e32 v3, v3, v11
	v_cndmask_b32_e64 v3, v3, v12, s[28:29]
	v_and_b32_e32 v11, 0x7f800000, v3
	v_cmp_ne_u32_e32 vcc, s96, v11
                                        ; implicit-def: $vgpr11
	s_and_saveexec_b64 s[40:41], vcc
	s_xor_b64 s[40:41], exec, s[40:41]
; %bb.1474:                             ;   in Loop: Header=BB8_1470 Depth=3
	v_bfe_u32 v11, v3, 16, 1
	v_add3_u32 v11, v3, v11, s97
                                        ; implicit-def: $vgpr3
; %bb.1475:                             ;   in Loop: Header=BB8_1470 Depth=3
	s_andn2_saveexec_b64 s[40:41], s[40:41]
; %bb.1476:                             ;   in Loop: Header=BB8_1470 Depth=3
	v_or_b32_e32 v11, 0x10000, v3
	v_cmp_eq_u32_sdwa vcc, v3, v2 src0_sel:WORD_0 src1_sel:DWORD
	v_cndmask_b32_e32 v11, v11, v3, vcc
; %bb.1477:                             ;   in Loop: Header=BB8_1470 Depth=3
	s_or_b64 exec, exec, s[40:41]
	v_lshrrev_b32_e32 v3, 16, v11
	s_mov_b64 s[36:37], 0
	s_mov_b64 s[30:31], -1
	buffer_store_short v3, off, s[0:3], s33 offset:56
.LBB8_1478:                             ;   Parent Loop BB8_47 Depth=1
                                        ;     Parent Loop BB8_955 Depth=2
                                        ;       Parent Loop BB8_1470 Depth=3
                                        ; =>      This Inner Loop Header: Depth=4
	s_cmp_eq_u32 s36, 1
	s_cselect_b64 s[40:41], -1, 0
	v_cndmask_b32_e64 v12, v5, v1, s[40:41]
	v_cndmask_b32_e64 v11, v4, v0, s[40:41]
	flat_store_short v[11:12], v3 glc slc
	v_add_co_u32_e32 v11, vcc, 0x80, v11
	s_cmp_eq_u32 s36, 0
	v_addc_co_u32_e32 v12, vcc, 0, v12, vcc
	s_cselect_b64 vcc, -1, 0
	s_and_b64 s[42:43], exec, s[30:31]
	s_mov_b64 s[36:37], 1
	v_cndmask_b32_e64 v0, v0, v11, s[40:41]
	s_mov_b64 s[30:31], 0
	v_cndmask_b32_e64 v1, v1, v12, s[40:41]
	v_cndmask_b32_e32 v5, v5, v12, vcc
	v_cndmask_b32_e32 v4, v4, v11, vcc
	s_mov_b64 vcc, s[42:43]
	s_cbranch_vccnz .LBB8_1478
; %bb.1479:                             ;   in Loop: Header=BB8_1470 Depth=3
	buffer_load_dword v11, off, s[0:3], s33 offset:172 ; 4-byte Folded Reload
	buffer_load_dword v12, off, s[0:3], s33 offset:176 ; 4-byte Folded Reload
	s_waitcnt vmcnt(0)
	v_add_co_u32_e32 v4, vcc, v4, v11
	v_addc_co_u32_e32 v5, vcc, v5, v12, vcc
	v_add_co_u32_e32 v0, vcc, v0, v11
	v_addc_co_u32_e32 v1, vcc, v1, v12, vcc
.LBB8_1480:                             ;   in Loop: Header=BB8_1470 Depth=3
	s_or_b64 exec, exec, s[34:35]
	buffer_load_dword v11, off, s[0:3], s33 offset:172 ; 4-byte Folded Reload
	buffer_load_dword v12, off, s[0:3], s33 offset:176 ; 4-byte Folded Reload
	;; [unrolled: 1-line block ×3, first 2 shown]
	s_waitcnt vmcnt(0)
	v_add_co_u32_e32 v7, vcc, v7, v11
	v_addc_co_u32_e32 v8, vcc, v8, v12, vcc
	v_add_co_u32_e32 v9, vcc, v9, v11
	v_sub_u32_e32 v6, v6, v3
	v_addc_co_u32_e32 v10, vcc, v10, v12, vcc
	v_cmp_lt_i32_e64 s[30:31], 1, v6
	s_and_saveexec_b64 s[42:43], s[30:31]
	s_cbranch_execz .LBB8_1483
; %bb.1481:                             ;   in Loop: Header=BB8_1470 Depth=3
	s_lshr_b32 s46, s33, 6
	s_add_i32 s46, s46, 56
	s_mov_b64 s[36:37], 0
	s_mov_b64 s[34:35], -1
.LBB8_1482:                             ;   Parent Loop BB8_47 Depth=1
                                        ;     Parent Loop BB8_955 Depth=2
                                        ;       Parent Loop BB8_1470 Depth=3
                                        ; =>      This Inner Loop Header: Depth=4
	s_cmp_eq_u32 s36, 1
	s_cselect_b64 s[40:41], -1, 0
	v_cndmask_b32_e64 v12, v8, v10, s[40:41]
	v_cndmask_b32_e64 v11, v7, v9, s[40:41]
	flat_load_ushort v3, v[11:12] glc slc
	v_mov_b32_e32 v13, s46
	s_cmp_eq_u32 s36, 0
	s_mov_b64 s[36:37], 1
	s_waitcnt vmcnt(0) lgkmcnt(0)
	buffer_store_short v3, v13, s[0:3], 0 offen
	v_add_co_u32_e32 v3, vcc, 0x80, v11
	v_addc_co_u32_e32 v11, vcc, 0, v12, vcc
	s_cselect_b64 vcc, -1, 0
	s_lshr_b32 s46, s33, 6
	s_add_i32 s46, s46, 58
	v_cndmask_b32_e32 v8, v8, v11, vcc
	v_cndmask_b32_e32 v7, v7, v3, vcc
	v_cndmask_b32_e64 v10, v10, v11, s[40:41]
	v_cndmask_b32_e64 v9, v9, v3, s[40:41]
	s_and_b64 vcc, exec, s[34:35]
	s_mov_b64 s[34:35], 0
	s_cbranch_vccnz .LBB8_1482
.LBB8_1483:                             ;   in Loop: Header=BB8_1470 Depth=3
	s_or_b64 exec, exec, s[42:43]
	buffer_load_ushort v3, off, s[0:3], s33 offset:64
	buffer_load_ushort v11, off, s[0:3], s33 offset:96
	s_waitcnt vmcnt(0)
	v_lshlrev_b32_e32 v3, 16, v3
	v_lshlrev_b32_e32 v11, 16, v11
	v_max_f32_e32 v11, v11, v11
	v_max_f32_e32 v3, v3, v3
	v_min_f32_e32 v12, v3, v11
	v_max_f32_e32 v3, v3, v11
	v_cndmask_b32_e64 v3, v3, v12, s[28:29]
	v_and_b32_e32 v11, 0x7f800000, v3
	v_cmp_ne_u32_e32 vcc, s96, v11
                                        ; implicit-def: $vgpr11
	s_and_saveexec_b64 s[40:41], vcc
	s_xor_b64 s[40:41], exec, s[40:41]
; %bb.1484:                             ;   in Loop: Header=BB8_1470 Depth=3
	v_bfe_u32 v11, v3, 16, 1
	v_add3_u32 v11, v3, v11, s97
                                        ; implicit-def: $vgpr3
; %bb.1485:                             ;   in Loop: Header=BB8_1470 Depth=3
	s_andn2_saveexec_b64 s[40:41], s[40:41]
; %bb.1486:                             ;   in Loop: Header=BB8_1470 Depth=3
	v_or_b32_e32 v11, 0x10000, v3
	v_cmp_eq_u32_sdwa vcc, v3, v2 src0_sel:WORD_0 src1_sel:DWORD
	v_cndmask_b32_e32 v11, v11, v3, vcc
; %bb.1487:                             ;   in Loop: Header=BB8_1470 Depth=3
	s_or_b64 exec, exec, s[40:41]
	v_lshrrev_b32_e32 v3, 16, v11
	s_mov_b64 s[36:37], 0
	s_mov_b64 s[34:35], -1
	buffer_store_short v3, off, s[0:3], s33 offset:64
.LBB8_1488:                             ;   Parent Loop BB8_47 Depth=1
                                        ;     Parent Loop BB8_955 Depth=2
                                        ;       Parent Loop BB8_1470 Depth=3
                                        ; =>      This Inner Loop Header: Depth=4
	s_cmp_eq_u32 s36, 1
	s_cselect_b64 s[40:41], -1, 0
	v_cndmask_b32_e64 v12, v5, v1, s[40:41]
	v_cndmask_b32_e64 v11, v4, v0, s[40:41]
	flat_store_short v[11:12], v3 glc slc
	v_add_co_u32_e32 v11, vcc, 0x80, v11
	s_cmp_eq_u32 s36, 0
	v_addc_co_u32_e32 v12, vcc, 0, v12, vcc
	s_cselect_b64 vcc, -1, 0
	s_and_b64 s[42:43], exec, s[34:35]
	s_mov_b64 s[36:37], 1
	v_cndmask_b32_e64 v0, v0, v11, s[40:41]
	s_mov_b64 s[34:35], 0
	v_cndmask_b32_e64 v1, v1, v12, s[40:41]
	v_cndmask_b32_e32 v5, v5, v12, vcc
	v_cndmask_b32_e32 v4, v4, v11, vcc
	s_mov_b64 vcc, s[42:43]
	s_cbranch_vccnz .LBB8_1488
; %bb.1489:                             ;   in Loop: Header=BB8_1470 Depth=3
	s_and_saveexec_b64 s[40:41], s[30:31]
	s_cbranch_execz .LBB8_1469
; %bb.1490:                             ;   in Loop: Header=BB8_1470 Depth=3
	buffer_load_dword v11, off, s[0:3], s33 offset:172 ; 4-byte Folded Reload
	buffer_load_dword v12, off, s[0:3], s33 offset:176 ; 4-byte Folded Reload
	;; [unrolled: 1-line block ×3, first 2 shown]
	s_waitcnt vmcnt(0)
	v_add_co_u32_e32 v4, vcc, v4, v11
	v_addc_co_u32_e32 v5, vcc, v5, v12, vcc
	v_add_co_u32_e32 v0, vcc, v0, v11
	v_addc_co_u32_e32 v1, vcc, v1, v12, vcc
	v_add_co_u32_e32 v7, vcc, v7, v11
	v_addc_co_u32_e32 v8, vcc, v8, v12, vcc
	v_add_co_u32_e32 v9, vcc, v9, v11
	v_addc_co_u32_e32 v10, vcc, v10, v12, vcc
	v_sub_u32_e32 v6, v6, v3
	s_branch .LBB8_1469
.LBB8_1491:                             ;   in Loop: Header=BB8_955 Depth=2
	s_or_b64 exec, exec, s[92:93]
	s_and_b64 exec, exec, s[94:95]
	s_cbranch_execz .LBB8_1498
; %bb.1492:                             ;   in Loop: Header=BB8_955 Depth=2
	buffer_load_ushort v3, off, s[0:3], s33 offset:56
	buffer_load_ushort v6, off, s[0:3], s33 offset:58
	s_waitcnt vmcnt(0)
	v_lshlrev_b32_e32 v3, 16, v3
	v_lshlrev_b32_e32 v6, 16, v6
	v_max_f32_e32 v6, v6, v6
	v_max_f32_e32 v3, v3, v3
	v_min_f32_e32 v7, v3, v6
	v_max_f32_e32 v3, v3, v6
	v_cndmask_b32_e64 v3, v3, v7, s[28:29]
	v_and_b32_e32 v6, 0x7f800000, v3
	v_cmp_ne_u32_e32 vcc, s96, v6
                                        ; implicit-def: $vgpr6
	s_and_saveexec_b64 s[28:29], vcc
	s_xor_b64 s[28:29], exec, s[28:29]
; %bb.1493:                             ;   in Loop: Header=BB8_955 Depth=2
	v_bfe_u32 v6, v3, 16, 1
	v_add3_u32 v6, v3, v6, s97
                                        ; implicit-def: $vgpr3
; %bb.1494:                             ;   in Loop: Header=BB8_955 Depth=2
	s_andn2_saveexec_b64 s[28:29], s[28:29]
; %bb.1495:                             ;   in Loop: Header=BB8_955 Depth=2
	v_or_b32_e32 v6, 0x10000, v3
	v_cmp_eq_u32_sdwa vcc, v3, v2 src0_sel:WORD_0 src1_sel:DWORD
	v_cndmask_b32_e32 v6, v6, v3, vcc
; %bb.1496:                             ;   in Loop: Header=BB8_955 Depth=2
	s_or_b64 exec, exec, s[28:29]
	v_lshrrev_b32_e32 v3, 16, v6
	s_mov_b64 s[92:93], 0
	s_mov_b64 s[42:43], -1
.LBB8_1497:                             ;   Parent Loop BB8_47 Depth=1
                                        ;     Parent Loop BB8_955 Depth=2
                                        ; =>    This Inner Loop Header: Depth=3
	s_cmp_eq_u32 s92, 1
	s_cselect_b64 s[28:29], -1, 0
	v_cndmask_b32_e64 v7, v5, v1, s[28:29]
	v_cndmask_b32_e64 v6, v4, v0, s[28:29]
	flat_store_short v[6:7], v3 glc slc
	v_add_co_u32_e32 v6, vcc, 0x80, v6
	s_cmp_eq_u32 s92, 0
	v_addc_co_u32_e32 v7, vcc, 0, v7, vcc
	s_cselect_b64 vcc, -1, 0
	s_and_b64 s[40:41], exec, s[42:43]
	s_mov_b64 s[92:93], 1
	v_cndmask_b32_e64 v0, v0, v6, s[28:29]
	s_mov_b64 s[42:43], 0
	v_cndmask_b32_e64 v1, v1, v7, s[28:29]
	v_cndmask_b32_e32 v5, v5, v7, vcc
	v_cndmask_b32_e32 v4, v4, v6, vcc
	s_mov_b64 vcc, s[40:41]
	s_cbranch_vccnz .LBB8_1497
.LBB8_1498:                             ;   in Loop: Header=BB8_955 Depth=2
	s_or_b64 exec, exec, s[44:45]
	s_mov_b64 s[28:29], 0
.LBB8_1499:                             ;   in Loop: Header=BB8_955 Depth=2
	s_and_b64 vcc, exec, s[28:29]
	s_cbranch_vccz .LBB8_1958
; %bb.1500:                             ;   in Loop: Header=BB8_955 Depth=2
	s_mov_b64 s[28:29], -1
	s_and_saveexec_b64 s[40:41], s[22:23]
	s_cbranch_execz .LBB8_1502
; %bb.1501:                             ;   in Loop: Header=BB8_955 Depth=2
	s_waitcnt vmcnt(0)
	ds_read_b32 v0, v0 offset:720
	s_waitcnt lgkmcnt(0)
	v_and_b32_e32 v0, 15, v0
	v_cmp_eq_u32_e32 vcc, 0, v0
	s_orn2_b64 s[28:29], vcc, exec
.LBB8_1502:                             ;   in Loop: Header=BB8_955 Depth=2
	s_or_b64 exec, exec, s[40:41]
	s_and_saveexec_b64 s[40:41], s[18:19]
	s_cbranch_execz .LBB8_1504
; %bb.1503:                             ;   in Loop: Header=BB8_955 Depth=2
	s_waitcnt vmcnt(0)
	ds_read_b32 v0, v0 offset:784
	s_waitcnt lgkmcnt(0)
	v_and_b32_e32 v0, 15, v0
	v_cmp_eq_u32_e32 vcc, 0, v0
	s_and_b64 s[42:43], s[28:29], vcc
	s_andn2_b64 s[28:29], s[28:29], exec
	s_and_b64 s[42:43], s[42:43], exec
	s_or_b64 s[28:29], s[28:29], s[42:43]
.LBB8_1504:                             ;   in Loop: Header=BB8_955 Depth=2
	s_or_b64 exec, exec, s[40:41]
	s_xor_b64 s[28:29], s[28:29], -1
	s_waitcnt vmcnt(0)
	v_cndmask_b32_e64 v0, 0, 1, s[28:29]
	s_mov_b64 s[40:41], -1
	v_cmp_ne_u32_e32 vcc, 0, v0
	s_cbranch_vccz .LBB8_1641
; %bb.1505:                             ;   in Loop: Header=BB8_955 Depth=2
	s_and_b32 s46, s77, 1
	s_mov_b64 s[44:45], -1
	v_mov_b32_e32 v10, 0
	s_cbranch_execnz .LBB8_1642
.LBB8_1506:                             ;   in Loop: Header=BB8_955 Depth=2
	buffer_load_dword v1, off, s[0:3], s33 offset:292 ; 4-byte Folded Reload
	s_and_b32 s46, s77, 1
	s_mov_b64 s[28:29], 0
                                        ; implicit-def: $vgpr20_vgpr21
                                        ; implicit-def: $vgpr12_vgpr13
                                        ; implicit-def: $vgpr16_vgpr17
                                        ; implicit-def: $vgpr8_vgpr9
	s_waitcnt vmcnt(0)
	v_ashrrev_i32_e32 v0, 31, v1
	v_lshrrev_b32_e32 v0, 21, v0
	v_add_u32_e32 v0, v1, v0
	v_ashrrev_i32_e32 v58, 11, v0
	buffer_load_dword v0, off, s[0:3], s33 offset:272 ; 4-byte Folded Reload
	s_waitcnt vmcnt(0)
	v_sub_u32_e32 v5, v58, v0
	buffer_load_dword v0, off, s[0:3], s33 offset:264 ; 4-byte Folded Reload
	buffer_load_dword v3, off, s[0:3], s33 offset:304 ; 4-byte Folded Reload
	;; [unrolled: 1-line block ×3, first 2 shown]
	s_waitcnt vmcnt(0)
	v_add_co_u32_e32 v0, vcc, v3, v0
	v_addc_co_u32_e32 v1, vcc, 0, v4, vcc
	v_cmp_lt_i32_e32 vcc, 0, v5
	s_and_saveexec_b64 s[40:41], vcc
	s_cbranch_execz .LBB8_1644
; %bb.1507:                             ;   in Loop: Header=BB8_955 Depth=2
	s_trap 2
	ds_read_b64 v[3:4], v0
	buffer_load_dword v8, off, s[0:3], s33 offset:264 ; 4-byte Folded Reload
	buffer_load_dword v6, off, s[0:3], s33 offset:296 ; 4-byte Folded Reload
	;; [unrolled: 1-line block ×3, first 2 shown]
	s_and_b32 s28, 0xffff, s46
	s_cmp_eq_u32 s28, 0
	s_mov_b64 s[94:95], 0
	s_mov_b64 s[42:43], 0
	s_cselect_b64 s[28:29], -1, 0
                                        ; implicit-def: $sgpr92_sgpr93
                                        ; implicit-def: $vgpr20_vgpr21
                                        ; implicit-def: $vgpr12_vgpr13
                                        ; implicit-def: $vgpr16_vgpr17
	s_waitcnt vmcnt(0)
	v_add_co_u32_e32 v6, vcc, v6, v8
	v_addc_co_u32_e32 v7, vcc, 0, v7, vcc
	s_waitcnt lgkmcnt(0)
	v_add_co_u32_e32 v28, vcc, v3, v8
	v_addc_co_u32_e32 v29, vcc, 0, v4, vcc
                                        ; implicit-def: $vgpr8_vgpr9
	s_branch .LBB8_1509
.LBB8_1508:                             ;   in Loop: Header=BB8_1509 Depth=3
	s_or_b64 exec, exec, s[30:31]
	v_lshrrev_b32_e32 v33, 16, v48
	v_and_or_b32 v34, v37, s56, v33
	v_lshrrev_b32_e32 v33, 16, v43
	v_and_or_b32 v33, v36, s56, v33
	v_lshrrev_b32_e32 v35, 16, v49
	v_lshrrev_b32_e32 v36, 16, v50
	;; [unrolled: 1-line block ×4, first 2 shown]
	v_and_or_b32 v35, v38, s56, v35
	v_and_or_b32 v36, v39, s56, v36
	;; [unrolled: 1-line block ×3, first 2 shown]
	v_lshrrev_b32_e32 v32, 16, v51
	v_and_or_b32 v26, v26, s56, v3
	v_lshrrev_b32_e32 v3, 16, v4
	v_and_or_b32 v24, v24, s56, v32
	v_and_or_b32 v27, v27, s56, v3
	global_store_dwordx4 v[0:1], v[33:36], off glc slc
	global_store_dwordx4 v[0:1], v[24:27], off offset:1024 glc slc
	buffer_load_dword v24, off, s[0:3], s33 offset:160 ; 4-byte Folded Reload
	s_nop 0
	buffer_load_dword v25, off, s[0:3], s33 offset:164 ; 4-byte Folded Reload
	buffer_load_dword v26, off, s[0:3], s33 offset:144 ; 4-byte Folded Reload
	;; [unrolled: 1-line block ×3, first 2 shown]
	v_mov_b32_e32 v30, 0x800
	s_waitcnt vmcnt(3)
	v_add_co_u32_e32 v3, vcc, v6, v24
	s_waitcnt vmcnt(2)
	v_addc_co_u32_e32 v4, vcc, v7, v25, vcc
	v_add_co_u32_e32 v24, vcc, v28, v24
	v_addc_co_u32_e32 v25, vcc, v29, v25, vcc
	s_waitcnt vmcnt(0)
	v_cndmask_b32_e64 v27, v30, v27, s[94:95]
	v_cndmask_b32_e64 v26, 0, v26, s[94:95]
	v_add_co_u32_e32 v0, vcc, v0, v27
	v_cndmask_b32_e64 v6, v6, v3, s[94:95]
	v_cndmask_b32_e64 v3, 0, v52, s[94:95]
	v_addc_co_u32_e32 v1, vcc, v1, v26, vcc
	v_sub_u32_e32 v5, v5, v3
	v_cmp_gt_i32_e32 vcc, 1, v5
	s_or_b64 s[42:43], vcc, s[42:43]
	s_andn2_b64 s[92:93], s[92:93], exec
	s_and_b64 vcc, s[94:95], exec
	v_cndmask_b32_e64 v7, v7, v4, s[94:95]
	v_cndmask_b32_e64 v29, v29, v25, s[94:95]
	;; [unrolled: 1-line block ×3, first 2 shown]
	s_or_b64 s[92:93], s[92:93], vcc
	s_andn2_b64 exec, exec, s[42:43]
	s_cbranch_execz .LBB8_1643
.LBB8_1509:                             ;   Parent Loop BB8_47 Depth=1
                                        ;     Parent Loop BB8_955 Depth=2
                                        ; =>    This Inner Loop Header: Depth=3
	global_load_dwordx4 v[36:39], v[6:7], off glc slc
	global_load_dwordx4 v[24:27], v[6:7], off offset:1024 glc slc
	global_load_dwordx4 v[48:51], v[28:29], off glc slc
	global_load_dwordx4 v[32:35], v[28:29], off offset:1024 glc slc
	s_and_saveexec_b64 s[30:31], s[94:95]
	s_cbranch_execz .LBB8_1575
; %bb.1510:                             ;   in Loop: Header=BB8_1509 Depth=3
	v_lshlrev_b32_e32 v3, 16, v20
	v_lshlrev_b32_e32 v4, 16, v16
	v_max_f32_e32 v4, v4, v4
	v_max_f32_e32 v3, v3, v3
	v_min_f32_e32 v42, v3, v4
	v_max_f32_e32 v3, v3, v4
	v_cndmask_b32_e64 v3, v3, v42, s[28:29]
	v_and_b32_e32 v4, 0x7f800000, v3
	v_cmp_ne_u32_e32 vcc, s96, v4
                                        ; implicit-def: $vgpr44
	s_and_saveexec_b64 s[94:95], vcc
	s_xor_b64 s[94:95], exec, s[94:95]
; %bb.1511:                             ;   in Loop: Header=BB8_1509 Depth=3
	v_bfe_u32 v4, v3, 16, 1
	v_add3_u32 v44, v3, v4, s97
                                        ; implicit-def: $vgpr3
; %bb.1512:                             ;   in Loop: Header=BB8_1509 Depth=3
	s_andn2_saveexec_b64 s[94:95], s[94:95]
; %bb.1513:                             ;   in Loop: Header=BB8_1509 Depth=3
	v_or_b32_e32 v4, 0x10000, v3
	v_cmp_eq_u32_sdwa vcc, v3, v2 src0_sel:WORD_0 src1_sel:DWORD
	v_cndmask_b32_e32 v44, v4, v3, vcc
; %bb.1514:                             ;   in Loop: Header=BB8_1509 Depth=3
	s_or_b64 exec, exec, s[94:95]
	v_and_b32_e32 v3, 0xffff0000, v20
	v_and_b32_e32 v4, 0xffff0000, v16
	v_max_f32_e32 v4, v4, v4
	v_max_f32_e32 v3, v3, v3
	v_min_f32_e32 v20, v3, v4
	v_max_f32_e32 v3, v3, v4
	v_cndmask_b32_e64 v3, v3, v20, s[28:29]
	v_and_b32_e32 v4, 0x7f800000, v3
	v_cmp_ne_u32_e32 vcc, s96, v4
                                        ; implicit-def: $vgpr20
	s_and_saveexec_b64 s[94:95], vcc
	s_xor_b64 s[94:95], exec, s[94:95]
; %bb.1515:                             ;   in Loop: Header=BB8_1509 Depth=3
	v_bfe_u32 v4, v3, 16, 1
	v_add3_u32 v20, v3, v4, s97
                                        ; implicit-def: $vgpr3
; %bb.1516:                             ;   in Loop: Header=BB8_1509 Depth=3
	s_andn2_saveexec_b64 s[94:95], s[94:95]
; %bb.1517:                             ;   in Loop: Header=BB8_1509 Depth=3
	v_or_b32_e32 v4, 0x10000, v3
	v_cmp_eq_u32_sdwa vcc, v3, v2 src0_sel:WORD_0 src1_sel:DWORD
	v_cndmask_b32_e32 v20, v4, v3, vcc
; %bb.1518:                             ;   in Loop: Header=BB8_1509 Depth=3
	s_or_b64 exec, exec, s[94:95]
	v_lshlrev_b32_e32 v3, 16, v21
	v_lshlrev_b32_e32 v4, 16, v17
	v_max_f32_e32 v4, v4, v4
	v_max_f32_e32 v3, v3, v3
	v_min_f32_e32 v42, v3, v4
	v_max_f32_e32 v3, v3, v4
	v_cndmask_b32_e64 v3, v3, v42, s[28:29]
	v_and_b32_e32 v4, 0x7f800000, v3
	v_cmp_ne_u32_e32 vcc, s96, v4
                                        ; implicit-def: $vgpr43
	s_and_saveexec_b64 s[94:95], vcc
	s_xor_b64 s[94:95], exec, s[94:95]
; %bb.1519:                             ;   in Loop: Header=BB8_1509 Depth=3
	v_bfe_u32 v4, v3, 16, 1
	v_add3_u32 v43, v3, v4, s97
                                        ; implicit-def: $vgpr3
; %bb.1520:                             ;   in Loop: Header=BB8_1509 Depth=3
	s_andn2_saveexec_b64 s[94:95], s[94:95]
; %bb.1521:                             ;   in Loop: Header=BB8_1509 Depth=3
	v_or_b32_e32 v4, 0x10000, v3
	v_cmp_eq_u32_sdwa vcc, v3, v2 src0_sel:WORD_0 src1_sel:DWORD
	v_cndmask_b32_e32 v43, v4, v3, vcc
; %bb.1522:                             ;   in Loop: Header=BB8_1509 Depth=3
	s_or_b64 exec, exec, s[94:95]
	v_and_b32_e32 v3, 0xffff0000, v21
	v_and_b32_e32 v4, 0xffff0000, v17
	v_max_f32_e32 v4, v4, v4
	v_max_f32_e32 v3, v3, v3
	v_min_f32_e32 v21, v3, v4
	v_max_f32_e32 v3, v3, v4
	v_cndmask_b32_e64 v3, v3, v21, s[28:29]
	v_and_b32_e32 v4, 0x7f800000, v3
	v_cmp_ne_u32_e32 vcc, s96, v4
                                        ; implicit-def: $vgpr21
	s_and_saveexec_b64 s[94:95], vcc
	s_xor_b64 s[94:95], exec, s[94:95]
; %bb.1523:                             ;   in Loop: Header=BB8_1509 Depth=3
	v_bfe_u32 v4, v3, 16, 1
	v_add3_u32 v21, v3, v4, s97
                                        ; implicit-def: $vgpr3
; %bb.1524:                             ;   in Loop: Header=BB8_1509 Depth=3
	s_andn2_saveexec_b64 s[94:95], s[94:95]
; %bb.1525:                             ;   in Loop: Header=BB8_1509 Depth=3
	v_or_b32_e32 v4, 0x10000, v3
	v_cmp_eq_u32_sdwa vcc, v3, v2 src0_sel:WORD_0 src1_sel:DWORD
	v_cndmask_b32_e32 v21, v4, v3, vcc
; %bb.1526:                             ;   in Loop: Header=BB8_1509 Depth=3
	s_or_b64 exec, exec, s[94:95]
	v_lshlrev_b32_e32 v3, 16, v22
	v_lshlrev_b32_e32 v4, 16, v18
	v_max_f32_e32 v4, v4, v4
	v_max_f32_e32 v3, v3, v3
	v_min_f32_e32 v42, v3, v4
	v_max_f32_e32 v3, v3, v4
	v_cndmask_b32_e64 v3, v3, v42, s[28:29]
	v_and_b32_e32 v4, 0x7f800000, v3
	v_cmp_ne_u32_e32 vcc, s96, v4
                                        ; implicit-def: $vgpr42
	s_and_saveexec_b64 s[94:95], vcc
	s_xor_b64 s[94:95], exec, s[94:95]
; %bb.1527:                             ;   in Loop: Header=BB8_1509 Depth=3
	v_bfe_u32 v4, v3, 16, 1
	v_add3_u32 v42, v3, v4, s97
                                        ; implicit-def: $vgpr3
; %bb.1528:                             ;   in Loop: Header=BB8_1509 Depth=3
	s_andn2_saveexec_b64 s[94:95], s[94:95]
; %bb.1529:                             ;   in Loop: Header=BB8_1509 Depth=3
	v_or_b32_e32 v4, 0x10000, v3
	v_cmp_eq_u32_sdwa vcc, v3, v2 src0_sel:WORD_0 src1_sel:DWORD
	v_cndmask_b32_e32 v42, v4, v3, vcc
; %bb.1530:                             ;   in Loop: Header=BB8_1509 Depth=3
	s_or_b64 exec, exec, s[94:95]
	v_and_b32_e32 v3, 0xffff0000, v22
	v_and_b32_e32 v4, 0xffff0000, v18
	v_max_f32_e32 v4, v4, v4
	v_max_f32_e32 v3, v3, v3
	v_min_f32_e32 v22, v3, v4
	v_max_f32_e32 v3, v3, v4
	v_cndmask_b32_e64 v3, v3, v22, s[28:29]
	v_and_b32_e32 v4, 0x7f800000, v3
	v_cmp_ne_u32_e32 vcc, s96, v4
                                        ; implicit-def: $vgpr22
	s_and_saveexec_b64 s[94:95], vcc
	s_xor_b64 s[94:95], exec, s[94:95]
; %bb.1531:                             ;   in Loop: Header=BB8_1509 Depth=3
	v_bfe_u32 v4, v3, 16, 1
	v_add3_u32 v22, v3, v4, s97
                                        ; implicit-def: $vgpr3
; %bb.1532:                             ;   in Loop: Header=BB8_1509 Depth=3
	s_andn2_saveexec_b64 s[94:95], s[94:95]
; %bb.1533:                             ;   in Loop: Header=BB8_1509 Depth=3
	v_or_b32_e32 v4, 0x10000, v3
	v_cmp_eq_u32_sdwa vcc, v3, v2 src0_sel:WORD_0 src1_sel:DWORD
	v_cndmask_b32_e32 v22, v4, v3, vcc
; %bb.1534:                             ;   in Loop: Header=BB8_1509 Depth=3
	s_or_b64 exec, exec, s[94:95]
	v_lshlrev_b32_e32 v3, 16, v23
	v_lshlrev_b32_e32 v4, 16, v19
	v_max_f32_e32 v4, v4, v4
	v_max_f32_e32 v3, v3, v3
	v_min_f32_e32 v45, v3, v4
	v_max_f32_e32 v3, v3, v4
	v_cndmask_b32_e64 v3, v3, v45, s[28:29]
	v_and_b32_e32 v4, 0x7f800000, v3
	v_cmp_ne_u32_e32 vcc, s96, v4
                                        ; implicit-def: $vgpr45
	s_and_saveexec_b64 s[94:95], vcc
	s_xor_b64 s[94:95], exec, s[94:95]
; %bb.1535:                             ;   in Loop: Header=BB8_1509 Depth=3
	v_bfe_u32 v4, v3, 16, 1
	v_add3_u32 v45, v3, v4, s97
                                        ; implicit-def: $vgpr3
; %bb.1536:                             ;   in Loop: Header=BB8_1509 Depth=3
	s_andn2_saveexec_b64 s[94:95], s[94:95]
; %bb.1537:                             ;   in Loop: Header=BB8_1509 Depth=3
	v_or_b32_e32 v4, 0x10000, v3
	v_cmp_eq_u32_sdwa vcc, v3, v2 src0_sel:WORD_0 src1_sel:DWORD
	v_cndmask_b32_e32 v45, v4, v3, vcc
; %bb.1538:                             ;   in Loop: Header=BB8_1509 Depth=3
	s_or_b64 exec, exec, s[94:95]
	v_and_b32_e32 v3, 0xffff0000, v23
	v_and_b32_e32 v4, 0xffff0000, v19
	v_max_f32_e32 v4, v4, v4
	v_max_f32_e32 v3, v3, v3
	v_min_f32_e32 v23, v3, v4
	v_max_f32_e32 v3, v3, v4
	v_cndmask_b32_e64 v3, v3, v23, s[28:29]
	v_and_b32_e32 v4, 0x7f800000, v3
	v_cmp_ne_u32_e32 vcc, s96, v4
                                        ; implicit-def: $vgpr23
	s_and_saveexec_b64 s[94:95], vcc
	s_xor_b64 s[94:95], exec, s[94:95]
; %bb.1539:                             ;   in Loop: Header=BB8_1509 Depth=3
	v_bfe_u32 v4, v3, 16, 1
	v_add3_u32 v23, v3, v4, s97
                                        ; implicit-def: $vgpr3
; %bb.1540:                             ;   in Loop: Header=BB8_1509 Depth=3
	s_andn2_saveexec_b64 s[94:95], s[94:95]
; %bb.1541:                             ;   in Loop: Header=BB8_1509 Depth=3
	v_or_b32_e32 v4, 0x10000, v3
	v_cmp_eq_u32_sdwa vcc, v3, v2 src0_sel:WORD_0 src1_sel:DWORD
	v_cndmask_b32_e32 v23, v4, v3, vcc
; %bb.1542:                             ;   in Loop: Header=BB8_1509 Depth=3
	s_or_b64 exec, exec, s[94:95]
	v_lshlrev_b32_e32 v3, 16, v12
	v_lshlrev_b32_e32 v4, 16, v8
	v_max_f32_e32 v4, v4, v4
	v_max_f32_e32 v3, v3, v3
	v_min_f32_e32 v57, v3, v4
	v_max_f32_e32 v3, v3, v4
	v_cndmask_b32_e64 v3, v3, v57, s[28:29]
	v_and_b32_e32 v4, 0x7f800000, v3
	v_cmp_ne_u32_e32 vcc, s96, v4
                                        ; implicit-def: $vgpr59
	s_and_saveexec_b64 s[94:95], vcc
	s_xor_b64 s[94:95], exec, s[94:95]
; %bb.1543:                             ;   in Loop: Header=BB8_1509 Depth=3
	v_bfe_u32 v4, v3, 16, 1
	v_add3_u32 v59, v3, v4, s97
                                        ; implicit-def: $vgpr3
; %bb.1544:                             ;   in Loop: Header=BB8_1509 Depth=3
	s_andn2_saveexec_b64 s[94:95], s[94:95]
; %bb.1545:                             ;   in Loop: Header=BB8_1509 Depth=3
	v_or_b32_e32 v4, 0x10000, v3
	v_cmp_eq_u32_sdwa vcc, v3, v2 src0_sel:WORD_0 src1_sel:DWORD
	v_cndmask_b32_e32 v59, v4, v3, vcc
; %bb.1546:                             ;   in Loop: Header=BB8_1509 Depth=3
	s_or_b64 exec, exec, s[94:95]
	v_and_b32_e32 v3, 0xffff0000, v12
	v_and_b32_e32 v4, 0xffff0000, v8
	v_max_f32_e32 v4, v4, v4
	v_max_f32_e32 v3, v3, v3
	v_min_f32_e32 v12, v3, v4
	v_max_f32_e32 v3, v3, v4
	v_cndmask_b32_e64 v3, v3, v12, s[28:29]
	v_and_b32_e32 v4, 0x7f800000, v3
	v_cmp_ne_u32_e32 vcc, s96, v4
                                        ; implicit-def: $vgpr12
	s_and_saveexec_b64 s[94:95], vcc
	s_xor_b64 s[94:95], exec, s[94:95]
; %bb.1547:                             ;   in Loop: Header=BB8_1509 Depth=3
	v_bfe_u32 v4, v3, 16, 1
	v_add3_u32 v12, v3, v4, s97
                                        ; implicit-def: $vgpr3
; %bb.1548:                             ;   in Loop: Header=BB8_1509 Depth=3
	s_andn2_saveexec_b64 s[94:95], s[94:95]
; %bb.1549:                             ;   in Loop: Header=BB8_1509 Depth=3
	v_or_b32_e32 v4, 0x10000, v3
	v_cmp_eq_u32_sdwa vcc, v3, v2 src0_sel:WORD_0 src1_sel:DWORD
	v_cndmask_b32_e32 v12, v4, v3, vcc
; %bb.1550:                             ;   in Loop: Header=BB8_1509 Depth=3
	s_or_b64 exec, exec, s[94:95]
	v_lshlrev_b32_e32 v3, 16, v13
	v_lshlrev_b32_e32 v4, 16, v9
	v_max_f32_e32 v4, v4, v4
	v_max_f32_e32 v3, v3, v3
	v_min_f32_e32 v57, v3, v4
	v_max_f32_e32 v3, v3, v4
	v_cndmask_b32_e64 v3, v3, v57, s[28:29]
	v_and_b32_e32 v4, 0x7f800000, v3
	v_cmp_ne_u32_e32 vcc, s96, v4
                                        ; implicit-def: $vgpr60
	s_and_saveexec_b64 s[94:95], vcc
	s_xor_b64 s[94:95], exec, s[94:95]
; %bb.1551:                             ;   in Loop: Header=BB8_1509 Depth=3
	v_bfe_u32 v4, v3, 16, 1
	v_add3_u32 v60, v3, v4, s97
                                        ; implicit-def: $vgpr3
; %bb.1552:                             ;   in Loop: Header=BB8_1509 Depth=3
	s_andn2_saveexec_b64 s[94:95], s[94:95]
; %bb.1553:                             ;   in Loop: Header=BB8_1509 Depth=3
	v_or_b32_e32 v4, 0x10000, v3
	v_cmp_eq_u32_sdwa vcc, v3, v2 src0_sel:WORD_0 src1_sel:DWORD
	v_cndmask_b32_e32 v60, v4, v3, vcc
; %bb.1554:                             ;   in Loop: Header=BB8_1509 Depth=3
	s_or_b64 exec, exec, s[94:95]
	v_and_b32_e32 v3, 0xffff0000, v13
	v_and_b32_e32 v4, 0xffff0000, v9
	v_max_f32_e32 v4, v4, v4
	v_max_f32_e32 v3, v3, v3
	v_min_f32_e32 v13, v3, v4
	v_max_f32_e32 v3, v3, v4
	v_cndmask_b32_e64 v3, v3, v13, s[28:29]
	v_and_b32_e32 v4, 0x7f800000, v3
	v_cmp_ne_u32_e32 vcc, s96, v4
                                        ; implicit-def: $vgpr13
	s_and_saveexec_b64 s[94:95], vcc
	s_xor_b64 s[94:95], exec, s[94:95]
; %bb.1555:                             ;   in Loop: Header=BB8_1509 Depth=3
	v_bfe_u32 v4, v3, 16, 1
	v_add3_u32 v13, v3, v4, s97
                                        ; implicit-def: $vgpr3
; %bb.1556:                             ;   in Loop: Header=BB8_1509 Depth=3
	s_andn2_saveexec_b64 s[94:95], s[94:95]
; %bb.1557:                             ;   in Loop: Header=BB8_1509 Depth=3
	v_or_b32_e32 v4, 0x10000, v3
	v_cmp_eq_u32_sdwa vcc, v3, v2 src0_sel:WORD_0 src1_sel:DWORD
	v_cndmask_b32_e32 v13, v4, v3, vcc
; %bb.1558:                             ;   in Loop: Header=BB8_1509 Depth=3
	s_or_b64 exec, exec, s[94:95]
	v_lshlrev_b32_e32 v3, 16, v14
	v_lshlrev_b32_e32 v4, 16, v10
	v_max_f32_e32 v4, v4, v4
	v_max_f32_e32 v3, v3, v3
	v_min_f32_e32 v57, v3, v4
	v_max_f32_e32 v3, v3, v4
	v_cndmask_b32_e64 v3, v3, v57, s[28:29]
	v_and_b32_e32 v4, 0x7f800000, v3
	v_cmp_ne_u32_e32 vcc, s96, v4
                                        ; implicit-def: $vgpr61
	s_and_saveexec_b64 s[94:95], vcc
	s_xor_b64 s[94:95], exec, s[94:95]
; %bb.1559:                             ;   in Loop: Header=BB8_1509 Depth=3
	v_bfe_u32 v4, v3, 16, 1
	v_add3_u32 v61, v3, v4, s97
                                        ; implicit-def: $vgpr3
; %bb.1560:                             ;   in Loop: Header=BB8_1509 Depth=3
	s_andn2_saveexec_b64 s[94:95], s[94:95]
; %bb.1561:                             ;   in Loop: Header=BB8_1509 Depth=3
	v_or_b32_e32 v4, 0x10000, v3
	v_cmp_eq_u32_sdwa vcc, v3, v2 src0_sel:WORD_0 src1_sel:DWORD
	v_cndmask_b32_e32 v61, v4, v3, vcc
; %bb.1562:                             ;   in Loop: Header=BB8_1509 Depth=3
	s_or_b64 exec, exec, s[94:95]
	v_and_b32_e32 v3, 0xffff0000, v14
	v_and_b32_e32 v4, 0xffff0000, v10
	v_max_f32_e32 v4, v4, v4
	v_max_f32_e32 v3, v3, v3
	v_min_f32_e32 v14, v3, v4
	v_max_f32_e32 v3, v3, v4
	v_cndmask_b32_e64 v4, v3, v14, s[28:29]
	v_and_b32_e32 v3, 0x7f800000, v4
	v_cmp_ne_u32_e32 vcc, s96, v3
                                        ; implicit-def: $vgpr3
	s_and_saveexec_b64 s[94:95], vcc
	s_xor_b64 s[94:95], exec, s[94:95]
; %bb.1563:                             ;   in Loop: Header=BB8_1509 Depth=3
	v_bfe_u32 v3, v4, 16, 1
	v_add3_u32 v3, v4, v3, s97
                                        ; implicit-def: $vgpr4
; %bb.1564:                             ;   in Loop: Header=BB8_1509 Depth=3
	s_andn2_saveexec_b64 s[94:95], s[94:95]
; %bb.1565:                             ;   in Loop: Header=BB8_1509 Depth=3
	v_or_b32_e32 v3, 0x10000, v4
	v_cmp_eq_u32_sdwa vcc, v4, v2 src0_sel:WORD_0 src1_sel:DWORD
	v_cndmask_b32_e32 v3, v3, v4, vcc
; %bb.1566:                             ;   in Loop: Header=BB8_1509 Depth=3
	s_or_b64 exec, exec, s[94:95]
	v_lshlrev_b32_e32 v4, 16, v15
	v_lshlrev_b32_e32 v14, 16, v11
	v_max_f32_e32 v14, v14, v14
	v_max_f32_e32 v4, v4, v4
	v_min_f32_e32 v57, v4, v14
	v_max_f32_e32 v4, v4, v14
	v_cndmask_b32_e64 v14, v4, v57, s[28:29]
	v_and_b32_e32 v4, 0x7f800000, v14
	v_cmp_ne_u32_e32 vcc, s96, v4
                                        ; implicit-def: $vgpr4
	s_and_saveexec_b64 s[94:95], vcc
	s_xor_b64 s[94:95], exec, s[94:95]
; %bb.1567:                             ;   in Loop: Header=BB8_1509 Depth=3
	v_bfe_u32 v4, v14, 16, 1
	v_add3_u32 v4, v14, v4, s97
                                        ; implicit-def: $vgpr14
; %bb.1568:                             ;   in Loop: Header=BB8_1509 Depth=3
	s_andn2_saveexec_b64 s[94:95], s[94:95]
; %bb.1569:                             ;   in Loop: Header=BB8_1509 Depth=3
	v_or_b32_e32 v4, 0x10000, v14
	v_cmp_eq_u32_sdwa vcc, v14, v2 src0_sel:WORD_0 src1_sel:DWORD
	v_cndmask_b32_e32 v4, v4, v14, vcc
; %bb.1570:                             ;   in Loop: Header=BB8_1509 Depth=3
	s_or_b64 exec, exec, s[94:95]
	v_and_b32_e32 v14, 0xffff0000, v15
	v_and_b32_e32 v15, 0xffff0000, v11
	v_max_f32_e32 v15, v15, v15
	v_max_f32_e32 v14, v14, v14
	v_min_f32_e32 v57, v14, v15
	v_max_f32_e32 v14, v14, v15
	v_cndmask_b32_e64 v14, v14, v57, s[28:29]
	v_and_b32_e32 v15, 0x7f800000, v14
	v_cmp_ne_u32_e32 vcc, s96, v15
                                        ; implicit-def: $vgpr15
	s_and_saveexec_b64 s[94:95], vcc
	s_xor_b64 s[94:95], exec, s[94:95]
; %bb.1571:                             ;   in Loop: Header=BB8_1509 Depth=3
	v_bfe_u32 v15, v14, 16, 1
	v_add3_u32 v15, v14, v15, s97
                                        ; implicit-def: $vgpr14
; %bb.1572:                             ;   in Loop: Header=BB8_1509 Depth=3
	s_andn2_saveexec_b64 s[94:95], s[94:95]
; %bb.1573:                             ;   in Loop: Header=BB8_1509 Depth=3
	v_or_b32_e32 v15, 0x10000, v14
	v_cmp_eq_u32_sdwa vcc, v14, v2 src0_sel:WORD_0 src1_sel:DWORD
	v_cndmask_b32_e32 v15, v15, v14, vcc
; %bb.1574:                             ;   in Loop: Header=BB8_1509 Depth=3
	s_or_b64 exec, exec, s[94:95]
	v_lshrrev_b32_e32 v14, 16, v43
	v_and_or_b32 v21, v21, s56, v14
	v_lshrrev_b32_e32 v14, 16, v44
	v_and_or_b32 v20, v20, s56, v14
	;; [unrolled: 2-line block ×8, first 2 shown]
	global_store_dwordx4 v[0:1], v[20:23], off glc slc
	global_store_dwordx4 v[0:1], v[12:15], off offset:1024 glc slc
	buffer_load_dword v3, off, s[0:3], s33 offset:140 ; 4-byte Folded Reload
	s_waitcnt vmcnt(0)
	v_add_co_u32_e32 v0, vcc, v0, v3
	buffer_load_dword v3, off, s[0:3], s33 offset:144 ; 4-byte Folded Reload
	s_waitcnt vmcnt(0)
	v_addc_co_u32_e32 v1, vcc, v1, v3, vcc
.LBB8_1575:                             ;   in Loop: Header=BB8_1509 Depth=3
	s_or_b64 exec, exec, s[30:31]
	buffer_load_dword v3, off, s[0:3], s33 offset:140 ; 4-byte Folded Reload
	buffer_load_dword v4, off, s[0:3], s33 offset:144 ; 4-byte Folded Reload
	v_sub_u32_e32 v5, v5, v52
	v_cmp_lt_i32_e64 s[94:95], 0, v5
	s_waitcnt vmcnt(1)
	v_add_co_u32_e32 v6, vcc, v6, v3
	s_waitcnt vmcnt(0)
	v_addc_co_u32_e32 v7, vcc, v7, v4, vcc
	v_add_co_u32_e32 v28, vcc, v28, v3
	v_addc_co_u32_e32 v29, vcc, v29, v4, vcc
	s_and_saveexec_b64 s[30:31], s[94:95]
	s_cbranch_execz .LBB8_1577
; %bb.1576:                             ;   in Loop: Header=BB8_1509 Depth=3
	global_load_dwordx4 v[20:23], v[6:7], off glc slc
	global_load_dwordx4 v[12:15], v[6:7], off offset:1024 glc slc
	global_load_dwordx4 v[16:19], v[28:29], off glc slc
	global_load_dwordx4 v[8:11], v[28:29], off offset:1024 glc slc
	v_add_co_u32_e32 v6, vcc, 0x800, v6
	v_addc_co_u32_e32 v7, vcc, 0, v7, vcc
	v_add_co_u32_e32 v28, vcc, 0x800, v28
	v_addc_co_u32_e32 v29, vcc, 0, v29, vcc
.LBB8_1577:                             ;   in Loop: Header=BB8_1509 Depth=3
	s_or_b64 exec, exec, s[30:31]
	v_lshlrev_b32_e32 v3, 16, v36
	v_lshlrev_b32_e32 v4, 16, v48
	v_max_f32_e32 v4, v4, v4
	v_max_f32_e32 v3, v3, v3
	v_min_f32_e32 v42, v3, v4
	v_max_f32_e32 v3, v3, v4
	v_cndmask_b32_e64 v3, v3, v42, s[28:29]
	v_and_b32_e32 v4, 0x7f800000, v3
	v_cmp_ne_u32_e32 vcc, s96, v4
                                        ; implicit-def: $vgpr43
	s_and_saveexec_b64 s[30:31], vcc
	s_xor_b64 vcc, exec, s[30:31]
; %bb.1578:                             ;   in Loop: Header=BB8_1509 Depth=3
	v_bfe_u32 v4, v3, 16, 1
	v_add3_u32 v43, v3, v4, s97
                                        ; implicit-def: $vgpr3
; %bb.1579:                             ;   in Loop: Header=BB8_1509 Depth=3
	s_andn2_saveexec_b64 s[30:31], vcc
; %bb.1580:                             ;   in Loop: Header=BB8_1509 Depth=3
	v_or_b32_e32 v4, 0x10000, v3
	v_cmp_eq_u32_sdwa vcc, v3, v2 src0_sel:WORD_0 src1_sel:DWORD
	v_cndmask_b32_e32 v43, v4, v3, vcc
; %bb.1581:                             ;   in Loop: Header=BB8_1509 Depth=3
	s_or_b64 exec, exec, s[30:31]
	v_and_b32_e32 v3, 0xffff0000, v36
	v_and_b32_e32 v4, 0xffff0000, v48
	v_max_f32_e32 v4, v4, v4
	v_max_f32_e32 v3, v3, v3
	v_min_f32_e32 v36, v3, v4
	v_max_f32_e32 v3, v3, v4
	v_cndmask_b32_e64 v3, v3, v36, s[28:29]
	v_and_b32_e32 v4, 0x7f800000, v3
	v_cmp_ne_u32_e32 vcc, s96, v4
                                        ; implicit-def: $vgpr36
	s_and_saveexec_b64 s[30:31], vcc
	s_xor_b64 vcc, exec, s[30:31]
; %bb.1582:                             ;   in Loop: Header=BB8_1509 Depth=3
	v_bfe_u32 v4, v3, 16, 1
	v_add3_u32 v36, v3, v4, s97
                                        ; implicit-def: $vgpr3
; %bb.1583:                             ;   in Loop: Header=BB8_1509 Depth=3
	s_andn2_saveexec_b64 s[30:31], vcc
; %bb.1584:                             ;   in Loop: Header=BB8_1509 Depth=3
	v_or_b32_e32 v4, 0x10000, v3
	v_cmp_eq_u32_sdwa vcc, v3, v2 src0_sel:WORD_0 src1_sel:DWORD
	v_cndmask_b32_e32 v36, v4, v3, vcc
; %bb.1585:                             ;   in Loop: Header=BB8_1509 Depth=3
	s_or_b64 exec, exec, s[30:31]
	v_lshlrev_b32_e32 v3, 16, v37
	v_lshlrev_b32_e32 v4, 16, v49
	v_max_f32_e32 v4, v4, v4
	v_max_f32_e32 v3, v3, v3
	v_min_f32_e32 v48, v3, v4
	v_max_f32_e32 v3, v3, v4
	v_cndmask_b32_e64 v3, v3, v48, s[28:29]
	v_and_b32_e32 v4, 0x7f800000, v3
	v_cmp_ne_u32_e32 vcc, s96, v4
                                        ; implicit-def: $vgpr48
	s_and_saveexec_b64 s[30:31], vcc
	s_xor_b64 vcc, exec, s[30:31]
; %bb.1586:                             ;   in Loop: Header=BB8_1509 Depth=3
	v_bfe_u32 v4, v3, 16, 1
	v_add3_u32 v48, v3, v4, s97
                                        ; implicit-def: $vgpr3
; %bb.1587:                             ;   in Loop: Header=BB8_1509 Depth=3
	s_andn2_saveexec_b64 s[30:31], vcc
; %bb.1588:                             ;   in Loop: Header=BB8_1509 Depth=3
	v_or_b32_e32 v4, 0x10000, v3
	v_cmp_eq_u32_sdwa vcc, v3, v2 src0_sel:WORD_0 src1_sel:DWORD
	v_cndmask_b32_e32 v48, v4, v3, vcc
; %bb.1589:                             ;   in Loop: Header=BB8_1509 Depth=3
	s_or_b64 exec, exec, s[30:31]
	v_and_b32_e32 v3, 0xffff0000, v37
	v_and_b32_e32 v4, 0xffff0000, v49
	v_max_f32_e32 v4, v4, v4
	v_max_f32_e32 v3, v3, v3
	v_min_f32_e32 v37, v3, v4
	v_max_f32_e32 v3, v3, v4
	v_cndmask_b32_e64 v3, v3, v37, s[28:29]
	v_and_b32_e32 v4, 0x7f800000, v3
	v_cmp_ne_u32_e32 vcc, s96, v4
                                        ; implicit-def: $vgpr37
	s_and_saveexec_b64 s[30:31], vcc
	s_xor_b64 vcc, exec, s[30:31]
; %bb.1590:                             ;   in Loop: Header=BB8_1509 Depth=3
	v_bfe_u32 v4, v3, 16, 1
	v_add3_u32 v37, v3, v4, s97
                                        ; implicit-def: $vgpr3
; %bb.1591:                             ;   in Loop: Header=BB8_1509 Depth=3
	s_andn2_saveexec_b64 s[30:31], vcc
; %bb.1592:                             ;   in Loop: Header=BB8_1509 Depth=3
	v_or_b32_e32 v4, 0x10000, v3
	v_cmp_eq_u32_sdwa vcc, v3, v2 src0_sel:WORD_0 src1_sel:DWORD
	v_cndmask_b32_e32 v37, v4, v3, vcc
; %bb.1593:                             ;   in Loop: Header=BB8_1509 Depth=3
	s_or_b64 exec, exec, s[30:31]
	v_lshlrev_b32_e32 v3, 16, v38
	v_lshlrev_b32_e32 v4, 16, v50
	v_max_f32_e32 v4, v4, v4
	v_max_f32_e32 v3, v3, v3
	v_min_f32_e32 v49, v3, v4
	v_max_f32_e32 v3, v3, v4
	v_cndmask_b32_e64 v3, v3, v49, s[28:29]
	v_and_b32_e32 v4, 0x7f800000, v3
	v_cmp_ne_u32_e32 vcc, s96, v4
                                        ; implicit-def: $vgpr49
	s_and_saveexec_b64 s[30:31], vcc
	s_xor_b64 vcc, exec, s[30:31]
; %bb.1594:                             ;   in Loop: Header=BB8_1509 Depth=3
	v_bfe_u32 v4, v3, 16, 1
	v_add3_u32 v49, v3, v4, s97
                                        ; implicit-def: $vgpr3
; %bb.1595:                             ;   in Loop: Header=BB8_1509 Depth=3
	s_andn2_saveexec_b64 s[30:31], vcc
; %bb.1596:                             ;   in Loop: Header=BB8_1509 Depth=3
	v_or_b32_e32 v4, 0x10000, v3
	v_cmp_eq_u32_sdwa vcc, v3, v2 src0_sel:WORD_0 src1_sel:DWORD
	v_cndmask_b32_e32 v49, v4, v3, vcc
; %bb.1597:                             ;   in Loop: Header=BB8_1509 Depth=3
	s_or_b64 exec, exec, s[30:31]
	v_and_b32_e32 v3, 0xffff0000, v38
	v_and_b32_e32 v4, 0xffff0000, v50
	v_max_f32_e32 v4, v4, v4
	v_max_f32_e32 v3, v3, v3
	v_min_f32_e32 v38, v3, v4
	v_max_f32_e32 v3, v3, v4
	v_cndmask_b32_e64 v3, v3, v38, s[28:29]
	v_and_b32_e32 v4, 0x7f800000, v3
	v_cmp_ne_u32_e32 vcc, s96, v4
                                        ; implicit-def: $vgpr38
	s_and_saveexec_b64 s[30:31], vcc
	s_xor_b64 vcc, exec, s[30:31]
; %bb.1598:                             ;   in Loop: Header=BB8_1509 Depth=3
	v_bfe_u32 v4, v3, 16, 1
	v_add3_u32 v38, v3, v4, s97
                                        ; implicit-def: $vgpr3
; %bb.1599:                             ;   in Loop: Header=BB8_1509 Depth=3
	s_andn2_saveexec_b64 s[30:31], vcc
; %bb.1600:                             ;   in Loop: Header=BB8_1509 Depth=3
	v_or_b32_e32 v4, 0x10000, v3
	v_cmp_eq_u32_sdwa vcc, v3, v2 src0_sel:WORD_0 src1_sel:DWORD
	v_cndmask_b32_e32 v38, v4, v3, vcc
; %bb.1601:                             ;   in Loop: Header=BB8_1509 Depth=3
	s_or_b64 exec, exec, s[30:31]
	v_lshlrev_b32_e32 v3, 16, v39
	v_lshlrev_b32_e32 v4, 16, v51
	v_max_f32_e32 v4, v4, v4
	v_max_f32_e32 v3, v3, v3
	v_min_f32_e32 v50, v3, v4
	v_max_f32_e32 v3, v3, v4
	v_cndmask_b32_e64 v3, v3, v50, s[28:29]
	v_and_b32_e32 v4, 0x7f800000, v3
	v_cmp_ne_u32_e32 vcc, s96, v4
                                        ; implicit-def: $vgpr50
	s_and_saveexec_b64 s[30:31], vcc
	s_xor_b64 vcc, exec, s[30:31]
; %bb.1602:                             ;   in Loop: Header=BB8_1509 Depth=3
	v_bfe_u32 v4, v3, 16, 1
	v_add3_u32 v50, v3, v4, s97
                                        ; implicit-def: $vgpr3
; %bb.1603:                             ;   in Loop: Header=BB8_1509 Depth=3
	s_andn2_saveexec_b64 s[30:31], vcc
; %bb.1604:                             ;   in Loop: Header=BB8_1509 Depth=3
	v_or_b32_e32 v4, 0x10000, v3
	v_cmp_eq_u32_sdwa vcc, v3, v2 src0_sel:WORD_0 src1_sel:DWORD
	v_cndmask_b32_e32 v50, v4, v3, vcc
; %bb.1605:                             ;   in Loop: Header=BB8_1509 Depth=3
	s_or_b64 exec, exec, s[30:31]
	v_and_b32_e32 v3, 0xffff0000, v39
	v_and_b32_e32 v4, 0xffff0000, v51
	v_max_f32_e32 v4, v4, v4
	v_max_f32_e32 v3, v3, v3
	v_min_f32_e32 v39, v3, v4
	v_max_f32_e32 v3, v3, v4
	v_cndmask_b32_e64 v3, v3, v39, s[28:29]
	v_and_b32_e32 v4, 0x7f800000, v3
	v_cmp_ne_u32_e32 vcc, s96, v4
                                        ; implicit-def: $vgpr39
	s_and_saveexec_b64 s[30:31], vcc
	s_xor_b64 vcc, exec, s[30:31]
; %bb.1606:                             ;   in Loop: Header=BB8_1509 Depth=3
	v_bfe_u32 v4, v3, 16, 1
	v_add3_u32 v39, v3, v4, s97
                                        ; implicit-def: $vgpr3
; %bb.1607:                             ;   in Loop: Header=BB8_1509 Depth=3
	s_andn2_saveexec_b64 s[30:31], vcc
; %bb.1608:                             ;   in Loop: Header=BB8_1509 Depth=3
	v_or_b32_e32 v4, 0x10000, v3
	v_cmp_eq_u32_sdwa vcc, v3, v2 src0_sel:WORD_0 src1_sel:DWORD
	v_cndmask_b32_e32 v39, v4, v3, vcc
; %bb.1609:                             ;   in Loop: Header=BB8_1509 Depth=3
	s_or_b64 exec, exec, s[30:31]
	v_lshlrev_b32_e32 v3, 16, v24
	v_lshlrev_b32_e32 v4, 16, v32
	v_max_f32_e32 v4, v4, v4
	v_max_f32_e32 v3, v3, v3
	v_min_f32_e32 v51, v3, v4
	v_max_f32_e32 v3, v3, v4
	v_cndmask_b32_e64 v3, v3, v51, s[28:29]
	v_and_b32_e32 v4, 0x7f800000, v3
	v_cmp_ne_u32_e32 vcc, s96, v4
                                        ; implicit-def: $vgpr51
	s_and_saveexec_b64 s[30:31], vcc
	s_xor_b64 vcc, exec, s[30:31]
; %bb.1610:                             ;   in Loop: Header=BB8_1509 Depth=3
	v_bfe_u32 v4, v3, 16, 1
	v_add3_u32 v51, v3, v4, s97
                                        ; implicit-def: $vgpr3
; %bb.1611:                             ;   in Loop: Header=BB8_1509 Depth=3
	s_andn2_saveexec_b64 s[30:31], vcc
; %bb.1612:                             ;   in Loop: Header=BB8_1509 Depth=3
	v_or_b32_e32 v4, 0x10000, v3
	v_cmp_eq_u32_sdwa vcc, v3, v2 src0_sel:WORD_0 src1_sel:DWORD
	v_cndmask_b32_e32 v51, v4, v3, vcc
; %bb.1613:                             ;   in Loop: Header=BB8_1509 Depth=3
	s_or_b64 exec, exec, s[30:31]
	v_and_b32_e32 v3, 0xffff0000, v24
	v_and_b32_e32 v4, 0xffff0000, v32
	v_max_f32_e32 v4, v4, v4
	v_max_f32_e32 v3, v3, v3
	v_min_f32_e32 v24, v3, v4
	v_max_f32_e32 v3, v3, v4
	v_cndmask_b32_e64 v3, v3, v24, s[28:29]
	v_and_b32_e32 v4, 0x7f800000, v3
	v_cmp_ne_u32_e32 vcc, s96, v4
                                        ; implicit-def: $vgpr24
	s_and_saveexec_b64 s[30:31], vcc
	s_xor_b64 vcc, exec, s[30:31]
; %bb.1614:                             ;   in Loop: Header=BB8_1509 Depth=3
	v_bfe_u32 v4, v3, 16, 1
	v_add3_u32 v24, v3, v4, s97
                                        ; implicit-def: $vgpr3
; %bb.1615:                             ;   in Loop: Header=BB8_1509 Depth=3
	s_andn2_saveexec_b64 s[30:31], vcc
; %bb.1616:                             ;   in Loop: Header=BB8_1509 Depth=3
	v_or_b32_e32 v4, 0x10000, v3
	v_cmp_eq_u32_sdwa vcc, v3, v2 src0_sel:WORD_0 src1_sel:DWORD
	v_cndmask_b32_e32 v24, v4, v3, vcc
; %bb.1617:                             ;   in Loop: Header=BB8_1509 Depth=3
	s_or_b64 exec, exec, s[30:31]
	v_lshlrev_b32_e32 v3, 16, v25
	v_lshlrev_b32_e32 v4, 16, v33
	v_max_f32_e32 v4, v4, v4
	v_max_f32_e32 v3, v3, v3
	v_min_f32_e32 v32, v3, v4
	v_max_f32_e32 v3, v3, v4
	v_cndmask_b32_e64 v3, v3, v32, s[28:29]
	v_and_b32_e32 v4, 0x7f800000, v3
	v_cmp_ne_u32_e32 vcc, s96, v4
                                        ; implicit-def: $vgpr32
	s_and_saveexec_b64 s[30:31], vcc
	s_xor_b64 vcc, exec, s[30:31]
; %bb.1618:                             ;   in Loop: Header=BB8_1509 Depth=3
	v_bfe_u32 v4, v3, 16, 1
	v_add3_u32 v32, v3, v4, s97
                                        ; implicit-def: $vgpr3
; %bb.1619:                             ;   in Loop: Header=BB8_1509 Depth=3
	s_andn2_saveexec_b64 s[30:31], vcc
; %bb.1620:                             ;   in Loop: Header=BB8_1509 Depth=3
	v_or_b32_e32 v4, 0x10000, v3
	v_cmp_eq_u32_sdwa vcc, v3, v2 src0_sel:WORD_0 src1_sel:DWORD
	v_cndmask_b32_e32 v32, v4, v3, vcc
; %bb.1621:                             ;   in Loop: Header=BB8_1509 Depth=3
	s_or_b64 exec, exec, s[30:31]
	v_and_b32_e32 v3, 0xffff0000, v25
	v_and_b32_e32 v4, 0xffff0000, v33
	v_max_f32_e32 v4, v4, v4
	v_max_f32_e32 v3, v3, v3
	v_min_f32_e32 v25, v3, v4
	v_max_f32_e32 v3, v3, v4
	v_cndmask_b32_e64 v3, v3, v25, s[28:29]
	v_and_b32_e32 v4, 0x7f800000, v3
	v_cmp_ne_u32_e32 vcc, s96, v4
                                        ; implicit-def: $vgpr25
	s_and_saveexec_b64 s[30:31], vcc
	s_xor_b64 vcc, exec, s[30:31]
; %bb.1622:                             ;   in Loop: Header=BB8_1509 Depth=3
	v_bfe_u32 v4, v3, 16, 1
	v_add3_u32 v25, v3, v4, s97
                                        ; implicit-def: $vgpr3
; %bb.1623:                             ;   in Loop: Header=BB8_1509 Depth=3
	s_andn2_saveexec_b64 s[30:31], vcc
; %bb.1624:                             ;   in Loop: Header=BB8_1509 Depth=3
	v_or_b32_e32 v4, 0x10000, v3
	v_cmp_eq_u32_sdwa vcc, v3, v2 src0_sel:WORD_0 src1_sel:DWORD
	v_cndmask_b32_e32 v25, v4, v3, vcc
; %bb.1625:                             ;   in Loop: Header=BB8_1509 Depth=3
	s_or_b64 exec, exec, s[30:31]
	v_lshlrev_b32_e32 v3, 16, v26
	v_lshlrev_b32_e32 v4, 16, v34
	v_max_f32_e32 v4, v4, v4
	v_max_f32_e32 v3, v3, v3
	v_min_f32_e32 v33, v3, v4
	v_max_f32_e32 v3, v3, v4
	v_cndmask_b32_e64 v4, v3, v33, s[28:29]
	v_and_b32_e32 v3, 0x7f800000, v4
	v_cmp_ne_u32_e32 vcc, s96, v3
                                        ; implicit-def: $vgpr3
	s_and_saveexec_b64 s[30:31], vcc
	s_xor_b64 vcc, exec, s[30:31]
; %bb.1626:                             ;   in Loop: Header=BB8_1509 Depth=3
	v_bfe_u32 v3, v4, 16, 1
	v_add3_u32 v3, v4, v3, s97
                                        ; implicit-def: $vgpr4
; %bb.1627:                             ;   in Loop: Header=BB8_1509 Depth=3
	s_andn2_saveexec_b64 s[30:31], vcc
; %bb.1628:                             ;   in Loop: Header=BB8_1509 Depth=3
	v_or_b32_e32 v3, 0x10000, v4
	v_cmp_eq_u32_sdwa vcc, v4, v2 src0_sel:WORD_0 src1_sel:DWORD
	v_cndmask_b32_e32 v3, v3, v4, vcc
; %bb.1629:                             ;   in Loop: Header=BB8_1509 Depth=3
	s_or_b64 exec, exec, s[30:31]
	v_and_b32_e32 v4, 0xffff0000, v26
	v_and_b32_e32 v26, 0xffff0000, v34
	v_max_f32_e32 v26, v26, v26
	v_max_f32_e32 v4, v4, v4
	v_min_f32_e32 v33, v4, v26
	v_max_f32_e32 v4, v4, v26
	v_cndmask_b32_e64 v4, v4, v33, s[28:29]
	v_and_b32_e32 v26, 0x7f800000, v4
	v_cmp_ne_u32_e32 vcc, s96, v26
                                        ; implicit-def: $vgpr26
	s_and_saveexec_b64 s[30:31], vcc
	s_xor_b64 vcc, exec, s[30:31]
; %bb.1630:                             ;   in Loop: Header=BB8_1509 Depth=3
	v_bfe_u32 v26, v4, 16, 1
	v_add3_u32 v26, v4, v26, s97
                                        ; implicit-def: $vgpr4
; %bb.1631:                             ;   in Loop: Header=BB8_1509 Depth=3
	s_andn2_saveexec_b64 s[30:31], vcc
; %bb.1632:                             ;   in Loop: Header=BB8_1509 Depth=3
	v_or_b32_e32 v26, 0x10000, v4
	v_cmp_eq_u32_sdwa vcc, v4, v2 src0_sel:WORD_0 src1_sel:DWORD
	v_cndmask_b32_e32 v26, v26, v4, vcc
; %bb.1633:                             ;   in Loop: Header=BB8_1509 Depth=3
	s_or_b64 exec, exec, s[30:31]
	v_lshlrev_b32_e32 v4, 16, v27
	v_lshlrev_b32_e32 v33, 16, v35
	v_max_f32_e32 v33, v33, v33
	v_max_f32_e32 v4, v4, v4
	v_min_f32_e32 v34, v4, v33
	v_max_f32_e32 v4, v4, v33
	v_cndmask_b32_e64 v33, v4, v34, s[28:29]
	v_and_b32_e32 v4, 0x7f800000, v33
	v_cmp_ne_u32_e32 vcc, s96, v4
                                        ; implicit-def: $vgpr4
	s_and_saveexec_b64 s[30:31], vcc
	s_xor_b64 vcc, exec, s[30:31]
; %bb.1634:                             ;   in Loop: Header=BB8_1509 Depth=3
	v_bfe_u32 v4, v33, 16, 1
	v_add3_u32 v4, v33, v4, s97
                                        ; implicit-def: $vgpr33
; %bb.1635:                             ;   in Loop: Header=BB8_1509 Depth=3
	s_andn2_saveexec_b64 s[30:31], vcc
; %bb.1636:                             ;   in Loop: Header=BB8_1509 Depth=3
	v_or_b32_e32 v4, 0x10000, v33
	v_cmp_eq_u32_sdwa vcc, v33, v2 src0_sel:WORD_0 src1_sel:DWORD
	v_cndmask_b32_e32 v4, v4, v33, vcc
; %bb.1637:                             ;   in Loop: Header=BB8_1509 Depth=3
	s_or_b64 exec, exec, s[30:31]
	v_and_b32_e32 v27, 0xffff0000, v27
	v_and_b32_e32 v33, 0xffff0000, v35
	v_max_f32_e32 v33, v33, v33
	v_max_f32_e32 v27, v27, v27
	v_min_f32_e32 v34, v27, v33
	v_max_f32_e32 v27, v27, v33
	v_cndmask_b32_e64 v33, v27, v34, s[28:29]
	v_and_b32_e32 v27, 0x7f800000, v33
	v_cmp_ne_u32_e32 vcc, s96, v27
                                        ; implicit-def: $vgpr27
	s_and_saveexec_b64 s[30:31], vcc
	s_xor_b64 vcc, exec, s[30:31]
; %bb.1638:                             ;   in Loop: Header=BB8_1509 Depth=3
	v_bfe_u32 v27, v33, 16, 1
	v_add3_u32 v27, v33, v27, s97
                                        ; implicit-def: $vgpr33
; %bb.1639:                             ;   in Loop: Header=BB8_1509 Depth=3
	s_andn2_saveexec_b64 s[30:31], vcc
	s_cbranch_execz .LBB8_1508
; %bb.1640:                             ;   in Loop: Header=BB8_1509 Depth=3
	v_or_b32_e32 v27, 0x10000, v33
	v_cmp_eq_u32_sdwa vcc, v33, v2 src0_sel:WORD_0 src1_sel:DWORD
	v_cndmask_b32_e32 v27, v27, v33, vcc
	s_branch .LBB8_1508
.LBB8_1641:                             ;   in Loop: Header=BB8_955 Depth=2
	s_mov_b64 s[44:45], 0
                                        ; implicit-def: $sgpr46
	s_andn2_b64 vcc, exec, s[40:41]
	v_mov_b32_e32 v10, 0
	s_cbranch_vccz .LBB8_1506
.LBB8_1642:                             ;   in Loop: Header=BB8_955 Depth=2
	buffer_load_dword v0, off, s[0:3], s33 offset:268 ; 4-byte Folded Reload
	buffer_load_dword v11, off, s[0:3], s33 offset:252 ; 4-byte Folded Reload
	s_and_saveexec_b64 s[42:43], s[44:45]
	s_cbranch_execnz .LBB8_1826
	s_branch .LBB8_1957
.LBB8_1643:                             ;   in Loop: Header=BB8_955 Depth=2
	s_or_b64 exec, exec, s[42:43]
	s_and_b64 s[28:29], s[92:93], exec
.LBB8_1644:                             ;   in Loop: Header=BB8_955 Depth=2
	s_or_b64 exec, exec, s[40:41]
	s_and_saveexec_b64 s[40:41], s[28:29]
	s_cbranch_execz .LBB8_1710
; %bb.1645:                             ;   in Loop: Header=BB8_955 Depth=2
	s_and_b32 s28, 0xffff, s46
	v_lshlrev_b32_e32 v3, 16, v20
	v_lshlrev_b32_e32 v4, 16, v16
	s_cmp_eq_u32 s28, 0
	v_max_f32_e32 v4, v4, v4
	v_max_f32_e32 v3, v3, v3
	v_min_f32_e32 v6, v3, v4
	v_max_f32_e32 v3, v3, v4
	s_cselect_b64 vcc, -1, 0
	v_cndmask_b32_e32 v3, v3, v6, vcc
	v_and_b32_e32 v4, 0x7f800000, v3
	v_cmp_ne_u32_e64 s[28:29], s96, v4
                                        ; implicit-def: $vgpr6
	s_and_saveexec_b64 s[42:43], s[28:29]
	s_xor_b64 s[28:29], exec, s[42:43]
; %bb.1646:                             ;   in Loop: Header=BB8_955 Depth=2
	v_bfe_u32 v4, v3, 16, 1
	v_add3_u32 v6, v3, v4, s97
                                        ; implicit-def: $vgpr3
; %bb.1647:                             ;   in Loop: Header=BB8_955 Depth=2
	s_andn2_saveexec_b64 s[42:43], s[28:29]
; %bb.1648:                             ;   in Loop: Header=BB8_955 Depth=2
	v_or_b32_e32 v4, 0x10000, v3
	v_cmp_eq_u32_sdwa s[28:29], v3, v2 src0_sel:WORD_0 src1_sel:DWORD
	v_cndmask_b32_e64 v6, v4, v3, s[28:29]
; %bb.1649:                             ;   in Loop: Header=BB8_955 Depth=2
	s_or_b64 exec, exec, s[42:43]
	v_and_b32_e32 v3, 0xffff0000, v20
	v_and_b32_e32 v4, 0xffff0000, v16
	v_max_f32_e32 v4, v4, v4
	v_max_f32_e32 v3, v3, v3
	v_min_f32_e32 v7, v3, v4
	v_max_f32_e32 v3, v3, v4
	v_cndmask_b32_e32 v3, v3, v7, vcc
	v_and_b32_e32 v4, 0x7f800000, v3
	v_cmp_ne_u32_e64 s[28:29], s96, v4
                                        ; implicit-def: $vgpr7
	s_and_saveexec_b64 s[42:43], s[28:29]
	s_xor_b64 s[28:29], exec, s[42:43]
; %bb.1650:                             ;   in Loop: Header=BB8_955 Depth=2
	v_bfe_u32 v4, v3, 16, 1
	v_add3_u32 v7, v3, v4, s97
                                        ; implicit-def: $vgpr3
; %bb.1651:                             ;   in Loop: Header=BB8_955 Depth=2
	s_andn2_saveexec_b64 s[42:43], s[28:29]
; %bb.1652:                             ;   in Loop: Header=BB8_955 Depth=2
	v_or_b32_e32 v4, 0x10000, v3
	v_cmp_eq_u32_sdwa s[28:29], v3, v2 src0_sel:WORD_0 src1_sel:DWORD
	v_cndmask_b32_e64 v7, v4, v3, s[28:29]
; %bb.1653:                             ;   in Loop: Header=BB8_955 Depth=2
	s_or_b64 exec, exec, s[42:43]
	v_lshlrev_b32_e32 v3, 16, v21
	v_lshlrev_b32_e32 v4, 16, v17
	v_max_f32_e32 v4, v4, v4
	v_max_f32_e32 v3, v3, v3
	v_min_f32_e32 v16, v3, v4
	v_max_f32_e32 v3, v3, v4
	v_cndmask_b32_e32 v3, v3, v16, vcc
	v_and_b32_e32 v4, 0x7f800000, v3
	v_cmp_ne_u32_e64 s[28:29], s96, v4
                                        ; implicit-def: $vgpr16
	s_and_saveexec_b64 s[42:43], s[28:29]
	s_xor_b64 s[28:29], exec, s[42:43]
; %bb.1654:                             ;   in Loop: Header=BB8_955 Depth=2
	v_bfe_u32 v4, v3, 16, 1
	v_add3_u32 v16, v3, v4, s97
                                        ; implicit-def: $vgpr3
; %bb.1655:                             ;   in Loop: Header=BB8_955 Depth=2
	s_andn2_saveexec_b64 s[42:43], s[28:29]
; %bb.1656:                             ;   in Loop: Header=BB8_955 Depth=2
	v_or_b32_e32 v4, 0x10000, v3
	v_cmp_eq_u32_sdwa s[28:29], v3, v2 src0_sel:WORD_0 src1_sel:DWORD
	v_cndmask_b32_e64 v16, v4, v3, s[28:29]
; %bb.1657:                             ;   in Loop: Header=BB8_955 Depth=2
	s_or_b64 exec, exec, s[42:43]
	v_and_b32_e32 v3, 0xffff0000, v21
	v_and_b32_e32 v4, 0xffff0000, v17
	v_max_f32_e32 v4, v4, v4
	v_max_f32_e32 v3, v3, v3
	v_min_f32_e32 v17, v3, v4
	v_max_f32_e32 v3, v3, v4
	v_cndmask_b32_e32 v3, v3, v17, vcc
	v_and_b32_e32 v4, 0x7f800000, v3
	v_cmp_ne_u32_e64 s[28:29], s96, v4
                                        ; implicit-def: $vgpr17
	s_and_saveexec_b64 s[42:43], s[28:29]
	s_xor_b64 s[28:29], exec, s[42:43]
; %bb.1658:                             ;   in Loop: Header=BB8_955 Depth=2
	v_bfe_u32 v4, v3, 16, 1
	v_add3_u32 v17, v3, v4, s97
                                        ; implicit-def: $vgpr3
; %bb.1659:                             ;   in Loop: Header=BB8_955 Depth=2
	s_andn2_saveexec_b64 s[42:43], s[28:29]
; %bb.1660:                             ;   in Loop: Header=BB8_955 Depth=2
	v_or_b32_e32 v4, 0x10000, v3
	v_cmp_eq_u32_sdwa s[28:29], v3, v2 src0_sel:WORD_0 src1_sel:DWORD
	v_cndmask_b32_e64 v17, v4, v3, s[28:29]
; %bb.1661:                             ;   in Loop: Header=BB8_955 Depth=2
	s_or_b64 exec, exec, s[42:43]
	v_lshlrev_b32_e32 v3, 16, v22
	v_lshlrev_b32_e32 v4, 16, v18
	v_max_f32_e32 v4, v4, v4
	v_max_f32_e32 v3, v3, v3
	v_min_f32_e32 v20, v3, v4
	v_max_f32_e32 v3, v3, v4
	v_cndmask_b32_e32 v3, v3, v20, vcc
	v_and_b32_e32 v4, 0x7f800000, v3
	v_cmp_ne_u32_e64 s[28:29], s96, v4
                                        ; implicit-def: $vgpr20
	s_and_saveexec_b64 s[42:43], s[28:29]
	s_xor_b64 s[28:29], exec, s[42:43]
; %bb.1662:                             ;   in Loop: Header=BB8_955 Depth=2
	v_bfe_u32 v4, v3, 16, 1
	v_add3_u32 v20, v3, v4, s97
                                        ; implicit-def: $vgpr3
; %bb.1663:                             ;   in Loop: Header=BB8_955 Depth=2
	s_andn2_saveexec_b64 s[42:43], s[28:29]
; %bb.1664:                             ;   in Loop: Header=BB8_955 Depth=2
	v_or_b32_e32 v4, 0x10000, v3
	v_cmp_eq_u32_sdwa s[28:29], v3, v2 src0_sel:WORD_0 src1_sel:DWORD
	v_cndmask_b32_e64 v20, v4, v3, s[28:29]
; %bb.1665:                             ;   in Loop: Header=BB8_955 Depth=2
	s_or_b64 exec, exec, s[42:43]
	v_and_b32_e32 v3, 0xffff0000, v22
	v_and_b32_e32 v4, 0xffff0000, v18
	v_max_f32_e32 v4, v4, v4
	v_max_f32_e32 v3, v3, v3
	v_min_f32_e32 v18, v3, v4
	v_max_f32_e32 v3, v3, v4
	v_cndmask_b32_e32 v3, v3, v18, vcc
	v_and_b32_e32 v4, 0x7f800000, v3
	v_cmp_ne_u32_e64 s[28:29], s96, v4
                                        ; implicit-def: $vgpr18
	s_and_saveexec_b64 s[42:43], s[28:29]
	s_xor_b64 s[28:29], exec, s[42:43]
; %bb.1666:                             ;   in Loop: Header=BB8_955 Depth=2
	v_bfe_u32 v4, v3, 16, 1
	v_add3_u32 v18, v3, v4, s97
                                        ; implicit-def: $vgpr3
; %bb.1667:                             ;   in Loop: Header=BB8_955 Depth=2
	s_andn2_saveexec_b64 s[42:43], s[28:29]
; %bb.1668:                             ;   in Loop: Header=BB8_955 Depth=2
	v_or_b32_e32 v4, 0x10000, v3
	v_cmp_eq_u32_sdwa s[28:29], v3, v2 src0_sel:WORD_0 src1_sel:DWORD
	v_cndmask_b32_e64 v18, v4, v3, s[28:29]
; %bb.1669:                             ;   in Loop: Header=BB8_955 Depth=2
	s_or_b64 exec, exec, s[42:43]
	v_lshlrev_b32_e32 v3, 16, v23
	v_lshlrev_b32_e32 v4, 16, v19
	v_max_f32_e32 v4, v4, v4
	v_max_f32_e32 v3, v3, v3
	v_min_f32_e32 v21, v3, v4
	v_max_f32_e32 v3, v3, v4
	v_cndmask_b32_e32 v3, v3, v21, vcc
	v_and_b32_e32 v4, 0x7f800000, v3
	v_cmp_ne_u32_e64 s[28:29], s96, v4
                                        ; implicit-def: $vgpr21
	s_and_saveexec_b64 s[42:43], s[28:29]
	s_xor_b64 s[28:29], exec, s[42:43]
; %bb.1670:                             ;   in Loop: Header=BB8_955 Depth=2
	v_bfe_u32 v4, v3, 16, 1
	v_add3_u32 v21, v3, v4, s97
                                        ; implicit-def: $vgpr3
; %bb.1671:                             ;   in Loop: Header=BB8_955 Depth=2
	s_andn2_saveexec_b64 s[42:43], s[28:29]
; %bb.1672:                             ;   in Loop: Header=BB8_955 Depth=2
	v_or_b32_e32 v4, 0x10000, v3
	v_cmp_eq_u32_sdwa s[28:29], v3, v2 src0_sel:WORD_0 src1_sel:DWORD
	v_cndmask_b32_e64 v21, v4, v3, s[28:29]
; %bb.1673:                             ;   in Loop: Header=BB8_955 Depth=2
	s_or_b64 exec, exec, s[42:43]
	v_and_b32_e32 v3, 0xffff0000, v23
	v_and_b32_e32 v4, 0xffff0000, v19
	v_max_f32_e32 v4, v4, v4
	v_max_f32_e32 v3, v3, v3
	v_min_f32_e32 v19, v3, v4
	v_max_f32_e32 v3, v3, v4
	v_cndmask_b32_e32 v3, v3, v19, vcc
	v_and_b32_e32 v4, 0x7f800000, v3
	v_cmp_ne_u32_e64 s[28:29], s96, v4
                                        ; implicit-def: $vgpr19
	s_and_saveexec_b64 s[42:43], s[28:29]
	s_xor_b64 s[28:29], exec, s[42:43]
; %bb.1674:                             ;   in Loop: Header=BB8_955 Depth=2
	v_bfe_u32 v4, v3, 16, 1
	v_add3_u32 v19, v3, v4, s97
                                        ; implicit-def: $vgpr3
; %bb.1675:                             ;   in Loop: Header=BB8_955 Depth=2
	s_andn2_saveexec_b64 s[42:43], s[28:29]
; %bb.1676:                             ;   in Loop: Header=BB8_955 Depth=2
	v_or_b32_e32 v4, 0x10000, v3
	v_cmp_eq_u32_sdwa s[28:29], v3, v2 src0_sel:WORD_0 src1_sel:DWORD
	v_cndmask_b32_e64 v19, v4, v3, s[28:29]
; %bb.1677:                             ;   in Loop: Header=BB8_955 Depth=2
	s_or_b64 exec, exec, s[42:43]
	v_lshlrev_b32_e32 v3, 16, v12
	v_lshlrev_b32_e32 v4, 16, v8
	v_max_f32_e32 v4, v4, v4
	v_max_f32_e32 v3, v3, v3
	v_min_f32_e32 v22, v3, v4
	v_max_f32_e32 v3, v3, v4
	v_cndmask_b32_e32 v3, v3, v22, vcc
	v_and_b32_e32 v4, 0x7f800000, v3
	v_cmp_ne_u32_e64 s[28:29], s96, v4
                                        ; implicit-def: $vgpr22
	s_and_saveexec_b64 s[42:43], s[28:29]
	s_xor_b64 s[28:29], exec, s[42:43]
; %bb.1678:                             ;   in Loop: Header=BB8_955 Depth=2
	v_bfe_u32 v4, v3, 16, 1
	v_add3_u32 v22, v3, v4, s97
                                        ; implicit-def: $vgpr3
; %bb.1679:                             ;   in Loop: Header=BB8_955 Depth=2
	s_andn2_saveexec_b64 s[42:43], s[28:29]
; %bb.1680:                             ;   in Loop: Header=BB8_955 Depth=2
	v_or_b32_e32 v4, 0x10000, v3
	v_cmp_eq_u32_sdwa s[28:29], v3, v2 src0_sel:WORD_0 src1_sel:DWORD
	v_cndmask_b32_e64 v22, v4, v3, s[28:29]
; %bb.1681:                             ;   in Loop: Header=BB8_955 Depth=2
	s_or_b64 exec, exec, s[42:43]
	v_and_b32_e32 v3, 0xffff0000, v12
	v_and_b32_e32 v4, 0xffff0000, v8
	v_max_f32_e32 v4, v4, v4
	v_max_f32_e32 v3, v3, v3
	v_min_f32_e32 v8, v3, v4
	v_max_f32_e32 v3, v3, v4
	v_cndmask_b32_e32 v3, v3, v8, vcc
	v_and_b32_e32 v4, 0x7f800000, v3
	v_cmp_ne_u32_e64 s[28:29], s96, v4
                                        ; implicit-def: $vgpr8
	s_and_saveexec_b64 s[42:43], s[28:29]
	s_xor_b64 s[28:29], exec, s[42:43]
; %bb.1682:                             ;   in Loop: Header=BB8_955 Depth=2
	v_bfe_u32 v4, v3, 16, 1
	v_add3_u32 v8, v3, v4, s97
                                        ; implicit-def: $vgpr3
; %bb.1683:                             ;   in Loop: Header=BB8_955 Depth=2
	s_andn2_saveexec_b64 s[42:43], s[28:29]
; %bb.1684:                             ;   in Loop: Header=BB8_955 Depth=2
	v_or_b32_e32 v4, 0x10000, v3
	v_cmp_eq_u32_sdwa s[28:29], v3, v2 src0_sel:WORD_0 src1_sel:DWORD
	v_cndmask_b32_e64 v8, v4, v3, s[28:29]
; %bb.1685:                             ;   in Loop: Header=BB8_955 Depth=2
	s_or_b64 exec, exec, s[42:43]
	v_lshlrev_b32_e32 v3, 16, v13
	v_lshlrev_b32_e32 v4, 16, v9
	v_max_f32_e32 v4, v4, v4
	v_max_f32_e32 v3, v3, v3
	v_min_f32_e32 v12, v3, v4
	v_max_f32_e32 v3, v3, v4
	v_cndmask_b32_e32 v3, v3, v12, vcc
	v_and_b32_e32 v4, 0x7f800000, v3
	v_cmp_ne_u32_e64 s[28:29], s96, v4
                                        ; implicit-def: $vgpr12
	s_and_saveexec_b64 s[42:43], s[28:29]
	s_xor_b64 s[28:29], exec, s[42:43]
; %bb.1686:                             ;   in Loop: Header=BB8_955 Depth=2
	v_bfe_u32 v4, v3, 16, 1
	v_add3_u32 v12, v3, v4, s97
                                        ; implicit-def: $vgpr3
; %bb.1687:                             ;   in Loop: Header=BB8_955 Depth=2
	s_andn2_saveexec_b64 s[42:43], s[28:29]
; %bb.1688:                             ;   in Loop: Header=BB8_955 Depth=2
	v_or_b32_e32 v4, 0x10000, v3
	v_cmp_eq_u32_sdwa s[28:29], v3, v2 src0_sel:WORD_0 src1_sel:DWORD
	v_cndmask_b32_e64 v12, v4, v3, s[28:29]
; %bb.1689:                             ;   in Loop: Header=BB8_955 Depth=2
	s_or_b64 exec, exec, s[42:43]
	v_and_b32_e32 v3, 0xffff0000, v13
	v_and_b32_e32 v4, 0xffff0000, v9
	v_max_f32_e32 v4, v4, v4
	v_max_f32_e32 v3, v3, v3
	v_min_f32_e32 v9, v3, v4
	v_max_f32_e32 v3, v3, v4
	v_cndmask_b32_e32 v3, v3, v9, vcc
	v_and_b32_e32 v4, 0x7f800000, v3
	v_cmp_ne_u32_e64 s[28:29], s96, v4
                                        ; implicit-def: $vgpr9
	s_and_saveexec_b64 s[42:43], s[28:29]
	s_xor_b64 s[28:29], exec, s[42:43]
; %bb.1690:                             ;   in Loop: Header=BB8_955 Depth=2
	v_bfe_u32 v4, v3, 16, 1
	v_add3_u32 v9, v3, v4, s97
                                        ; implicit-def: $vgpr3
; %bb.1691:                             ;   in Loop: Header=BB8_955 Depth=2
	s_andn2_saveexec_b64 s[42:43], s[28:29]
; %bb.1692:                             ;   in Loop: Header=BB8_955 Depth=2
	v_or_b32_e32 v4, 0x10000, v3
	v_cmp_eq_u32_sdwa s[28:29], v3, v2 src0_sel:WORD_0 src1_sel:DWORD
	v_cndmask_b32_e64 v9, v4, v3, s[28:29]
; %bb.1693:                             ;   in Loop: Header=BB8_955 Depth=2
	s_or_b64 exec, exec, s[42:43]
	v_lshlrev_b32_e32 v3, 16, v14
	v_lshlrev_b32_e32 v4, 16, v10
	v_max_f32_e32 v4, v4, v4
	v_max_f32_e32 v3, v3, v3
	v_min_f32_e32 v13, v3, v4
	v_max_f32_e32 v3, v3, v4
	v_cndmask_b32_e32 v4, v3, v13, vcc
	v_and_b32_e32 v3, 0x7f800000, v4
	v_cmp_ne_u32_e64 s[28:29], s96, v3
                                        ; implicit-def: $vgpr3
	s_and_saveexec_b64 s[42:43], s[28:29]
	s_xor_b64 s[28:29], exec, s[42:43]
; %bb.1694:                             ;   in Loop: Header=BB8_955 Depth=2
	v_bfe_u32 v3, v4, 16, 1
	v_add3_u32 v3, v4, v3, s97
                                        ; implicit-def: $vgpr4
; %bb.1695:                             ;   in Loop: Header=BB8_955 Depth=2
	s_andn2_saveexec_b64 s[42:43], s[28:29]
; %bb.1696:                             ;   in Loop: Header=BB8_955 Depth=2
	v_or_b32_e32 v3, 0x10000, v4
	v_cmp_eq_u32_sdwa s[28:29], v4, v2 src0_sel:WORD_0 src1_sel:DWORD
	v_cndmask_b32_e64 v3, v3, v4, s[28:29]
; %bb.1697:                             ;   in Loop: Header=BB8_955 Depth=2
	s_or_b64 exec, exec, s[42:43]
	v_and_b32_e32 v4, 0xffff0000, v14
	v_and_b32_e32 v10, 0xffff0000, v10
	v_max_f32_e32 v10, v10, v10
	v_max_f32_e32 v4, v4, v4
	v_min_f32_e32 v13, v4, v10
	v_max_f32_e32 v4, v4, v10
	v_cndmask_b32_e32 v4, v4, v13, vcc
	v_and_b32_e32 v10, 0x7f800000, v4
	v_cmp_ne_u32_e64 s[28:29], s96, v10
                                        ; implicit-def: $vgpr10
	s_and_saveexec_b64 s[42:43], s[28:29]
	s_xor_b64 s[28:29], exec, s[42:43]
; %bb.1698:                             ;   in Loop: Header=BB8_955 Depth=2
	v_bfe_u32 v10, v4, 16, 1
	v_add3_u32 v10, v4, v10, s97
                                        ; implicit-def: $vgpr4
; %bb.1699:                             ;   in Loop: Header=BB8_955 Depth=2
	s_andn2_saveexec_b64 s[42:43], s[28:29]
; %bb.1700:                             ;   in Loop: Header=BB8_955 Depth=2
	v_or_b32_e32 v10, 0x10000, v4
	v_cmp_eq_u32_sdwa s[28:29], v4, v2 src0_sel:WORD_0 src1_sel:DWORD
	v_cndmask_b32_e64 v10, v10, v4, s[28:29]
; %bb.1701:                             ;   in Loop: Header=BB8_955 Depth=2
	s_or_b64 exec, exec, s[42:43]
	v_lshlrev_b32_e32 v4, 16, v15
	v_lshlrev_b32_e32 v13, 16, v11
	v_max_f32_e32 v13, v13, v13
	v_max_f32_e32 v4, v4, v4
	v_min_f32_e32 v14, v4, v13
	v_max_f32_e32 v4, v4, v13
	v_cndmask_b32_e32 v13, v4, v14, vcc
	v_and_b32_e32 v4, 0x7f800000, v13
	v_cmp_ne_u32_e64 s[28:29], s96, v4
                                        ; implicit-def: $vgpr4
	s_and_saveexec_b64 s[42:43], s[28:29]
	s_xor_b64 s[28:29], exec, s[42:43]
; %bb.1702:                             ;   in Loop: Header=BB8_955 Depth=2
	v_bfe_u32 v4, v13, 16, 1
	v_add3_u32 v4, v13, v4, s97
                                        ; implicit-def: $vgpr13
; %bb.1703:                             ;   in Loop: Header=BB8_955 Depth=2
	s_andn2_saveexec_b64 s[42:43], s[28:29]
; %bb.1704:                             ;   in Loop: Header=BB8_955 Depth=2
	v_or_b32_e32 v4, 0x10000, v13
	v_cmp_eq_u32_sdwa s[28:29], v13, v2 src0_sel:WORD_0 src1_sel:DWORD
	v_cndmask_b32_e64 v4, v4, v13, s[28:29]
; %bb.1705:                             ;   in Loop: Header=BB8_955 Depth=2
	s_or_b64 exec, exec, s[42:43]
	v_and_b32_e32 v13, 0xffff0000, v15
	v_and_b32_e32 v11, 0xffff0000, v11
	v_max_f32_e32 v11, v11, v11
	v_max_f32_e32 v13, v13, v13
	v_min_f32_e32 v14, v13, v11
	v_max_f32_e32 v11, v13, v11
	v_cndmask_b32_e32 v13, v11, v14, vcc
	v_and_b32_e32 v11, 0x7f800000, v13
	v_cmp_ne_u32_e32 vcc, s96, v11
                                        ; implicit-def: $vgpr11
	s_and_saveexec_b64 s[28:29], vcc
	s_xor_b64 s[28:29], exec, s[28:29]
; %bb.1706:                             ;   in Loop: Header=BB8_955 Depth=2
	v_bfe_u32 v11, v13, 16, 1
	v_add3_u32 v11, v13, v11, s97
                                        ; implicit-def: $vgpr13
; %bb.1707:                             ;   in Loop: Header=BB8_955 Depth=2
	s_andn2_saveexec_b64 s[28:29], s[28:29]
; %bb.1708:                             ;   in Loop: Header=BB8_955 Depth=2
	v_or_b32_e32 v11, 0x10000, v13
	v_cmp_eq_u32_sdwa vcc, v13, v2 src0_sel:WORD_0 src1_sel:DWORD
	v_cndmask_b32_e32 v11, v11, v13, vcc
; %bb.1709:                             ;   in Loop: Header=BB8_955 Depth=2
	s_or_b64 exec, exec, s[28:29]
	v_lshrrev_b32_e32 v13, 16, v16
	v_lshrrev_b32_e32 v6, 16, v6
	v_and_or_b32 v14, v17, s56, v13
	v_and_or_b32 v13, v7, s56, v6
	v_lshrrev_b32_e32 v6, 16, v20
	v_and_or_b32 v15, v18, s56, v6
	v_lshrrev_b32_e32 v6, 16, v21
	;; [unrolled: 2-line block ×4, first 2 shown]
	v_lshrrev_b32_e32 v3, 16, v3
	v_and_or_b32 v6, v8, s56, v6
	v_and_or_b32 v8, v10, s56, v3
	v_lshrrev_b32_e32 v3, 16, v4
	v_and_or_b32 v9, v11, s56, v3
	global_store_dwordx4 v[0:1], v[13:16], off glc slc
	global_store_dwordx4 v[0:1], v[6:9], off offset:1024 glc slc
.LBB8_1710:                             ;   in Loop: Header=BB8_955 Depth=2
	s_or_b64 exec, exec, s[40:41]
	buffer_load_dword v0, off, s[0:3], s33 offset:292 ; 4-byte Folded Reload
	v_lshlrev_b32_e32 v4, 11, v58
                                        ; implicit-def: $vgpr10
                                        ; implicit-def: $vgpr11
	s_waitcnt vmcnt(0)
	v_cmp_ne_u32_e32 vcc, v0, v4
                                        ; implicit-def: $vgpr0
	s_and_saveexec_b64 s[92:93], vcc
	s_cbranch_execz .LBB8_1825
; %bb.1711:                             ;   in Loop: Header=BB8_955 Depth=2
	buffer_load_dword v0, off, s[0:3], s33 offset:292 ; 4-byte Folded Reload
	buffer_load_dword v3, off, s[0:3], s33 offset:252 ; 4-byte Folded Reload
	v_lshlrev_b32_e32 v1, 6, v5
	s_mov_b64 s[40:41], 0
	s_waitcnt vmcnt(0)
	v_sub_u32_e32 v0, v0, v4
	v_sub_u32_e32 v1, v3, v1
	v_ashrrev_i32_e32 v3, 31, v1
	v_lshrrev_b32_e32 v3, 26, v3
	v_add_u32_e32 v3, v1, v3
	v_ashrrev_i32_e32 v8, 6, v3
	v_and_b32_e32 v3, 0xffffffc0, v3
	v_sub_u32_e32 v5, v1, v3
	v_lshlrev_b32_e32 v1, 4, v5
	v_lshl_add_u32 v1, v8, 10, v1
	v_add_u32_e32 v3, v1, v4
	v_sub_u32_e32 v9, v0, v1
	v_ashrrev_i32_e32 v1, 31, v0
	v_lshrrev_b32_e32 v1, 22, v1
	v_add_u32_e32 v1, v0, v1
	v_and_b32_e32 v6, 0xfffffc00, v1
	v_sub_u32_e32 v7, v0, v6
	v_ashrrev_i32_e32 v10, 10, v1
	v_cmp_lt_i32_e64 s[28:29], 15, v7
	v_addc_co_u32_e64 v0, vcc, 0, v10, s[28:29]
	v_sub_u32_e32 v8, v0, v8
	buffer_load_dword v0, off, s[0:3], s33 offset:304 ; 4-byte Folded Reload
	buffer_load_dword v1, off, s[0:3], s33 offset:308 ; 4-byte Folded Reload
	v_ashrrev_i32_e32 v13, 31, v3
	s_waitcnt vmcnt(0)
	v_add_co_u32_e32 v0, vcc, v3, v0
	v_addc_co_u32_e32 v1, vcc, v13, v1, vcc
	v_cmp_lt_i32_e32 vcc, 15, v9
	s_and_saveexec_b64 s[94:95], vcc
	s_cbranch_execz .LBB8_1788
; %bb.1712:                             ;   in Loop: Header=BB8_955 Depth=2
	s_trap 2
	ds_read_b64 v[14:15], v0
	buffer_load_dword v10, off, s[0:3], s33 offset:296 ; 4-byte Folded Reload
	buffer_load_dword v11, off, s[0:3], s33 offset:300 ; 4-byte Folded Reload
	s_and_b32 s40, 0xffff, s46
	s_cmp_eq_u32 s40, 0
	s_mov_b64 s[36:37], 0
	s_mov_b64 s[30:31], 0
	s_cselect_b64 s[40:41], -1, 0
                                        ; implicit-def: $sgpr34_sgpr35
	s_waitcnt vmcnt(0)
	v_add_co_u32_e32 v10, vcc, v3, v10
	v_addc_co_u32_e32 v11, vcc, v13, v11, vcc
	s_waitcnt lgkmcnt(0)
	v_add_co_u32_e32 v12, vcc, v14, v3
	v_addc_co_u32_e32 v13, vcc, v15, v13, vcc
	s_branch .LBB8_1714
.LBB8_1713:                             ;   in Loop: Header=BB8_1714 Depth=3
	s_or_b64 exec, exec, s[42:43]
	v_cmp_gt_i32_e32 vcc, 16, v9
	s_or_b64 s[30:31], vcc, s[30:31]
	s_andn2_b64 s[42:43], s[34:35], exec
	s_and_b64 vcc, s[36:37], exec
	s_or_b64 s[34:35], s[42:43], vcc
	s_andn2_b64 exec, exec, s[30:31]
	s_cbranch_execz .LBB8_1787
.LBB8_1714:                             ;   Parent Loop BB8_47 Depth=1
                                        ;     Parent Loop BB8_955 Depth=2
                                        ; =>    This Loop Header: Depth=3
                                        ;         Child Loop BB8_1715 Depth 4
                                        ;         Child Loop BB8_1752 Depth 4
	s_lshr_b32 s47, s33, 6
	s_add_i32 s47, s47, 64
	s_mov_b64 s[38:39], -1
	s_mov_b64 s[48:49], 0
.LBB8_1715:                             ;   Parent Loop BB8_47 Depth=1
                                        ;     Parent Loop BB8_955 Depth=2
                                        ;       Parent Loop BB8_1714 Depth=3
                                        ; =>      This Inner Loop Header: Depth=4
	s_cmp_eq_u32 s48, 1
	s_cselect_b64 s[42:43], -1, 0
	v_cndmask_b32_e64 v19, v11, v13, s[42:43]
	v_cndmask_b32_e64 v18, v10, v12, s[42:43]
	global_load_dwordx4 v[14:17], v[18:19], off glc slc
	v_mov_b32_e32 v3, s47
	s_cmp_eq_u32 s48, 0
	s_mov_b64 s[48:49], 1
	s_mov_b32 s47, s83
	s_waitcnt vmcnt(0)
	buffer_store_dword v15, v3, s[0:3], 0 offen offset:4
	buffer_store_dword v14, v3, s[0:3], 0 offen
	buffer_store_dword v17, v3, s[0:3], 0 offen offset:12
	buffer_store_dword v16, v3, s[0:3], 0 offen offset:8
	v_add_co_u32_e32 v3, vcc, s55, v18
	v_addc_co_u32_e32 v14, vcc, 0, v19, vcc
	s_cselect_b64 vcc, -1, 0
	v_cndmask_b32_e32 v11, v11, v14, vcc
	v_cndmask_b32_e32 v10, v10, v3, vcc
	v_cndmask_b32_e64 v13, v13, v14, s[42:43]
	v_cndmask_b32_e64 v12, v12, v3, s[42:43]
	s_and_b64 vcc, exec, s[38:39]
	s_mov_b64 s[38:39], 0
	s_cbranch_vccnz .LBB8_1715
; %bb.1716:                             ;   in Loop: Header=BB8_1714 Depth=3
	s_and_saveexec_b64 s[42:43], s[36:37]
	s_cbranch_execz .LBB8_1750
; %bb.1717:                             ;   in Loop: Header=BB8_1714 Depth=3
	buffer_load_dword v17, off, s[0:3], s33 offset:96
	buffer_load_dword v18, off, s[0:3], s33 offset:112
	;; [unrolled: 1-line block ×8, first 2 shown]
	s_waitcnt vmcnt(7)
	v_lshlrev_b32_e32 v14, 16, v17
	s_waitcnt vmcnt(6)
	v_lshlrev_b32_e32 v22, 16, v18
	v_max_f32_e32 v22, v22, v22
	v_max_f32_e32 v14, v14, v14
	v_min_f32_e32 v23, v14, v22
	v_max_f32_e32 v14, v14, v22
	v_cndmask_b32_e64 v22, v14, v23, s[40:41]
	v_and_b32_e32 v14, 0x7f800000, v22
	v_cmp_ne_u32_e32 vcc, s96, v14
                                        ; implicit-def: $vgpr14
	s_and_saveexec_b64 s[36:37], vcc
	s_xor_b64 vcc, exec, s[36:37]
; %bb.1718:                             ;   in Loop: Header=BB8_1714 Depth=3
	v_bfe_u32 v14, v22, 16, 1
	v_add3_u32 v14, v22, v14, s97
                                        ; implicit-def: $vgpr22
; %bb.1719:                             ;   in Loop: Header=BB8_1714 Depth=3
	s_andn2_saveexec_b64 s[36:37], vcc
; %bb.1720:                             ;   in Loop: Header=BB8_1714 Depth=3
	v_or_b32_e32 v14, 0x10000, v22
	v_cmp_eq_u32_sdwa vcc, v22, v2 src0_sel:WORD_0 src1_sel:DWORD
	v_cndmask_b32_e32 v14, v14, v22, vcc
; %bb.1721:                             ;   in Loop: Header=BB8_1714 Depth=3
	s_or_b64 exec, exec, s[36:37]
	v_and_b32_e32 v17, 0xffff0000, v17
	v_and_b32_e32 v18, 0xffff0000, v18
	v_max_f32_e32 v18, v18, v18
	v_max_f32_e32 v17, v17, v17
	v_min_f32_e32 v22, v17, v18
	v_max_f32_e32 v17, v17, v18
	v_cndmask_b32_e64 v18, v17, v22, s[40:41]
	v_and_b32_e32 v17, 0x7f800000, v18
	v_cmp_ne_u32_e32 vcc, s96, v17
                                        ; implicit-def: $vgpr17
	s_and_saveexec_b64 s[36:37], vcc
	s_xor_b64 vcc, exec, s[36:37]
; %bb.1722:                             ;   in Loop: Header=BB8_1714 Depth=3
	v_bfe_u32 v17, v18, 16, 1
	v_add3_u32 v17, v18, v17, s97
                                        ; implicit-def: $vgpr18
; %bb.1723:                             ;   in Loop: Header=BB8_1714 Depth=3
	s_andn2_saveexec_b64 s[36:37], vcc
; %bb.1724:                             ;   in Loop: Header=BB8_1714 Depth=3
	v_or_b32_e32 v17, 0x10000, v18
	v_cmp_eq_u32_sdwa vcc, v18, v2 src0_sel:WORD_0 src1_sel:DWORD
	v_cndmask_b32_e32 v17, v17, v18, vcc
; %bb.1725:                             ;   in Loop: Header=BB8_1714 Depth=3
	s_or_b64 exec, exec, s[36:37]
	s_waitcnt vmcnt(5)
	v_lshlrev_b32_e32 v18, 16, v3
	s_waitcnt vmcnt(3)
	v_lshlrev_b32_e32 v22, 16, v21
	v_max_f32_e32 v22, v22, v22
	v_max_f32_e32 v18, v18, v18
	v_min_f32_e32 v23, v18, v22
	v_max_f32_e32 v18, v18, v22
	v_cndmask_b32_e64 v22, v18, v23, s[40:41]
	v_and_b32_e32 v18, 0x7f800000, v22
	v_cmp_ne_u32_e32 vcc, s96, v18
                                        ; implicit-def: $vgpr18
	s_and_saveexec_b64 s[36:37], vcc
	s_xor_b64 vcc, exec, s[36:37]
; %bb.1726:                             ;   in Loop: Header=BB8_1714 Depth=3
	v_bfe_u32 v18, v22, 16, 1
	v_add3_u32 v18, v22, v18, s97
                                        ; implicit-def: $vgpr22
; %bb.1727:                             ;   in Loop: Header=BB8_1714 Depth=3
	s_andn2_saveexec_b64 s[36:37], vcc
; %bb.1728:                             ;   in Loop: Header=BB8_1714 Depth=3
	v_or_b32_e32 v18, 0x10000, v22
	v_cmp_eq_u32_sdwa vcc, v22, v2 src0_sel:WORD_0 src1_sel:DWORD
	v_cndmask_b32_e32 v18, v18, v22, vcc
; %bb.1729:                             ;   in Loop: Header=BB8_1714 Depth=3
	s_or_b64 exec, exec, s[36:37]
	v_and_b32_e32 v3, 0xffff0000, v3
	v_and_b32_e32 v21, 0xffff0000, v21
	v_max_f32_e32 v21, v21, v21
	v_max_f32_e32 v3, v3, v3
	v_min_f32_e32 v22, v3, v21
	v_max_f32_e32 v3, v3, v21
	v_cndmask_b32_e64 v3, v3, v22, s[40:41]
	v_and_b32_e32 v21, 0x7f800000, v3
	v_cmp_ne_u32_e32 vcc, s96, v21
                                        ; implicit-def: $vgpr21
	s_and_saveexec_b64 s[36:37], vcc
	s_xor_b64 vcc, exec, s[36:37]
; %bb.1730:                             ;   in Loop: Header=BB8_1714 Depth=3
	v_bfe_u32 v21, v3, 16, 1
	v_add3_u32 v21, v3, v21, s97
                                        ; implicit-def: $vgpr3
; %bb.1731:                             ;   in Loop: Header=BB8_1714 Depth=3
	s_andn2_saveexec_b64 s[36:37], vcc
; %bb.1732:                             ;   in Loop: Header=BB8_1714 Depth=3
	v_or_b32_e32 v21, 0x10000, v3
	v_cmp_eq_u32_sdwa vcc, v3, v2 src0_sel:WORD_0 src1_sel:DWORD
	v_cndmask_b32_e32 v21, v21, v3, vcc
; %bb.1733:                             ;   in Loop: Header=BB8_1714 Depth=3
	s_or_b64 exec, exec, s[36:37]
	v_lshlrev_b32_e32 v3, 16, v19
	s_waitcnt vmcnt(2)
	v_lshlrev_b32_e32 v22, 16, v20
	v_max_f32_e32 v22, v22, v22
	v_max_f32_e32 v3, v3, v3
	v_min_f32_e32 v23, v3, v22
	v_max_f32_e32 v3, v3, v22
	v_cndmask_b32_e64 v22, v3, v23, s[40:41]
	v_and_b32_e32 v3, 0x7f800000, v22
	v_cmp_ne_u32_e32 vcc, s96, v3
                                        ; implicit-def: $vgpr3
	s_and_saveexec_b64 s[36:37], vcc
	s_xor_b64 vcc, exec, s[36:37]
; %bb.1734:                             ;   in Loop: Header=BB8_1714 Depth=3
	v_bfe_u32 v3, v22, 16, 1
	v_add3_u32 v3, v22, v3, s97
                                        ; implicit-def: $vgpr22
; %bb.1735:                             ;   in Loop: Header=BB8_1714 Depth=3
	s_andn2_saveexec_b64 s[36:37], vcc
; %bb.1736:                             ;   in Loop: Header=BB8_1714 Depth=3
	v_or_b32_e32 v3, 0x10000, v22
	v_cmp_eq_u32_sdwa vcc, v22, v2 src0_sel:WORD_0 src1_sel:DWORD
	v_cndmask_b32_e32 v3, v3, v22, vcc
; %bb.1737:                             ;   in Loop: Header=BB8_1714 Depth=3
	s_or_b64 exec, exec, s[36:37]
	v_and_b32_e32 v19, 0xffff0000, v19
	v_and_b32_e32 v20, 0xffff0000, v20
	v_max_f32_e32 v20, v20, v20
	v_max_f32_e32 v19, v19, v19
	v_min_f32_e32 v22, v19, v20
	v_max_f32_e32 v19, v19, v20
	v_cndmask_b32_e64 v20, v19, v22, s[40:41]
	v_and_b32_e32 v19, 0x7f800000, v20
	v_cmp_ne_u32_e32 vcc, s96, v19
                                        ; implicit-def: $vgpr19
	s_and_saveexec_b64 s[36:37], vcc
	s_xor_b64 vcc, exec, s[36:37]
; %bb.1738:                             ;   in Loop: Header=BB8_1714 Depth=3
	v_bfe_u32 v19, v20, 16, 1
	v_add3_u32 v19, v20, v19, s97
                                        ; implicit-def: $vgpr20
; %bb.1739:                             ;   in Loop: Header=BB8_1714 Depth=3
	s_andn2_saveexec_b64 s[36:37], vcc
; %bb.1740:                             ;   in Loop: Header=BB8_1714 Depth=3
	v_or_b32_e32 v19, 0x10000, v20
	v_cmp_eq_u32_sdwa vcc, v20, v2 src0_sel:WORD_0 src1_sel:DWORD
	v_cndmask_b32_e32 v19, v19, v20, vcc
; %bb.1741:                             ;   in Loop: Header=BB8_1714 Depth=3
	s_or_b64 exec, exec, s[36:37]
	s_waitcnt vmcnt(0)
	v_lshlrev_b32_e32 v20, 16, v16
	v_lshlrev_b32_e32 v22, 16, v15
	v_max_f32_e32 v22, v22, v22
	v_max_f32_e32 v20, v20, v20
	v_min_f32_e32 v23, v20, v22
	v_max_f32_e32 v20, v20, v22
	v_cndmask_b32_e64 v22, v20, v23, s[40:41]
	v_and_b32_e32 v20, 0x7f800000, v22
	v_cmp_ne_u32_e32 vcc, s96, v20
                                        ; implicit-def: $vgpr20
	s_and_saveexec_b64 s[36:37], vcc
	s_xor_b64 vcc, exec, s[36:37]
; %bb.1742:                             ;   in Loop: Header=BB8_1714 Depth=3
	v_bfe_u32 v20, v22, 16, 1
	v_add3_u32 v20, v22, v20, s97
                                        ; implicit-def: $vgpr22
; %bb.1743:                             ;   in Loop: Header=BB8_1714 Depth=3
	s_andn2_saveexec_b64 s[36:37], vcc
; %bb.1744:                             ;   in Loop: Header=BB8_1714 Depth=3
	v_or_b32_e32 v20, 0x10000, v22
	v_cmp_eq_u32_sdwa vcc, v22, v2 src0_sel:WORD_0 src1_sel:DWORD
	v_cndmask_b32_e32 v20, v20, v22, vcc
; %bb.1745:                             ;   in Loop: Header=BB8_1714 Depth=3
	s_or_b64 exec, exec, s[36:37]
	v_and_b32_e32 v16, 0xffff0000, v16
	v_and_b32_e32 v15, 0xffff0000, v15
	v_max_f32_e32 v15, v15, v15
	v_max_f32_e32 v16, v16, v16
	v_min_f32_e32 v22, v16, v15
	v_max_f32_e32 v15, v16, v15
	v_cndmask_b32_e64 v16, v15, v22, s[40:41]
	v_and_b32_e32 v15, 0x7f800000, v16
	v_cmp_ne_u32_e32 vcc, s96, v15
                                        ; implicit-def: $vgpr15
	s_and_saveexec_b64 s[36:37], vcc
	s_xor_b64 vcc, exec, s[36:37]
; %bb.1746:                             ;   in Loop: Header=BB8_1714 Depth=3
	v_bfe_u32 v15, v16, 16, 1
	v_add3_u32 v15, v16, v15, s97
                                        ; implicit-def: $vgpr16
; %bb.1747:                             ;   in Loop: Header=BB8_1714 Depth=3
	s_andn2_saveexec_b64 s[36:37], vcc
; %bb.1748:                             ;   in Loop: Header=BB8_1714 Depth=3
	v_or_b32_e32 v15, 0x10000, v16
	v_cmp_eq_u32_sdwa vcc, v16, v2 src0_sel:WORD_0 src1_sel:DWORD
	v_cndmask_b32_e32 v15, v15, v16, vcc
; %bb.1749:                             ;   in Loop: Header=BB8_1714 Depth=3
	s_or_b64 exec, exec, s[36:37]
	v_lshrrev_b32_e32 v16, 16, v18
	v_lshrrev_b32_e32 v3, 16, v3
	v_and_or_b32 v18, v21, s56, v16
	v_lshrrev_b32_e32 v14, 16, v14
	v_and_or_b32 v19, v19, s56, v3
	;; [unrolled: 2-line block ×3, first 2 shown]
	v_and_or_b32 v20, v15, s56, v3
	buffer_store_dword v18, off, s[0:3], s33 offset:100
	buffer_store_dword v17, off, s[0:3], s33 offset:96
	;; [unrolled: 1-line block ×4, first 2 shown]
	buffer_load_dword v3, off, s[0:3], s33 offset:128 ; 4-byte Folded Reload
	s_nop 0
	global_store_dwordx4 v[0:1], v[17:20], off glc slc
	s_waitcnt vmcnt(1)
	v_add_co_u32_e32 v0, vcc, v3, v0
	v_addc_co_u32_e32 v1, vcc, v53, v1, vcc
.LBB8_1750:                             ;   in Loop: Header=BB8_1714 Depth=3
	s_or_b64 exec, exec, s[42:43]
	buffer_load_dword v3, off, s[0:3], s33 offset:168 ; 4-byte Folded Reload
	v_add_co_u32_e32 v10, vcc, v10, v54
	v_addc_co_u32_e32 v11, vcc, v11, v55, vcc
	v_add_co_u32_e32 v12, vcc, v12, v54
	v_addc_co_u32_e32 v13, vcc, v13, v55, vcc
	s_waitcnt vmcnt(0)
	v_sub_u32_e32 v9, v9, v3
	v_cmp_lt_i32_e64 s[36:37], 15, v9
	s_and_saveexec_b64 s[38:39], s[36:37]
	s_cbranch_execz .LBB8_1753
; %bb.1751:                             ;   in Loop: Header=BB8_1714 Depth=3
	s_lshr_b32 s47, s33, 6
	s_addk_i32 s47, 0x60
	s_mov_b64 s[50:51], 0
	s_mov_b64 s[48:49], -1
.LBB8_1752:                             ;   Parent Loop BB8_47 Depth=1
                                        ;     Parent Loop BB8_955 Depth=2
                                        ;       Parent Loop BB8_1714 Depth=3
                                        ; =>      This Inner Loop Header: Depth=4
	s_cmp_eq_u32 s50, 1
	s_cselect_b64 s[42:43], -1, 0
	v_cndmask_b32_e64 v19, v11, v13, s[42:43]
	v_cndmask_b32_e64 v18, v10, v12, s[42:43]
	global_load_dwordx4 v[14:17], v[18:19], off glc slc
	v_mov_b32_e32 v3, s47
	s_cmp_eq_u32 s50, 0
	s_mov_b64 s[50:51], 1
	s_mov_b32 s47, s82
	s_waitcnt vmcnt(0)
	buffer_store_dword v15, v3, s[0:3], 0 offen offset:4
	buffer_store_dword v14, v3, s[0:3], 0 offen
	buffer_store_dword v17, v3, s[0:3], 0 offen offset:12
	buffer_store_dword v16, v3, s[0:3], 0 offen offset:8
	v_add_co_u32_e32 v3, vcc, s55, v18
	v_addc_co_u32_e32 v14, vcc, 0, v19, vcc
	s_cselect_b64 vcc, -1, 0
	v_cndmask_b32_e32 v11, v11, v14, vcc
	v_cndmask_b32_e32 v10, v10, v3, vcc
	v_cndmask_b32_e64 v13, v13, v14, s[42:43]
	v_cndmask_b32_e64 v12, v12, v3, s[42:43]
	s_and_b64 vcc, exec, s[48:49]
	s_mov_b64 s[48:49], 0
	s_cbranch_vccnz .LBB8_1752
.LBB8_1753:                             ;   in Loop: Header=BB8_1714 Depth=3
	s_or_b64 exec, exec, s[38:39]
	buffer_load_dword v17, off, s[0:3], s33 offset:64
	buffer_load_dword v18, off, s[0:3], s33 offset:80
	;; [unrolled: 1-line block ×8, first 2 shown]
	s_waitcnt vmcnt(7)
	v_lshlrev_b32_e32 v14, 16, v17
	s_waitcnt vmcnt(6)
	v_lshlrev_b32_e32 v22, 16, v18
	v_max_f32_e32 v22, v22, v22
	v_max_f32_e32 v14, v14, v14
	v_min_f32_e32 v23, v14, v22
	v_max_f32_e32 v14, v14, v22
	v_cndmask_b32_e64 v22, v14, v23, s[40:41]
	v_and_b32_e32 v14, 0x7f800000, v22
	v_cmp_ne_u32_e32 vcc, s96, v14
                                        ; implicit-def: $vgpr14
	s_and_saveexec_b64 s[42:43], vcc
	s_xor_b64 s[42:43], exec, s[42:43]
; %bb.1754:                             ;   in Loop: Header=BB8_1714 Depth=3
	v_bfe_u32 v14, v22, 16, 1
	v_add3_u32 v14, v22, v14, s97
                                        ; implicit-def: $vgpr22
; %bb.1755:                             ;   in Loop: Header=BB8_1714 Depth=3
	s_andn2_saveexec_b64 s[42:43], s[42:43]
; %bb.1756:                             ;   in Loop: Header=BB8_1714 Depth=3
	v_or_b32_e32 v14, 0x10000, v22
	v_cmp_eq_u32_sdwa vcc, v22, v2 src0_sel:WORD_0 src1_sel:DWORD
	v_cndmask_b32_e32 v14, v14, v22, vcc
; %bb.1757:                             ;   in Loop: Header=BB8_1714 Depth=3
	s_or_b64 exec, exec, s[42:43]
	v_and_b32_e32 v17, 0xffff0000, v17
	v_and_b32_e32 v18, 0xffff0000, v18
	v_max_f32_e32 v18, v18, v18
	v_max_f32_e32 v17, v17, v17
	v_min_f32_e32 v22, v17, v18
	v_max_f32_e32 v17, v17, v18
	v_cndmask_b32_e64 v18, v17, v22, s[40:41]
	v_and_b32_e32 v17, 0x7f800000, v18
	v_cmp_ne_u32_e32 vcc, s96, v17
                                        ; implicit-def: $vgpr17
	s_and_saveexec_b64 s[42:43], vcc
	s_xor_b64 s[42:43], exec, s[42:43]
; %bb.1758:                             ;   in Loop: Header=BB8_1714 Depth=3
	v_bfe_u32 v17, v18, 16, 1
	v_add3_u32 v17, v18, v17, s97
                                        ; implicit-def: $vgpr18
; %bb.1759:                             ;   in Loop: Header=BB8_1714 Depth=3
	s_andn2_saveexec_b64 s[42:43], s[42:43]
; %bb.1760:                             ;   in Loop: Header=BB8_1714 Depth=3
	v_or_b32_e32 v17, 0x10000, v18
	v_cmp_eq_u32_sdwa vcc, v18, v2 src0_sel:WORD_0 src1_sel:DWORD
	v_cndmask_b32_e32 v17, v17, v18, vcc
; %bb.1761:                             ;   in Loop: Header=BB8_1714 Depth=3
	s_or_b64 exec, exec, s[42:43]
	s_waitcnt vmcnt(5)
	v_lshlrev_b32_e32 v18, 16, v3
	s_waitcnt vmcnt(3)
	v_lshlrev_b32_e32 v22, 16, v21
	v_max_f32_e32 v22, v22, v22
	v_max_f32_e32 v18, v18, v18
	v_min_f32_e32 v23, v18, v22
	v_max_f32_e32 v18, v18, v22
	v_cndmask_b32_e64 v22, v18, v23, s[40:41]
	v_and_b32_e32 v18, 0x7f800000, v22
	v_cmp_ne_u32_e32 vcc, s96, v18
                                        ; implicit-def: $vgpr18
	s_and_saveexec_b64 s[42:43], vcc
	s_xor_b64 s[42:43], exec, s[42:43]
; %bb.1762:                             ;   in Loop: Header=BB8_1714 Depth=3
	v_bfe_u32 v18, v22, 16, 1
	v_add3_u32 v18, v22, v18, s97
                                        ; implicit-def: $vgpr22
; %bb.1763:                             ;   in Loop: Header=BB8_1714 Depth=3
	s_andn2_saveexec_b64 s[42:43], s[42:43]
; %bb.1764:                             ;   in Loop: Header=BB8_1714 Depth=3
	v_or_b32_e32 v18, 0x10000, v22
	v_cmp_eq_u32_sdwa vcc, v22, v2 src0_sel:WORD_0 src1_sel:DWORD
	v_cndmask_b32_e32 v18, v18, v22, vcc
; %bb.1765:                             ;   in Loop: Header=BB8_1714 Depth=3
	s_or_b64 exec, exec, s[42:43]
	v_and_b32_e32 v3, 0xffff0000, v3
	v_and_b32_e32 v21, 0xffff0000, v21
	v_max_f32_e32 v21, v21, v21
	v_max_f32_e32 v3, v3, v3
	v_min_f32_e32 v22, v3, v21
	v_max_f32_e32 v3, v3, v21
	v_cndmask_b32_e64 v3, v3, v22, s[40:41]
	v_and_b32_e32 v21, 0x7f800000, v3
	v_cmp_ne_u32_e32 vcc, s96, v21
                                        ; implicit-def: $vgpr21
	s_and_saveexec_b64 s[42:43], vcc
	s_xor_b64 s[42:43], exec, s[42:43]
; %bb.1766:                             ;   in Loop: Header=BB8_1714 Depth=3
	v_bfe_u32 v21, v3, 16, 1
	v_add3_u32 v21, v3, v21, s97
                                        ; implicit-def: $vgpr3
; %bb.1767:                             ;   in Loop: Header=BB8_1714 Depth=3
	s_andn2_saveexec_b64 s[42:43], s[42:43]
; %bb.1768:                             ;   in Loop: Header=BB8_1714 Depth=3
	v_or_b32_e32 v21, 0x10000, v3
	v_cmp_eq_u32_sdwa vcc, v3, v2 src0_sel:WORD_0 src1_sel:DWORD
	v_cndmask_b32_e32 v21, v21, v3, vcc
; %bb.1769:                             ;   in Loop: Header=BB8_1714 Depth=3
	s_or_b64 exec, exec, s[42:43]
	v_lshlrev_b32_e32 v3, 16, v19
	s_waitcnt vmcnt(2)
	v_lshlrev_b32_e32 v22, 16, v20
	v_max_f32_e32 v22, v22, v22
	v_max_f32_e32 v3, v3, v3
	v_min_f32_e32 v23, v3, v22
	v_max_f32_e32 v3, v3, v22
	v_cndmask_b32_e64 v22, v3, v23, s[40:41]
	v_and_b32_e32 v3, 0x7f800000, v22
	v_cmp_ne_u32_e32 vcc, s96, v3
                                        ; implicit-def: $vgpr3
	s_and_saveexec_b64 s[42:43], vcc
	s_xor_b64 s[42:43], exec, s[42:43]
; %bb.1770:                             ;   in Loop: Header=BB8_1714 Depth=3
	v_bfe_u32 v3, v22, 16, 1
	v_add3_u32 v3, v22, v3, s97
                                        ; implicit-def: $vgpr22
; %bb.1771:                             ;   in Loop: Header=BB8_1714 Depth=3
	s_andn2_saveexec_b64 s[42:43], s[42:43]
; %bb.1772:                             ;   in Loop: Header=BB8_1714 Depth=3
	v_or_b32_e32 v3, 0x10000, v22
	v_cmp_eq_u32_sdwa vcc, v22, v2 src0_sel:WORD_0 src1_sel:DWORD
	v_cndmask_b32_e32 v3, v3, v22, vcc
; %bb.1773:                             ;   in Loop: Header=BB8_1714 Depth=3
	s_or_b64 exec, exec, s[42:43]
	v_and_b32_e32 v19, 0xffff0000, v19
	v_and_b32_e32 v20, 0xffff0000, v20
	v_max_f32_e32 v20, v20, v20
	v_max_f32_e32 v19, v19, v19
	v_min_f32_e32 v22, v19, v20
	v_max_f32_e32 v19, v19, v20
	v_cndmask_b32_e64 v20, v19, v22, s[40:41]
	v_and_b32_e32 v19, 0x7f800000, v20
	v_cmp_ne_u32_e32 vcc, s96, v19
                                        ; implicit-def: $vgpr19
	s_and_saveexec_b64 s[42:43], vcc
	s_xor_b64 s[42:43], exec, s[42:43]
; %bb.1774:                             ;   in Loop: Header=BB8_1714 Depth=3
	v_bfe_u32 v19, v20, 16, 1
	v_add3_u32 v19, v20, v19, s97
                                        ; implicit-def: $vgpr20
; %bb.1775:                             ;   in Loop: Header=BB8_1714 Depth=3
	s_andn2_saveexec_b64 s[42:43], s[42:43]
; %bb.1776:                             ;   in Loop: Header=BB8_1714 Depth=3
	v_or_b32_e32 v19, 0x10000, v20
	v_cmp_eq_u32_sdwa vcc, v20, v2 src0_sel:WORD_0 src1_sel:DWORD
	v_cndmask_b32_e32 v19, v19, v20, vcc
; %bb.1777:                             ;   in Loop: Header=BB8_1714 Depth=3
	s_or_b64 exec, exec, s[42:43]
	s_waitcnt vmcnt(0)
	v_lshlrev_b32_e32 v20, 16, v16
	v_lshlrev_b32_e32 v22, 16, v15
	v_max_f32_e32 v22, v22, v22
	v_max_f32_e32 v20, v20, v20
	v_min_f32_e32 v23, v20, v22
	v_max_f32_e32 v20, v20, v22
	v_cndmask_b32_e64 v22, v20, v23, s[40:41]
	v_and_b32_e32 v20, 0x7f800000, v22
	v_cmp_ne_u32_e32 vcc, s96, v20
                                        ; implicit-def: $vgpr20
	s_and_saveexec_b64 s[42:43], vcc
	s_xor_b64 s[42:43], exec, s[42:43]
; %bb.1778:                             ;   in Loop: Header=BB8_1714 Depth=3
	v_bfe_u32 v20, v22, 16, 1
	v_add3_u32 v20, v22, v20, s97
                                        ; implicit-def: $vgpr22
; %bb.1779:                             ;   in Loop: Header=BB8_1714 Depth=3
	s_andn2_saveexec_b64 s[42:43], s[42:43]
; %bb.1780:                             ;   in Loop: Header=BB8_1714 Depth=3
	v_or_b32_e32 v20, 0x10000, v22
	v_cmp_eq_u32_sdwa vcc, v22, v2 src0_sel:WORD_0 src1_sel:DWORD
	v_cndmask_b32_e32 v20, v20, v22, vcc
; %bb.1781:                             ;   in Loop: Header=BB8_1714 Depth=3
	s_or_b64 exec, exec, s[42:43]
	v_and_b32_e32 v16, 0xffff0000, v16
	v_and_b32_e32 v15, 0xffff0000, v15
	v_max_f32_e32 v15, v15, v15
	v_max_f32_e32 v16, v16, v16
	v_min_f32_e32 v22, v16, v15
	v_max_f32_e32 v15, v16, v15
	v_cndmask_b32_e64 v16, v15, v22, s[40:41]
	v_and_b32_e32 v15, 0x7f800000, v16
	v_cmp_ne_u32_e32 vcc, s96, v15
                                        ; implicit-def: $vgpr15
	s_and_saveexec_b64 s[42:43], vcc
	s_xor_b64 s[42:43], exec, s[42:43]
; %bb.1782:                             ;   in Loop: Header=BB8_1714 Depth=3
	v_bfe_u32 v15, v16, 16, 1
	v_add3_u32 v15, v16, v15, s97
                                        ; implicit-def: $vgpr16
; %bb.1783:                             ;   in Loop: Header=BB8_1714 Depth=3
	s_andn2_saveexec_b64 s[42:43], s[42:43]
; %bb.1784:                             ;   in Loop: Header=BB8_1714 Depth=3
	v_or_b32_e32 v15, 0x10000, v16
	v_cmp_eq_u32_sdwa vcc, v16, v2 src0_sel:WORD_0 src1_sel:DWORD
	v_cndmask_b32_e32 v15, v15, v16, vcc
; %bb.1785:                             ;   in Loop: Header=BB8_1714 Depth=3
	s_or_b64 exec, exec, s[42:43]
	v_lshrrev_b32_e32 v3, 16, v3
	v_lshrrev_b32_e32 v16, 16, v18
	;; [unrolled: 1-line block ×3, first 2 shown]
	v_and_or_b32 v19, v19, s56, v3
	v_lshrrev_b32_e32 v3, 16, v20
	v_and_or_b32 v18, v21, s56, v16
	v_and_or_b32 v17, v17, s56, v14
	v_and_or_b32 v20, v15, s56, v3
	buffer_store_dword v18, off, s[0:3], s33 offset:68
	buffer_store_dword v17, off, s[0:3], s33 offset:64
	buffer_store_dword v20, off, s[0:3], s33 offset:76
	buffer_store_dword v19, off, s[0:3], s33 offset:72
	global_store_dwordx4 v[0:1], v[17:20], off glc slc
	v_add_co_u32_e32 v0, vcc, 0x400, v0
	v_sub_u32_e32 v8, v8, v52
	v_addc_co_u32_e32 v1, vcc, 0, v1, vcc
	s_and_saveexec_b64 s[42:43], s[36:37]
	s_cbranch_execz .LBB8_1713
; %bb.1786:                             ;   in Loop: Header=BB8_1714 Depth=3
	buffer_load_dword v3, off, s[0:3], s33 offset:168 ; 4-byte Folded Reload
	v_add_co_u32_e32 v10, vcc, v10, v54
	v_addc_co_u32_e32 v11, vcc, v11, v55, vcc
	v_add_co_u32_e32 v12, vcc, v12, v54
	v_addc_co_u32_e32 v13, vcc, v13, v55, vcc
	;; [unrolled: 2-line block ×3, first 2 shown]
	v_sub_u32_e32 v8, v8, v52
	s_waitcnt vmcnt(0)
	v_sub_u32_e32 v9, v9, v3
	s_branch .LBB8_1713
.LBB8_1787:                             ;   in Loop: Header=BB8_955 Depth=2
	s_or_b64 exec, exec, s[30:31]
	s_and_b64 s[40:41], s[34:35], exec
.LBB8_1788:                             ;   in Loop: Header=BB8_955 Depth=2
	s_or_b64 exec, exec, s[94:95]
	s_and_saveexec_b64 s[42:43], s[40:41]
	s_cbranch_execz .LBB8_1822
; %bb.1789:                             ;   in Loop: Header=BB8_955 Depth=2
	buffer_load_dword v12, off, s[0:3], s33 offset:96
	buffer_load_dword v13, off, s[0:3], s33 offset:112
	;; [unrolled: 1-line block ×8, first 2 shown]
	s_and_b32 s40, 0xffff, s46
	s_cmp_eq_u32 s40, 0
	s_cselect_b64 vcc, -1, 0
	s_waitcnt vmcnt(0)
	v_lshlrev_b32_e32 v9, 16, v12
	v_lshlrev_b32_e32 v17, 16, v13
	v_max_f32_e32 v17, v17, v17
	v_max_f32_e32 v9, v9, v9
	v_min_f32_e32 v18, v9, v17
	v_max_f32_e32 v9, v9, v17
	v_cndmask_b32_e32 v17, v9, v18, vcc
	v_and_b32_e32 v9, 0x7f800000, v17
	v_cmp_ne_u32_e64 s[40:41], s96, v9
                                        ; implicit-def: $vgpr9
	s_and_saveexec_b64 s[94:95], s[40:41]
	s_xor_b64 s[40:41], exec, s[94:95]
; %bb.1790:                             ;   in Loop: Header=BB8_955 Depth=2
	v_bfe_u32 v9, v17, 16, 1
	v_add3_u32 v9, v17, v9, s97
                                        ; implicit-def: $vgpr17
; %bb.1791:                             ;   in Loop: Header=BB8_955 Depth=2
	s_andn2_saveexec_b64 s[94:95], s[40:41]
; %bb.1792:                             ;   in Loop: Header=BB8_955 Depth=2
	v_or_b32_e32 v9, 0x10000, v17
	v_cmp_eq_u32_sdwa s[40:41], v17, v2 src0_sel:WORD_0 src1_sel:DWORD
	v_cndmask_b32_e64 v9, v9, v17, s[40:41]
; %bb.1793:                             ;   in Loop: Header=BB8_955 Depth=2
	s_or_b64 exec, exec, s[94:95]
	v_and_b32_e32 v12, 0xffff0000, v12
	v_and_b32_e32 v13, 0xffff0000, v13
	v_max_f32_e32 v13, v13, v13
	v_max_f32_e32 v12, v12, v12
	v_min_f32_e32 v17, v12, v13
	v_max_f32_e32 v12, v12, v13
	v_cndmask_b32_e32 v13, v12, v17, vcc
	v_and_b32_e32 v12, 0x7f800000, v13
	v_cmp_ne_u32_e64 s[40:41], s96, v12
                                        ; implicit-def: $vgpr12
	s_and_saveexec_b64 s[94:95], s[40:41]
	s_xor_b64 s[40:41], exec, s[94:95]
; %bb.1794:                             ;   in Loop: Header=BB8_955 Depth=2
	v_bfe_u32 v12, v13, 16, 1
	v_add3_u32 v12, v13, v12, s97
                                        ; implicit-def: $vgpr13
; %bb.1795:                             ;   in Loop: Header=BB8_955 Depth=2
	s_andn2_saveexec_b64 s[94:95], s[40:41]
; %bb.1796:                             ;   in Loop: Header=BB8_955 Depth=2
	v_or_b32_e32 v12, 0x10000, v13
	v_cmp_eq_u32_sdwa s[40:41], v13, v2 src0_sel:WORD_0 src1_sel:DWORD
	v_cndmask_b32_e64 v12, v12, v13, s[40:41]
; %bb.1797:                             ;   in Loop: Header=BB8_955 Depth=2
	s_or_b64 exec, exec, s[94:95]
	v_lshlrev_b32_e32 v13, 16, v3
	v_lshlrev_b32_e32 v17, 16, v16
	v_max_f32_e32 v17, v17, v17
	v_max_f32_e32 v13, v13, v13
	v_min_f32_e32 v18, v13, v17
	v_max_f32_e32 v13, v13, v17
	v_cndmask_b32_e32 v17, v13, v18, vcc
	v_and_b32_e32 v13, 0x7f800000, v17
	v_cmp_ne_u32_e64 s[40:41], s96, v13
                                        ; implicit-def: $vgpr13
	s_and_saveexec_b64 s[94:95], s[40:41]
	s_xor_b64 s[40:41], exec, s[94:95]
; %bb.1798:                             ;   in Loop: Header=BB8_955 Depth=2
	v_bfe_u32 v13, v17, 16, 1
	v_add3_u32 v13, v17, v13, s97
                                        ; implicit-def: $vgpr17
; %bb.1799:                             ;   in Loop: Header=BB8_955 Depth=2
	s_andn2_saveexec_b64 s[94:95], s[40:41]
; %bb.1800:                             ;   in Loop: Header=BB8_955 Depth=2
	v_or_b32_e32 v13, 0x10000, v17
	v_cmp_eq_u32_sdwa s[40:41], v17, v2 src0_sel:WORD_0 src1_sel:DWORD
	v_cndmask_b32_e64 v13, v13, v17, s[40:41]
; %bb.1801:                             ;   in Loop: Header=BB8_955 Depth=2
	s_or_b64 exec, exec, s[94:95]
	v_and_b32_e32 v3, 0xffff0000, v3
	v_and_b32_e32 v16, 0xffff0000, v16
	v_max_f32_e32 v16, v16, v16
	v_max_f32_e32 v3, v3, v3
	v_min_f32_e32 v17, v3, v16
	v_max_f32_e32 v3, v3, v16
	v_cndmask_b32_e32 v3, v3, v17, vcc
	v_and_b32_e32 v16, 0x7f800000, v3
	v_cmp_ne_u32_e64 s[40:41], s96, v16
                                        ; implicit-def: $vgpr16
	s_and_saveexec_b64 s[94:95], s[40:41]
	s_xor_b64 s[40:41], exec, s[94:95]
; %bb.1802:                             ;   in Loop: Header=BB8_955 Depth=2
	v_bfe_u32 v16, v3, 16, 1
	v_add3_u32 v16, v3, v16, s97
                                        ; implicit-def: $vgpr3
; %bb.1803:                             ;   in Loop: Header=BB8_955 Depth=2
	s_andn2_saveexec_b64 s[94:95], s[40:41]
; %bb.1804:                             ;   in Loop: Header=BB8_955 Depth=2
	v_or_b32_e32 v16, 0x10000, v3
	v_cmp_eq_u32_sdwa s[40:41], v3, v2 src0_sel:WORD_0 src1_sel:DWORD
	v_cndmask_b32_e64 v16, v16, v3, s[40:41]
; %bb.1805:                             ;   in Loop: Header=BB8_955 Depth=2
	s_or_b64 exec, exec, s[94:95]
	v_lshlrev_b32_e32 v3, 16, v14
	v_lshlrev_b32_e32 v17, 16, v15
	v_max_f32_e32 v17, v17, v17
	v_max_f32_e32 v3, v3, v3
	v_min_f32_e32 v18, v3, v17
	v_max_f32_e32 v3, v3, v17
	v_cndmask_b32_e32 v17, v3, v18, vcc
	v_and_b32_e32 v3, 0x7f800000, v17
	v_cmp_ne_u32_e64 s[40:41], s96, v3
                                        ; implicit-def: $vgpr3
	s_and_saveexec_b64 s[94:95], s[40:41]
	s_xor_b64 s[40:41], exec, s[94:95]
; %bb.1806:                             ;   in Loop: Header=BB8_955 Depth=2
	v_bfe_u32 v3, v17, 16, 1
	v_add3_u32 v3, v17, v3, s97
                                        ; implicit-def: $vgpr17
; %bb.1807:                             ;   in Loop: Header=BB8_955 Depth=2
	s_andn2_saveexec_b64 s[94:95], s[40:41]
; %bb.1808:                             ;   in Loop: Header=BB8_955 Depth=2
	v_or_b32_e32 v3, 0x10000, v17
	v_cmp_eq_u32_sdwa s[40:41], v17, v2 src0_sel:WORD_0 src1_sel:DWORD
	v_cndmask_b32_e64 v3, v3, v17, s[40:41]
; %bb.1809:                             ;   in Loop: Header=BB8_955 Depth=2
	s_or_b64 exec, exec, s[94:95]
	v_and_b32_e32 v14, 0xffff0000, v14
	v_and_b32_e32 v15, 0xffff0000, v15
	v_max_f32_e32 v15, v15, v15
	v_max_f32_e32 v14, v14, v14
	v_min_f32_e32 v17, v14, v15
	v_max_f32_e32 v14, v14, v15
	v_cndmask_b32_e32 v15, v14, v17, vcc
	v_and_b32_e32 v14, 0x7f800000, v15
	v_cmp_ne_u32_e64 s[40:41], s96, v14
                                        ; implicit-def: $vgpr14
	s_and_saveexec_b64 s[94:95], s[40:41]
	s_xor_b64 s[40:41], exec, s[94:95]
; %bb.1810:                             ;   in Loop: Header=BB8_955 Depth=2
	v_bfe_u32 v14, v15, 16, 1
	v_add3_u32 v14, v15, v14, s97
                                        ; implicit-def: $vgpr15
; %bb.1811:                             ;   in Loop: Header=BB8_955 Depth=2
	s_andn2_saveexec_b64 s[94:95], s[40:41]
; %bb.1812:                             ;   in Loop: Header=BB8_955 Depth=2
	v_or_b32_e32 v14, 0x10000, v15
	v_cmp_eq_u32_sdwa s[40:41], v15, v2 src0_sel:WORD_0 src1_sel:DWORD
	v_cndmask_b32_e64 v14, v14, v15, s[40:41]
; %bb.1813:                             ;   in Loop: Header=BB8_955 Depth=2
	s_or_b64 exec, exec, s[94:95]
	v_lshlrev_b32_e32 v15, 16, v11
	v_lshlrev_b32_e32 v17, 16, v10
	v_max_f32_e32 v17, v17, v17
	v_max_f32_e32 v15, v15, v15
	v_min_f32_e32 v18, v15, v17
	v_max_f32_e32 v15, v15, v17
	v_cndmask_b32_e32 v17, v15, v18, vcc
	v_and_b32_e32 v15, 0x7f800000, v17
	v_cmp_ne_u32_e64 s[40:41], s96, v15
                                        ; implicit-def: $vgpr15
	s_and_saveexec_b64 s[94:95], s[40:41]
	s_xor_b64 s[40:41], exec, s[94:95]
; %bb.1814:                             ;   in Loop: Header=BB8_955 Depth=2
	v_bfe_u32 v15, v17, 16, 1
	v_add3_u32 v15, v17, v15, s97
                                        ; implicit-def: $vgpr17
; %bb.1815:                             ;   in Loop: Header=BB8_955 Depth=2
	s_andn2_saveexec_b64 s[94:95], s[40:41]
; %bb.1816:                             ;   in Loop: Header=BB8_955 Depth=2
	v_or_b32_e32 v15, 0x10000, v17
	v_cmp_eq_u32_sdwa s[40:41], v17, v2 src0_sel:WORD_0 src1_sel:DWORD
	v_cndmask_b32_e64 v15, v15, v17, s[40:41]
; %bb.1817:                             ;   in Loop: Header=BB8_955 Depth=2
	s_or_b64 exec, exec, s[94:95]
	v_and_b32_e32 v11, 0xffff0000, v11
	v_and_b32_e32 v10, 0xffff0000, v10
	v_max_f32_e32 v10, v10, v10
	v_max_f32_e32 v11, v11, v11
	v_min_f32_e32 v17, v11, v10
	v_max_f32_e32 v10, v11, v10
	v_cndmask_b32_e32 v11, v10, v17, vcc
	v_and_b32_e32 v10, 0x7f800000, v11
	v_cmp_ne_u32_e32 vcc, s96, v10
                                        ; implicit-def: $vgpr10
	s_and_saveexec_b64 s[40:41], vcc
	s_xor_b64 s[40:41], exec, s[40:41]
; %bb.1818:                             ;   in Loop: Header=BB8_955 Depth=2
	v_bfe_u32 v10, v11, 16, 1
	v_add3_u32 v10, v11, v10, s97
                                        ; implicit-def: $vgpr11
; %bb.1819:                             ;   in Loop: Header=BB8_955 Depth=2
	s_andn2_saveexec_b64 s[40:41], s[40:41]
; %bb.1820:                             ;   in Loop: Header=BB8_955 Depth=2
	v_or_b32_e32 v10, 0x10000, v11
	v_cmp_eq_u32_sdwa vcc, v11, v2 src0_sel:WORD_0 src1_sel:DWORD
	v_cndmask_b32_e32 v10, v10, v11, vcc
; %bb.1821:                             ;   in Loop: Header=BB8_955 Depth=2
	s_or_b64 exec, exec, s[40:41]
	v_lshrrev_b32_e32 v3, 16, v3
	v_lshrrev_b32_e32 v11, 16, v13
	;; [unrolled: 1-line block ×3, first 2 shown]
	v_and_or_b32 v14, v14, s56, v3
	v_lshrrev_b32_e32 v3, 16, v15
	v_and_or_b32 v13, v16, s56, v11
	v_and_or_b32 v12, v12, s56, v9
	;; [unrolled: 1-line block ×3, first 2 shown]
	global_store_dwordx4 v[0:1], v[12:15], off glc slc
.LBB8_1822:                             ;   in Loop: Header=BB8_955 Depth=2
	s_or_b64 exec, exec, s[42:43]
	buffer_load_dword v0, off, s[0:3], s33 offset:292 ; 4-byte Folded Reload
	s_mov_b64 s[42:43], s[44:45]
                                        ; implicit-def: $vgpr10
                                        ; implicit-def: $vgpr11
	s_waitcnt vmcnt(0)
	v_and_b32_e32 v1, 14, v0
	v_cndmask_b32_e64 v0, v7, v1, s[28:29]
	v_cmp_ne_u32_e32 vcc, 0, v0
	buffer_store_dword v0, off, s[0:3], s33 offset:292 ; 4-byte Folded Spill
                                        ; implicit-def: $vgpr0
	s_and_saveexec_b64 s[40:41], vcc
	s_cbranch_execz .LBB8_1824
; %bb.1823:                             ;   in Loop: Header=BB8_955 Depth=2
	v_sub_u32_e32 v0, v7, v1
	v_cndmask_b32_e64 v0, 0, v0, s[28:29]
	v_cmp_lt_i32_e32 vcc, 0, v8
	v_add3_u32 v10, v6, v4, v0
	v_cndmask_b32_e32 v0, 0, v52, vcc
	v_sub_u32_e32 v0, v0, v8
	v_lshl_add_u32 v0, v0, 6, v5
	v_ashrrev_i32_e32 v1, 31, v0
	v_lshrrev_b32_e32 v1, 26, v1
	v_add_u32_e32 v1, v0, v1
	v_and_b32_e32 v1, 0xffffffc0, v1
	v_sub_u32_e32 v11, v0, v1
	s_or_b64 s[42:43], s[44:45], exec
.LBB8_1824:                             ;   in Loop: Header=BB8_955 Depth=2
	s_or_b64 exec, exec, s[40:41]
	s_andn2_b64 s[28:29], s[44:45], exec
	s_and_b64 s[40:41], s[42:43], exec
	s_or_b64 s[44:45], s[28:29], s[40:41]
.LBB8_1825:                             ;   in Loop: Header=BB8_955 Depth=2
	s_or_b64 exec, exec, s[92:93]
	s_and_saveexec_b64 s[42:43], s[44:45]
	s_cbranch_execz .LBB8_1957
.LBB8_1826:                             ;   in Loop: Header=BB8_955 Depth=2
	s_waitcnt vmcnt(0)
	v_ashrrev_i32_e32 v1, 31, v0
	v_lshrrev_b32_e32 v1, 26, v1
	v_add_u32_e32 v0, v0, v1
	v_ashrrev_i32_e32 v0, 6, v0
	v_lshlrev_b32_e32 v1, 10, v0
	v_lshlrev_b32_e32 v3, 1, v11
	v_add3_u32 v15, v10, v3, v1
	buffer_load_dword v3, off, s[0:3], s33 offset:292 ; 4-byte Folded Reload
	v_ashrrev_i32_e32 v17, 31, v15
	v_mov_b32_e32 v34, 0
	s_mov_b64 s[28:29], 0
	v_mov_b32_e32 v29, 0
	v_mov_b32_e32 v24, 0
	;; [unrolled: 1-line block ×14, first 2 shown]
	s_waitcnt vmcnt(0)
	v_ashrrev_i32_e32 v1, 31, v3
	v_lshrrev_b32_e32 v1, 22, v1
	v_add_u32_e32 v1, v3, v1
	v_ashrrev_i32_e32 v4, 10, v1
	v_sub_u32_e32 v5, v4, v0
	buffer_load_dword v0, off, s[0:3], s33 offset:304 ; 4-byte Folded Reload
	buffer_load_dword v1, off, s[0:3], s33 offset:308 ; 4-byte Folded Reload
	v_mov_b32_e32 v3, 0
	s_waitcnt vmcnt(0)
	v_add_co_u32_e32 v0, vcc, v0, v15
	v_addc_co_u32_e32 v1, vcc, v1, v17, vcc
	v_cmp_lt_i32_e32 vcc, 0, v5
	s_and_saveexec_b64 s[40:41], vcc
	s_cbranch_execz .LBB8_1898
; %bb.1827:                             ;   in Loop: Header=BB8_955 Depth=2
	s_trap 2
	ds_read_b64 v[8:9], v0
	buffer_load_dword v6, off, s[0:3], s33 offset:296 ; 4-byte Folded Reload
	buffer_load_dword v7, off, s[0:3], s33 offset:300 ; 4-byte Folded Reload
	s_and_b32 s28, s46, 0xff
	s_cmp_eq_u32 s28, 0
	s_mov_b64 s[94:95], 0
	s_mov_b64 s[92:93], 0
	s_cselect_b64 s[28:29], -1, 0
                                        ; implicit-def: $sgpr44_sgpr45
                                        ; implicit-def: $vgpr39
                                        ; implicit-def: $vgpr36
                                        ; implicit-def: $vgpr33
                                        ; implicit-def: $vgpr28
                                        ; implicit-def: $vgpr25
                                        ; implicit-def: $vgpr22
                                        ; implicit-def: $vgpr21
                                        ; implicit-def: $vgpr20
                                        ; implicit-def: $vgpr12
                                        ; implicit-def: $vgpr13
                                        ; implicit-def: $vgpr14
                                        ; implicit-def: $vgpr16
                                        ; implicit-def: $vgpr18
                                        ; implicit-def: $vgpr19
	s_waitcnt vmcnt(0)
	v_add_co_u32_e32 v6, vcc, v15, v6
	v_addc_co_u32_e32 v7, vcc, v17, v7, vcc
	s_waitcnt lgkmcnt(0)
	v_add_co_u32_e32 v8, vcc, v8, v15
	v_addc_co_u32_e32 v9, vcc, v9, v17, vcc
                                        ; implicit-def: $vgpr15
                                        ; implicit-def: $vgpr17
	s_branch .LBB8_1829
.LBB8_1828:                             ;   in Loop: Header=BB8_1829 Depth=3
	s_or_b64 exec, exec, s[30:31]
	flat_store_short_d16_hi v[0:1], v42 glc slc
	flat_store_short_d16_hi v[0:1], v50 offset:128 glc slc
	flat_store_short_d16_hi v[0:1], v48 offset:256 glc slc
	;; [unrolled: 1-line block ×7, first 2 shown]
	buffer_load_dword v29, off, s[0:3], s33 offset:128 ; 4-byte Folded Reload
	v_add_co_u32_e32 v3, vcc, v6, v54
	v_addc_co_u32_e32 v23, vcc, v7, v55, vcc
	v_add_co_u32_e32 v24, vcc, v8, v54
	v_mov_b32_e32 v30, 0x400
	v_addc_co_u32_e32 v26, vcc, v9, v55, vcc
	v_cndmask_b32_e64 v27, 0, v53, s[94:95]
	v_cndmask_b32_e64 v6, v6, v3, s[94:95]
	;; [unrolled: 1-line block ×3, first 2 shown]
	v_sub_u32_e32 v5, v5, v3
	v_cndmask_b32_e64 v7, v7, v23, s[94:95]
	v_cndmask_b32_e64 v9, v9, v26, s[94:95]
	;; [unrolled: 1-line block ×3, first 2 shown]
	s_waitcnt vmcnt(0)
	v_cndmask_b32_e64 v29, v30, v29, s[94:95]
	v_add_co_u32_e32 v0, vcc, v0, v29
	v_addc_co_u32_e32 v1, vcc, v1, v27, vcc
	v_cmp_gt_i32_e32 vcc, 1, v5
	s_or_b64 s[92:93], vcc, s[92:93]
	s_andn2_b64 s[44:45], s[44:45], exec
	s_and_b64 vcc, s[94:95], exec
	s_or_b64 s[44:45], s[44:45], vcc
	s_andn2_b64 exec, exec, s[92:93]
	s_cbranch_execz .LBB8_1897
.LBB8_1829:                             ;   Parent Loop BB8_47 Depth=1
                                        ;     Parent Loop BB8_955 Depth=2
                                        ; =>    This Inner Loop Header: Depth=3
	flat_load_ushort v43, v[6:7] glc slc
	flat_load_ushort v50, v[6:7] offset:128 glc slc
	flat_load_ushort v48, v[6:7] offset:256 glc slc
	;; [unrolled: 1-line block ×7, first 2 shown]
	flat_load_ushort v42, v[8:9] glc slc
	flat_load_ushort v51, v[8:9] offset:128 glc slc
	flat_load_ushort v49, v[8:9] offset:256 glc slc
	flat_load_ushort v38, v[8:9] offset:384 glc slc
	flat_load_ushort v35, v[8:9] offset:512 glc slc
	flat_load_ushort v32, v[8:9] offset:640 glc slc
	flat_load_ushort v27, v[8:9] offset:768 glc slc
	flat_load_ushort v24, v[8:9] offset:896 glc slc
	s_and_saveexec_b64 s[30:31], s[94:95]
	s_cbranch_execz .LBB8_1863
; %bb.1830:                             ;   in Loop: Header=BB8_1829 Depth=3
	v_lshlrev_b32_e32 v3, 16, v39
	v_lshlrev_b32_e32 v39, 16, v12
	v_max_f32_e32 v39, v39, v39
	v_max_f32_e32 v3, v3, v3
	v_min_f32_e32 v44, v3, v39
	v_max_f32_e32 v3, v3, v39
	v_cndmask_b32_e64 v3, v3, v44, s[28:29]
	v_and_b32_e32 v39, 0x7f800000, v3
	v_cmp_ne_u32_e32 vcc, s96, v39
                                        ; implicit-def: $vgpr39
	s_and_saveexec_b64 s[94:95], vcc
	s_xor_b64 s[94:95], exec, s[94:95]
; %bb.1831:                             ;   in Loop: Header=BB8_1829 Depth=3
	v_bfe_u32 v39, v3, 16, 1
	v_add3_u32 v39, v3, v39, s97
                                        ; implicit-def: $vgpr3
; %bb.1832:                             ;   in Loop: Header=BB8_1829 Depth=3
	s_andn2_saveexec_b64 s[94:95], s[94:95]
; %bb.1833:                             ;   in Loop: Header=BB8_1829 Depth=3
	v_or_b32_e32 v39, 0x10000, v3
	v_cmp_eq_u32_sdwa vcc, v3, v2 src0_sel:WORD_0 src1_sel:DWORD
	v_cndmask_b32_e32 v39, v39, v3, vcc
; %bb.1834:                             ;   in Loop: Header=BB8_1829 Depth=3
	s_or_b64 exec, exec, s[94:95]
	v_lshlrev_b32_e32 v3, 16, v36
	v_lshlrev_b32_e32 v36, 16, v13
	v_max_f32_e32 v36, v36, v36
	v_max_f32_e32 v3, v3, v3
	v_min_f32_e32 v44, v3, v36
	v_max_f32_e32 v3, v3, v36
	v_cndmask_b32_e64 v3, v3, v44, s[28:29]
	v_and_b32_e32 v36, 0x7f800000, v3
	v_cmp_ne_u32_e32 vcc, s96, v36
                                        ; implicit-def: $vgpr36
	s_and_saveexec_b64 s[94:95], vcc
	s_xor_b64 s[94:95], exec, s[94:95]
; %bb.1835:                             ;   in Loop: Header=BB8_1829 Depth=3
	v_bfe_u32 v36, v3, 16, 1
	v_add3_u32 v36, v3, v36, s97
                                        ; implicit-def: $vgpr3
; %bb.1836:                             ;   in Loop: Header=BB8_1829 Depth=3
	s_andn2_saveexec_b64 s[94:95], s[94:95]
; %bb.1837:                             ;   in Loop: Header=BB8_1829 Depth=3
	v_or_b32_e32 v36, 0x10000, v3
	v_cmp_eq_u32_sdwa vcc, v3, v2 src0_sel:WORD_0 src1_sel:DWORD
	v_cndmask_b32_e32 v36, v36, v3, vcc
; %bb.1838:                             ;   in Loop: Header=BB8_1829 Depth=3
	s_or_b64 exec, exec, s[94:95]
	v_lshlrev_b32_e32 v3, 16, v33
	v_lshlrev_b32_e32 v33, 16, v14
	v_max_f32_e32 v33, v33, v33
	v_max_f32_e32 v3, v3, v3
	v_min_f32_e32 v44, v3, v33
	v_max_f32_e32 v3, v3, v33
	v_cndmask_b32_e64 v3, v3, v44, s[28:29]
	v_and_b32_e32 v33, 0x7f800000, v3
	v_cmp_ne_u32_e32 vcc, s96, v33
                                        ; implicit-def: $vgpr33
	s_and_saveexec_b64 s[94:95], vcc
	s_xor_b64 s[94:95], exec, s[94:95]
; %bb.1839:                             ;   in Loop: Header=BB8_1829 Depth=3
	v_bfe_u32 v33, v3, 16, 1
	v_add3_u32 v33, v3, v33, s97
                                        ; implicit-def: $vgpr3
; %bb.1840:                             ;   in Loop: Header=BB8_1829 Depth=3
	s_andn2_saveexec_b64 s[94:95], s[94:95]
; %bb.1841:                             ;   in Loop: Header=BB8_1829 Depth=3
	v_or_b32_e32 v33, 0x10000, v3
	v_cmp_eq_u32_sdwa vcc, v3, v2 src0_sel:WORD_0 src1_sel:DWORD
	v_cndmask_b32_e32 v33, v33, v3, vcc
; %bb.1842:                             ;   in Loop: Header=BB8_1829 Depth=3
	s_or_b64 exec, exec, s[94:95]
	v_lshlrev_b32_e32 v3, 16, v28
	v_lshlrev_b32_e32 v28, 16, v15
	v_max_f32_e32 v28, v28, v28
	v_max_f32_e32 v3, v3, v3
	v_min_f32_e32 v44, v3, v28
	v_max_f32_e32 v3, v3, v28
	v_cndmask_b32_e64 v3, v3, v44, s[28:29]
	v_and_b32_e32 v28, 0x7f800000, v3
	v_cmp_ne_u32_e32 vcc, s96, v28
                                        ; implicit-def: $vgpr28
	s_and_saveexec_b64 s[94:95], vcc
	s_xor_b64 s[94:95], exec, s[94:95]
; %bb.1843:                             ;   in Loop: Header=BB8_1829 Depth=3
	v_bfe_u32 v28, v3, 16, 1
	v_add3_u32 v28, v3, v28, s97
                                        ; implicit-def: $vgpr3
; %bb.1844:                             ;   in Loop: Header=BB8_1829 Depth=3
	s_andn2_saveexec_b64 s[94:95], s[94:95]
; %bb.1845:                             ;   in Loop: Header=BB8_1829 Depth=3
	v_or_b32_e32 v28, 0x10000, v3
	v_cmp_eq_u32_sdwa vcc, v3, v2 src0_sel:WORD_0 src1_sel:DWORD
	v_cndmask_b32_e32 v28, v28, v3, vcc
; %bb.1846:                             ;   in Loop: Header=BB8_1829 Depth=3
	s_or_b64 exec, exec, s[94:95]
	v_lshlrev_b32_e32 v3, 16, v25
	v_lshlrev_b32_e32 v25, 16, v16
	v_max_f32_e32 v25, v25, v25
	v_max_f32_e32 v3, v3, v3
	v_min_f32_e32 v44, v3, v25
	v_max_f32_e32 v3, v3, v25
	v_cndmask_b32_e64 v25, v3, v44, s[28:29]
	v_and_b32_e32 v3, 0x7f800000, v25
	v_cmp_ne_u32_e32 vcc, s96, v3
                                        ; implicit-def: $vgpr3
	s_and_saveexec_b64 s[94:95], vcc
	s_xor_b64 s[94:95], exec, s[94:95]
; %bb.1847:                             ;   in Loop: Header=BB8_1829 Depth=3
	v_bfe_u32 v3, v25, 16, 1
	v_add3_u32 v3, v25, v3, s97
                                        ; implicit-def: $vgpr25
; %bb.1848:                             ;   in Loop: Header=BB8_1829 Depth=3
	s_andn2_saveexec_b64 s[94:95], s[94:95]
; %bb.1849:                             ;   in Loop: Header=BB8_1829 Depth=3
	v_or_b32_e32 v3, 0x10000, v25
	v_cmp_eq_u32_sdwa vcc, v25, v2 src0_sel:WORD_0 src1_sel:DWORD
	v_cndmask_b32_e32 v3, v3, v25, vcc
; %bb.1850:                             ;   in Loop: Header=BB8_1829 Depth=3
	s_or_b64 exec, exec, s[94:95]
	v_lshlrev_b32_e32 v22, 16, v22
	v_lshlrev_b32_e32 v25, 16, v17
	v_max_f32_e32 v25, v25, v25
	v_max_f32_e32 v22, v22, v22
	v_min_f32_e32 v44, v22, v25
	v_max_f32_e32 v22, v22, v25
	v_cndmask_b32_e64 v25, v22, v44, s[28:29]
	v_and_b32_e32 v22, 0x7f800000, v25
	v_cmp_ne_u32_e32 vcc, s96, v22
                                        ; implicit-def: $vgpr22
	s_and_saveexec_b64 s[94:95], vcc
	s_xor_b64 s[94:95], exec, s[94:95]
; %bb.1851:                             ;   in Loop: Header=BB8_1829 Depth=3
	v_bfe_u32 v22, v25, 16, 1
	v_add3_u32 v22, v25, v22, s97
                                        ; implicit-def: $vgpr25
; %bb.1852:                             ;   in Loop: Header=BB8_1829 Depth=3
	s_andn2_saveexec_b64 s[94:95], s[94:95]
; %bb.1853:                             ;   in Loop: Header=BB8_1829 Depth=3
	v_or_b32_e32 v22, 0x10000, v25
	v_cmp_eq_u32_sdwa vcc, v25, v2 src0_sel:WORD_0 src1_sel:DWORD
	v_cndmask_b32_e32 v22, v22, v25, vcc
; %bb.1854:                             ;   in Loop: Header=BB8_1829 Depth=3
	s_or_b64 exec, exec, s[94:95]
	v_lshlrev_b32_e32 v21, 16, v21
	v_lshlrev_b32_e32 v25, 16, v18
	v_max_f32_e32 v25, v25, v25
	v_max_f32_e32 v21, v21, v21
	v_min_f32_e32 v44, v21, v25
	v_max_f32_e32 v21, v21, v25
	v_cndmask_b32_e64 v25, v21, v44, s[28:29]
	v_and_b32_e32 v21, 0x7f800000, v25
	v_cmp_ne_u32_e32 vcc, s96, v21
                                        ; implicit-def: $vgpr21
	s_and_saveexec_b64 s[94:95], vcc
	s_xor_b64 s[94:95], exec, s[94:95]
; %bb.1855:                             ;   in Loop: Header=BB8_1829 Depth=3
	v_bfe_u32 v21, v25, 16, 1
	v_add3_u32 v21, v25, v21, s97
                                        ; implicit-def: $vgpr25
; %bb.1856:                             ;   in Loop: Header=BB8_1829 Depth=3
	s_andn2_saveexec_b64 s[94:95], s[94:95]
; %bb.1857:                             ;   in Loop: Header=BB8_1829 Depth=3
	v_or_b32_e32 v21, 0x10000, v25
	v_cmp_eq_u32_sdwa vcc, v25, v2 src0_sel:WORD_0 src1_sel:DWORD
	v_cndmask_b32_e32 v21, v21, v25, vcc
; %bb.1858:                             ;   in Loop: Header=BB8_1829 Depth=3
	s_or_b64 exec, exec, s[94:95]
	v_lshlrev_b32_e32 v20, 16, v20
	v_lshlrev_b32_e32 v25, 16, v19
	v_max_f32_e32 v25, v25, v25
	v_max_f32_e32 v20, v20, v20
	v_min_f32_e32 v44, v20, v25
	v_max_f32_e32 v20, v20, v25
	v_cndmask_b32_e64 v25, v20, v44, s[28:29]
	v_and_b32_e32 v20, 0x7f800000, v25
	v_cmp_ne_u32_e32 vcc, s96, v20
                                        ; implicit-def: $vgpr20
	s_and_saveexec_b64 s[94:95], vcc
	s_xor_b64 s[94:95], exec, s[94:95]
; %bb.1859:                             ;   in Loop: Header=BB8_1829 Depth=3
	v_bfe_u32 v20, v25, 16, 1
	v_add3_u32 v20, v25, v20, s97
                                        ; implicit-def: $vgpr25
; %bb.1860:                             ;   in Loop: Header=BB8_1829 Depth=3
	s_andn2_saveexec_b64 s[94:95], s[94:95]
; %bb.1861:                             ;   in Loop: Header=BB8_1829 Depth=3
	v_or_b32_e32 v20, 0x10000, v25
	v_cmp_eq_u32_sdwa vcc, v25, v2 src0_sel:WORD_0 src1_sel:DWORD
	v_cndmask_b32_e32 v20, v20, v25, vcc
; %bb.1862:                             ;   in Loop: Header=BB8_1829 Depth=3
	s_or_b64 exec, exec, s[94:95]
	v_lshrrev_b32_e32 v39, 16, v39
	v_lshrrev_b32_e32 v21, 16, v21
	;; [unrolled: 1-line block ×8, first 2 shown]
	flat_store_short v[0:1], v39 glc slc
	flat_store_short v[0:1], v36 offset:128 glc slc
	flat_store_short v[0:1], v33 offset:256 glc slc
	;; [unrolled: 1-line block ×7, first 2 shown]
	buffer_load_dword v3, off, s[0:3], s33 offset:128 ; 4-byte Folded Reload
	s_waitcnt vmcnt(0)
	v_add_co_u32_e32 v0, vcc, v0, v3
	v_addc_co_u32_e32 v1, vcc, v1, v53, vcc
.LBB8_1863:                             ;   in Loop: Header=BB8_1829 Depth=3
	s_or_b64 exec, exec, s[30:31]
	buffer_load_dword v3, off, s[0:3], s33 offset:128 ; 4-byte Folded Reload
	v_mov_b32_e32 v30, v53
	v_sub_u32_e32 v5, v5, v52
	v_cmp_lt_i32_e64 s[94:95], 0, v5
	s_waitcnt vmcnt(0)
	v_add_co_u32_e32 v6, vcc, v6, v3
	v_addc_co_u32_e32 v7, vcc, v7, v30, vcc
	v_add_co_u32_e32 v8, vcc, v8, v3
	v_addc_co_u32_e32 v9, vcc, v9, v30, vcc
	s_and_saveexec_b64 s[30:31], s[94:95]
	s_cbranch_execz .LBB8_1865
; %bb.1864:                             ;   in Loop: Header=BB8_1829 Depth=3
	flat_load_ushort v39, v[6:7] glc slc
	flat_load_ushort v36, v[6:7] offset:128 glc slc
	flat_load_ushort v33, v[6:7] offset:256 glc slc
	;; [unrolled: 1-line block ×7, first 2 shown]
	flat_load_ushort v12, v[8:9] glc slc
	flat_load_ushort v13, v[8:9] offset:128 glc slc
	flat_load_ushort v14, v[8:9] offset:256 glc slc
	;; [unrolled: 1-line block ×7, first 2 shown]
	v_add_co_u32_e32 v6, vcc, 0x400, v6
	v_addc_co_u32_e32 v7, vcc, 0, v7, vcc
	v_add_co_u32_e32 v8, vcc, 0x400, v8
	v_addc_co_u32_e32 v9, vcc, 0, v9, vcc
.LBB8_1865:                             ;   in Loop: Header=BB8_1829 Depth=3
	s_or_b64 exec, exec, s[30:31]
	s_waitcnt lgkmcnt(0)
	v_lshlrev_b32_e32 v3, 16, v43
	v_lshlrev_b32_e32 v42, 16, v42
	v_max_f32_e32 v42, v42, v42
	v_max_f32_e32 v3, v3, v3
	v_min_f32_e32 v43, v3, v42
	v_max_f32_e32 v3, v3, v42
	v_cndmask_b32_e64 v3, v3, v43, s[28:29]
	v_and_b32_e32 v42, 0x7f800000, v3
	v_cmp_ne_u32_e32 vcc, s96, v42
                                        ; implicit-def: $vgpr42
	s_and_saveexec_b64 s[30:31], vcc
	s_xor_b64 vcc, exec, s[30:31]
; %bb.1866:                             ;   in Loop: Header=BB8_1829 Depth=3
	v_bfe_u32 v42, v3, 16, 1
	v_add3_u32 v42, v3, v42, s97
                                        ; implicit-def: $vgpr3
; %bb.1867:                             ;   in Loop: Header=BB8_1829 Depth=3
	s_andn2_saveexec_b64 s[30:31], vcc
; %bb.1868:                             ;   in Loop: Header=BB8_1829 Depth=3
	v_or_b32_e32 v42, 0x10000, v3
	v_cmp_eq_u32_sdwa vcc, v3, v2 src0_sel:WORD_0 src1_sel:DWORD
	v_cndmask_b32_e32 v42, v42, v3, vcc
; %bb.1869:                             ;   in Loop: Header=BB8_1829 Depth=3
	s_or_b64 exec, exec, s[30:31]
	v_lshlrev_b32_e32 v3, 16, v50
	v_lshlrev_b32_e32 v50, 16, v51
	v_max_f32_e32 v50, v50, v50
	v_max_f32_e32 v3, v3, v3
	v_min_f32_e32 v51, v3, v50
	v_max_f32_e32 v3, v3, v50
	v_cndmask_b32_e64 v3, v3, v51, s[28:29]
	v_and_b32_e32 v50, 0x7f800000, v3
	v_cmp_ne_u32_e32 vcc, s96, v50
                                        ; implicit-def: $vgpr50
	s_and_saveexec_b64 s[30:31], vcc
	s_xor_b64 vcc, exec, s[30:31]
; %bb.1870:                             ;   in Loop: Header=BB8_1829 Depth=3
	v_bfe_u32 v50, v3, 16, 1
	v_add3_u32 v50, v3, v50, s97
                                        ; implicit-def: $vgpr3
; %bb.1871:                             ;   in Loop: Header=BB8_1829 Depth=3
	s_andn2_saveexec_b64 s[30:31], vcc
; %bb.1872:                             ;   in Loop: Header=BB8_1829 Depth=3
	v_or_b32_e32 v50, 0x10000, v3
	v_cmp_eq_u32_sdwa vcc, v3, v2 src0_sel:WORD_0 src1_sel:DWORD
	v_cndmask_b32_e32 v50, v50, v3, vcc
; %bb.1873:                             ;   in Loop: Header=BB8_1829 Depth=3
	s_or_b64 exec, exec, s[30:31]
	v_lshlrev_b32_e32 v3, 16, v48
	v_lshlrev_b32_e32 v48, 16, v49
	v_max_f32_e32 v48, v48, v48
	v_max_f32_e32 v3, v3, v3
	v_min_f32_e32 v49, v3, v48
	v_max_f32_e32 v3, v3, v48
	v_cndmask_b32_e64 v3, v3, v49, s[28:29]
	v_and_b32_e32 v48, 0x7f800000, v3
	v_cmp_ne_u32_e32 vcc, s96, v48
                                        ; implicit-def: $vgpr48
	s_and_saveexec_b64 s[30:31], vcc
	s_xor_b64 vcc, exec, s[30:31]
; %bb.1874:                             ;   in Loop: Header=BB8_1829 Depth=3
	v_bfe_u32 v48, v3, 16, 1
	v_add3_u32 v48, v3, v48, s97
                                        ; implicit-def: $vgpr3
; %bb.1875:                             ;   in Loop: Header=BB8_1829 Depth=3
	s_andn2_saveexec_b64 s[30:31], vcc
; %bb.1876:                             ;   in Loop: Header=BB8_1829 Depth=3
	v_or_b32_e32 v48, 0x10000, v3
	v_cmp_eq_u32_sdwa vcc, v3, v2 src0_sel:WORD_0 src1_sel:DWORD
	v_cndmask_b32_e32 v48, v48, v3, vcc
; %bb.1877:                             ;   in Loop: Header=BB8_1829 Depth=3
	s_or_b64 exec, exec, s[30:31]
	v_lshlrev_b32_e32 v3, 16, v37
	v_lshlrev_b32_e32 v37, 16, v38
	v_max_f32_e32 v37, v37, v37
	v_max_f32_e32 v3, v3, v3
	v_min_f32_e32 v38, v3, v37
	v_max_f32_e32 v3, v3, v37
	v_cndmask_b32_e64 v3, v3, v38, s[28:29]
	v_and_b32_e32 v37, 0x7f800000, v3
	v_cmp_ne_u32_e32 vcc, s96, v37
                                        ; implicit-def: $vgpr37
	s_and_saveexec_b64 s[30:31], vcc
	s_xor_b64 vcc, exec, s[30:31]
; %bb.1878:                             ;   in Loop: Header=BB8_1829 Depth=3
	v_bfe_u32 v37, v3, 16, 1
	v_add3_u32 v37, v3, v37, s97
                                        ; implicit-def: $vgpr3
; %bb.1879:                             ;   in Loop: Header=BB8_1829 Depth=3
	s_andn2_saveexec_b64 s[30:31], vcc
; %bb.1880:                             ;   in Loop: Header=BB8_1829 Depth=3
	v_or_b32_e32 v37, 0x10000, v3
	v_cmp_eq_u32_sdwa vcc, v3, v2 src0_sel:WORD_0 src1_sel:DWORD
	v_cndmask_b32_e32 v37, v37, v3, vcc
; %bb.1881:                             ;   in Loop: Header=BB8_1829 Depth=3
	s_or_b64 exec, exec, s[30:31]
	v_lshlrev_b32_e32 v3, 16, v34
	v_lshlrev_b32_e32 v34, 16, v35
	v_max_f32_e32 v34, v34, v34
	v_max_f32_e32 v3, v3, v3
	v_min_f32_e32 v35, v3, v34
	v_max_f32_e32 v3, v3, v34
	v_cndmask_b32_e64 v34, v3, v35, s[28:29]
	v_and_b32_e32 v3, 0x7f800000, v34
	v_cmp_ne_u32_e32 vcc, s96, v3
                                        ; implicit-def: $vgpr3
	s_and_saveexec_b64 s[30:31], vcc
	s_xor_b64 vcc, exec, s[30:31]
; %bb.1882:                             ;   in Loop: Header=BB8_1829 Depth=3
	v_bfe_u32 v3, v34, 16, 1
	v_add3_u32 v3, v34, v3, s97
                                        ; implicit-def: $vgpr34
; %bb.1883:                             ;   in Loop: Header=BB8_1829 Depth=3
	s_andn2_saveexec_b64 s[30:31], vcc
; %bb.1884:                             ;   in Loop: Header=BB8_1829 Depth=3
	v_or_b32_e32 v3, 0x10000, v34
	v_cmp_eq_u32_sdwa vcc, v34, v2 src0_sel:WORD_0 src1_sel:DWORD
	v_cndmask_b32_e32 v3, v3, v34, vcc
; %bb.1885:                             ;   in Loop: Header=BB8_1829 Depth=3
	s_or_b64 exec, exec, s[30:31]
	v_lshlrev_b32_e32 v29, 16, v29
	v_lshlrev_b32_e32 v32, 16, v32
	v_max_f32_e32 v32, v32, v32
	v_max_f32_e32 v29, v29, v29
	v_min_f32_e32 v34, v29, v32
	v_max_f32_e32 v29, v29, v32
	v_cndmask_b32_e64 v32, v29, v34, s[28:29]
	v_and_b32_e32 v29, 0x7f800000, v32
	v_cmp_ne_u32_e32 vcc, s96, v29
                                        ; implicit-def: $vgpr29
	s_and_saveexec_b64 s[30:31], vcc
	s_xor_b64 vcc, exec, s[30:31]
; %bb.1886:                             ;   in Loop: Header=BB8_1829 Depth=3
	v_bfe_u32 v29, v32, 16, 1
	v_add3_u32 v29, v32, v29, s97
                                        ; implicit-def: $vgpr32
; %bb.1887:                             ;   in Loop: Header=BB8_1829 Depth=3
	s_andn2_saveexec_b64 s[30:31], vcc
; %bb.1888:                             ;   in Loop: Header=BB8_1829 Depth=3
	v_or_b32_e32 v29, 0x10000, v32
	v_cmp_eq_u32_sdwa vcc, v32, v2 src0_sel:WORD_0 src1_sel:DWORD
	v_cndmask_b32_e32 v29, v29, v32, vcc
; %bb.1889:                             ;   in Loop: Header=BB8_1829 Depth=3
	s_or_b64 exec, exec, s[30:31]
	v_lshlrev_b32_e32 v26, 16, v26
	v_lshlrev_b32_e32 v27, 16, v27
	v_max_f32_e32 v27, v27, v27
	v_max_f32_e32 v26, v26, v26
	v_min_f32_e32 v32, v26, v27
	v_max_f32_e32 v26, v26, v27
	v_cndmask_b32_e64 v27, v26, v32, s[28:29]
	v_and_b32_e32 v26, 0x7f800000, v27
	v_cmp_ne_u32_e32 vcc, s96, v26
                                        ; implicit-def: $vgpr26
	s_and_saveexec_b64 s[30:31], vcc
	s_xor_b64 vcc, exec, s[30:31]
; %bb.1890:                             ;   in Loop: Header=BB8_1829 Depth=3
	v_bfe_u32 v26, v27, 16, 1
	v_add3_u32 v26, v27, v26, s97
                                        ; implicit-def: $vgpr27
; %bb.1891:                             ;   in Loop: Header=BB8_1829 Depth=3
	s_andn2_saveexec_b64 s[30:31], vcc
; %bb.1892:                             ;   in Loop: Header=BB8_1829 Depth=3
	v_or_b32_e32 v26, 0x10000, v27
	v_cmp_eq_u32_sdwa vcc, v27, v2 src0_sel:WORD_0 src1_sel:DWORD
	v_cndmask_b32_e32 v26, v26, v27, vcc
; %bb.1893:                             ;   in Loop: Header=BB8_1829 Depth=3
	s_or_b64 exec, exec, s[30:31]
	v_lshlrev_b32_e32 v23, 16, v23
	v_lshlrev_b32_e32 v24, 16, v24
	v_max_f32_e32 v24, v24, v24
	v_max_f32_e32 v23, v23, v23
	v_min_f32_e32 v27, v23, v24
	v_max_f32_e32 v23, v23, v24
	v_cndmask_b32_e64 v24, v23, v27, s[28:29]
	v_and_b32_e32 v23, 0x7f800000, v24
	v_cmp_ne_u32_e32 vcc, s96, v23
                                        ; implicit-def: $vgpr23
	s_and_saveexec_b64 s[30:31], vcc
	s_xor_b64 vcc, exec, s[30:31]
; %bb.1894:                             ;   in Loop: Header=BB8_1829 Depth=3
	v_bfe_u32 v23, v24, 16, 1
	v_add3_u32 v23, v24, v23, s97
                                        ; implicit-def: $vgpr24
; %bb.1895:                             ;   in Loop: Header=BB8_1829 Depth=3
	s_andn2_saveexec_b64 s[30:31], vcc
	s_cbranch_execz .LBB8_1828
; %bb.1896:                             ;   in Loop: Header=BB8_1829 Depth=3
	v_or_b32_e32 v23, 0x10000, v24
	v_cmp_eq_u32_sdwa vcc, v24, v2 src0_sel:WORD_0 src1_sel:DWORD
	v_cndmask_b32_e32 v23, v23, v24, vcc
	s_branch .LBB8_1828
.LBB8_1897:                             ;   in Loop: Header=BB8_955 Depth=2
	s_or_b64 exec, exec, s[92:93]
	v_lshlrev_b32_e32 v34, 16, v39
	v_lshlrev_b32_e32 v12, 16, v12
	;; [unrolled: 1-line block ×16, first 2 shown]
	s_and_b64 s[28:29], s[44:45], exec
.LBB8_1898:                             ;   in Loop: Header=BB8_955 Depth=2
	s_or_b64 exec, exec, s[40:41]
	s_and_saveexec_b64 s[40:41], s[28:29]
	s_cbranch_execz .LBB8_1932
; %bb.1899:                             ;   in Loop: Header=BB8_955 Depth=2
	s_and_b32 s28, s46, 0xff
	s_cmp_eq_u32 s28, 0
	v_max_f32_e32 v12, v12, v12
	v_max_f32_e32 v15, v34, v34
	v_min_f32_e32 v17, v15, v12
	v_max_f32_e32 v12, v15, v12
	s_cselect_b64 vcc, -1, 0
	v_cndmask_b32_e32 v15, v12, v17, vcc
	v_and_b32_e32 v12, 0x7f800000, v15
	v_cmp_ne_u32_e64 s[28:29], s96, v12
                                        ; implicit-def: $vgpr12
	s_and_saveexec_b64 s[44:45], s[28:29]
	s_xor_b64 s[28:29], exec, s[44:45]
; %bb.1900:                             ;   in Loop: Header=BB8_955 Depth=2
	v_bfe_u32 v12, v15, 16, 1
	v_add3_u32 v12, v15, v12, s97
                                        ; implicit-def: $vgpr15
; %bb.1901:                             ;   in Loop: Header=BB8_955 Depth=2
	s_andn2_saveexec_b64 s[44:45], s[28:29]
; %bb.1902:                             ;   in Loop: Header=BB8_955 Depth=2
	v_or_b32_e32 v12, 0x10000, v15
	v_cmp_eq_u32_sdwa s[28:29], v15, v2 src0_sel:WORD_0 src1_sel:DWORD
	v_cndmask_b32_e64 v12, v12, v15, s[28:29]
; %bb.1903:                             ;   in Loop: Header=BB8_955 Depth=2
	s_or_b64 exec, exec, s[44:45]
	v_max_f32_e32 v15, v32, v32
	v_max_f32_e32 v17, v29, v29
	v_min_f32_e32 v18, v17, v15
	v_max_f32_e32 v15, v17, v15
	v_cndmask_b32_e32 v17, v15, v18, vcc
	v_and_b32_e32 v15, 0x7f800000, v17
	v_cmp_ne_u32_e64 s[28:29], s96, v15
                                        ; implicit-def: $vgpr15
	s_and_saveexec_b64 s[44:45], s[28:29]
	s_xor_b64 s[28:29], exec, s[44:45]
; %bb.1904:                             ;   in Loop: Header=BB8_955 Depth=2
	v_bfe_u32 v15, v17, 16, 1
	v_add3_u32 v15, v17, v15, s97
                                        ; implicit-def: $vgpr17
; %bb.1905:                             ;   in Loop: Header=BB8_955 Depth=2
	s_andn2_saveexec_b64 s[44:45], s[28:29]
; %bb.1906:                             ;   in Loop: Header=BB8_955 Depth=2
	v_or_b32_e32 v15, 0x10000, v17
	v_cmp_eq_u32_sdwa s[28:29], v17, v2 src0_sel:WORD_0 src1_sel:DWORD
	v_cndmask_b32_e64 v15, v15, v17, s[28:29]
; %bb.1907:                             ;   in Loop: Header=BB8_955 Depth=2
	s_or_b64 exec, exec, s[44:45]
	v_max_f32_e32 v17, v27, v27
	v_max_f32_e32 v3, v3, v3
	v_min_f32_e32 v18, v3, v17
	v_max_f32_e32 v3, v3, v17
	v_cndmask_b32_e32 v3, v3, v18, vcc
	v_and_b32_e32 v17, 0x7f800000, v3
	v_cmp_ne_u32_e64 s[28:29], s96, v17
                                        ; implicit-def: $vgpr17
	s_and_saveexec_b64 s[44:45], s[28:29]
	s_xor_b64 s[28:29], exec, s[44:45]
; %bb.1908:                             ;   in Loop: Header=BB8_955 Depth=2
	v_bfe_u32 v17, v3, 16, 1
	v_add3_u32 v17, v3, v17, s97
                                        ; implicit-def: $vgpr3
; %bb.1909:                             ;   in Loop: Header=BB8_955 Depth=2
	s_andn2_saveexec_b64 s[44:45], s[28:29]
; %bb.1910:                             ;   in Loop: Header=BB8_955 Depth=2
	v_or_b32_e32 v17, 0x10000, v3
	v_cmp_eq_u32_sdwa s[28:29], v3, v2 src0_sel:WORD_0 src1_sel:DWORD
	v_cndmask_b32_e64 v17, v17, v3, s[28:29]
; %bb.1911:                             ;   in Loop: Header=BB8_955 Depth=2
	s_or_b64 exec, exec, s[44:45]
	v_max_f32_e32 v3, v26, v26
	v_max_f32_e32 v18, v24, v24
	v_min_f32_e32 v19, v18, v3
	v_max_f32_e32 v3, v18, v3
	v_cndmask_b32_e32 v3, v3, v19, vcc
	v_and_b32_e32 v18, 0x7f800000, v3
	v_cmp_ne_u32_e64 s[28:29], s96, v18
                                        ; implicit-def: $vgpr18
	s_and_saveexec_b64 s[44:45], s[28:29]
	s_xor_b64 s[28:29], exec, s[44:45]
; %bb.1912:                             ;   in Loop: Header=BB8_955 Depth=2
	v_bfe_u32 v18, v3, 16, 1
	v_add3_u32 v18, v3, v18, s97
                                        ; implicit-def: $vgpr3
; %bb.1913:                             ;   in Loop: Header=BB8_955 Depth=2
	s_andn2_saveexec_b64 s[44:45], s[28:29]
; %bb.1914:                             ;   in Loop: Header=BB8_955 Depth=2
	v_or_b32_e32 v18, 0x10000, v3
	v_cmp_eq_u32_sdwa s[28:29], v3, v2 src0_sel:WORD_0 src1_sel:DWORD
	v_cndmask_b32_e64 v18, v18, v3, s[28:29]
; %bb.1915:                             ;   in Loop: Header=BB8_955 Depth=2
	s_or_b64 exec, exec, s[44:45]
	v_max_f32_e32 v3, v16, v16
	v_max_f32_e32 v16, v23, v23
	v_min_f32_e32 v19, v16, v3
	v_max_f32_e32 v3, v16, v3
	v_cndmask_b32_e32 v16, v3, v19, vcc
	v_and_b32_e32 v3, 0x7f800000, v16
	v_cmp_ne_u32_e64 s[28:29], s96, v3
                                        ; implicit-def: $vgpr3
	s_and_saveexec_b64 s[44:45], s[28:29]
	s_xor_b64 s[28:29], exec, s[44:45]
; %bb.1916:                             ;   in Loop: Header=BB8_955 Depth=2
	v_bfe_u32 v3, v16, 16, 1
	v_add3_u32 v3, v16, v3, s97
                                        ; implicit-def: $vgpr16
; %bb.1917:                             ;   in Loop: Header=BB8_955 Depth=2
	s_andn2_saveexec_b64 s[44:45], s[28:29]
; %bb.1918:                             ;   in Loop: Header=BB8_955 Depth=2
	v_or_b32_e32 v3, 0x10000, v16
	v_cmp_eq_u32_sdwa s[28:29], v16, v2 src0_sel:WORD_0 src1_sel:DWORD
	v_cndmask_b32_e64 v3, v3, v16, s[28:29]
; %bb.1919:                             ;   in Loop: Header=BB8_955 Depth=2
	s_or_b64 exec, exec, s[44:45]
	v_max_f32_e32 v14, v14, v14
	v_max_f32_e32 v13, v13, v13
	v_min_f32_e32 v16, v13, v14
	v_max_f32_e32 v13, v13, v14
	v_cndmask_b32_e32 v14, v13, v16, vcc
	v_and_b32_e32 v13, 0x7f800000, v14
	v_cmp_ne_u32_e64 s[28:29], s96, v13
                                        ; implicit-def: $vgpr13
	s_and_saveexec_b64 s[44:45], s[28:29]
	s_xor_b64 s[28:29], exec, s[44:45]
; %bb.1920:                             ;   in Loop: Header=BB8_955 Depth=2
	v_bfe_u32 v13, v14, 16, 1
	v_add3_u32 v13, v14, v13, s97
                                        ; implicit-def: $vgpr14
; %bb.1921:                             ;   in Loop: Header=BB8_955 Depth=2
	s_andn2_saveexec_b64 s[44:45], s[28:29]
; %bb.1922:                             ;   in Loop: Header=BB8_955 Depth=2
	v_or_b32_e32 v13, 0x10000, v14
	v_cmp_eq_u32_sdwa s[28:29], v14, v2 src0_sel:WORD_0 src1_sel:DWORD
	v_cndmask_b32_e64 v13, v13, v14, s[28:29]
; %bb.1923:                             ;   in Loop: Header=BB8_955 Depth=2
	s_or_b64 exec, exec, s[44:45]
	v_max_f32_e32 v9, v9, v9
	v_max_f32_e32 v8, v8, v8
	v_min_f32_e32 v14, v8, v9
	v_max_f32_e32 v8, v8, v9
	v_cndmask_b32_e32 v9, v8, v14, vcc
	v_and_b32_e32 v8, 0x7f800000, v9
	v_cmp_ne_u32_e64 s[28:29], s96, v8
                                        ; implicit-def: $vgpr8
	s_and_saveexec_b64 s[44:45], s[28:29]
	s_xor_b64 s[28:29], exec, s[44:45]
; %bb.1924:                             ;   in Loop: Header=BB8_955 Depth=2
	v_bfe_u32 v8, v9, 16, 1
	v_add3_u32 v8, v9, v8, s97
                                        ; implicit-def: $vgpr9
; %bb.1925:                             ;   in Loop: Header=BB8_955 Depth=2
	s_andn2_saveexec_b64 s[44:45], s[28:29]
; %bb.1926:                             ;   in Loop: Header=BB8_955 Depth=2
	v_or_b32_e32 v8, 0x10000, v9
	v_cmp_eq_u32_sdwa s[28:29], v9, v2 src0_sel:WORD_0 src1_sel:DWORD
	v_cndmask_b32_e64 v8, v8, v9, s[28:29]
; %bb.1927:                             ;   in Loop: Header=BB8_955 Depth=2
	s_or_b64 exec, exec, s[44:45]
	v_max_f32_e32 v7, v7, v7
	v_max_f32_e32 v6, v6, v6
	v_min_f32_e32 v9, v6, v7
	v_max_f32_e32 v6, v6, v7
	v_cndmask_b32_e32 v7, v6, v9, vcc
	v_and_b32_e32 v6, 0x7f800000, v7
	v_cmp_ne_u32_e32 vcc, s96, v6
                                        ; implicit-def: $vgpr6
	s_and_saveexec_b64 s[28:29], vcc
	s_xor_b64 s[28:29], exec, s[28:29]
; %bb.1928:                             ;   in Loop: Header=BB8_955 Depth=2
	v_bfe_u32 v6, v7, 16, 1
	v_add3_u32 v6, v7, v6, s97
                                        ; implicit-def: $vgpr7
; %bb.1929:                             ;   in Loop: Header=BB8_955 Depth=2
	s_andn2_saveexec_b64 s[28:29], s[28:29]
; %bb.1930:                             ;   in Loop: Header=BB8_955 Depth=2
	v_or_b32_e32 v6, 0x10000, v7
	v_cmp_eq_u32_sdwa vcc, v7, v2 src0_sel:WORD_0 src1_sel:DWORD
	v_cndmask_b32_e32 v6, v6, v7, vcc
; %bb.1931:                             ;   in Loop: Header=BB8_955 Depth=2
	s_or_b64 exec, exec, s[28:29]
	flat_store_short_d16_hi v[0:1], v12 glc slc
	flat_store_short_d16_hi v[0:1], v15 offset:128 glc slc
	flat_store_short_d16_hi v[0:1], v17 offset:256 glc slc
	;; [unrolled: 1-line block ×7, first 2 shown]
.LBB8_1932:                             ;   in Loop: Header=BB8_955 Depth=2
	s_or_b64 exec, exec, s[40:41]
	buffer_load_dword v1, off, s[0:3], s33 offset:292 ; 4-byte Folded Reload
	v_lshlrev_b32_e32 v0, 10, v4
	s_waitcnt vmcnt(0)
	v_cmp_ne_u32_e32 vcc, v1, v0
	s_and_b64 exec, exec, vcc
	s_cbranch_execz .LBB8_1957
; %bb.1933:                             ;   in Loop: Header=BB8_955 Depth=2
	v_lshlrev_b32_e32 v1, 6, v5
	v_sub_u32_e32 v1, v11, v1
	v_ashrrev_i32_e32 v3, 31, v1
	v_lshrrev_b32_e32 v3, 26, v3
	v_add_u32_e32 v3, v1, v3
	v_and_b32_e32 v4, 0x7fffffc0, v3
	v_sub_u32_e32 v1, v1, v4
	v_lshlrev_b32_e32 v3, 1, v3
	v_and_b32_e32 v3, 0xffffff80, v3
	v_lshlrev_b32_e32 v1, 1, v1
	v_add3_u32 v0, v3, v1, v0
	buffer_load_dword v1, off, s[0:3], s33 offset:292 ; 4-byte Folded Reload
	s_waitcnt vmcnt(0)
	v_sub_u32_e32 v4, v1, v0
	v_cmp_lt_i32_e32 vcc, 1, v4
	s_and_b64 exec, exec, vcc
	s_cbranch_execz .LBB8_1957
; %bb.1934:                             ;   in Loop: Header=BB8_955 Depth=2
	s_trap 2
	ds_read_b64 v[11:12], v0
	v_add_u32_e32 v3, v0, v10
	buffer_load_dword v0, off, s[0:3], s33 offset:304 ; 4-byte Folded Reload
	buffer_load_dword v1, off, s[0:3], s33 offset:308 ; 4-byte Folded Reload
	;; [unrolled: 1-line block ×4, first 2 shown]
	v_ashrrev_i32_e32 v5, 31, v3
	s_and_b32 s28, s46, 0xff
	s_cmp_eq_u32 s28, 0
	s_mov_b64 s[94:95], 0
	s_mov_b64 s[44:45], 0
	s_cselect_b64 s[28:29], -1, 0
                                        ; implicit-def: $sgpr92_sgpr93
	s_waitcnt vmcnt(0)
	v_add_co_u32_e32 v0, vcc, v0, v3
	v_addc_co_u32_e32 v1, vcc, v1, v5, vcc
	v_add_co_u32_e32 v8, vcc, v3, v6
	v_addc_co_u32_e32 v7, vcc, v5, v7, vcc
	s_waitcnt lgkmcnt(0)
	v_add_co_u32_e32 v6, vcc, v11, v3
	v_addc_co_u32_e32 v5, vcc, v12, v5, vcc
	s_branch .LBB8_1936
.LBB8_1935:                             ;   in Loop: Header=BB8_1936 Depth=3
	s_or_b64 exec, exec, s[40:41]
	v_lshrrev_b32_e32 v3, 16, v9
	buffer_store_short v3, off, s[0:3], s33 offset:64
	flat_store_short v[0:1], v3 glc slc
	buffer_load_dword v10, off, s[0:3], s33 offset:172 ; 4-byte Folded Reload
	buffer_load_dword v11, off, s[0:3], s33 offset:176 ; 4-byte Folded Reload
	;; [unrolled: 1-line block ×4, first 2 shown]
	v_mov_b32_e32 v14, 0x80
	s_waitcnt vmcnt(0)
	v_add_co_u32_e32 v3, vcc, v8, v10
	v_cndmask_b32_e64 v8, v8, v3, s[94:95]
	buffer_load_dword v3, off, s[0:3], s33 offset:156 ; 4-byte Folded Reload
	v_addc_co_u32_e32 v9, vcc, v7, v11, vcc
	v_add_co_u32_e32 v10, vcc, v6, v10
	v_addc_co_u32_e32 v11, vcc, v5, v11, vcc
	v_cndmask_b32_e64 v13, v14, v13, s[94:95]
	v_cndmask_b32_e64 v12, 0, v12, s[94:95]
	v_add_co_u32_e32 v0, vcc, v0, v13
	v_addc_co_u32_e32 v1, vcc, v1, v12, vcc
	v_cndmask_b32_e64 v5, v5, v11, s[94:95]
	v_cndmask_b32_e64 v6, v6, v10, s[94:95]
	;; [unrolled: 1-line block ×3, first 2 shown]
	s_waitcnt vmcnt(0)
	v_cndmask_b32_e64 v3, 0, v3, s[94:95]
	v_sub_u32_e32 v4, v4, v3
	v_cmp_gt_i32_e32 vcc, 2, v4
	s_or_b64 s[44:45], vcc, s[44:45]
	s_andn2_b64 s[40:41], s[92:93], exec
	s_and_b64 s[46:47], s[94:95], exec
	s_or_b64 s[92:93], s[40:41], s[46:47]
	s_andn2_b64 exec, exec, s[44:45]
	s_cbranch_execz .LBB8_1951
.LBB8_1936:                             ;   Parent Loop BB8_47 Depth=1
                                        ;     Parent Loop BB8_955 Depth=2
                                        ; =>    This Loop Header: Depth=3
                                        ;         Child Loop BB8_1937 Depth 4
                                        ;         Child Loop BB8_1946 Depth 4
	s_lshr_b32 s46, s33, 6
	s_add_i32 s46, s46, 64
	s_mov_b64 s[30:31], -1
	s_mov_b64 s[34:35], 0
.LBB8_1937:                             ;   Parent Loop BB8_47 Depth=1
                                        ;     Parent Loop BB8_955 Depth=2
                                        ;       Parent Loop BB8_1936 Depth=3
                                        ; =>      This Inner Loop Header: Depth=4
	s_cmp_eq_u32 s34, 1
	s_cselect_b64 s[40:41], -1, 0
	v_cndmask_b32_e64 v10, v7, v5, s[40:41]
	v_cndmask_b32_e64 v9, v8, v6, s[40:41]
	flat_load_ushort v3, v[9:10] glc slc
	v_mov_b32_e32 v11, s46
	s_cmp_eq_u32 s34, 0
	s_mov_b64 s[34:35], 1
	s_waitcnt vmcnt(0) lgkmcnt(0)
	buffer_store_short v3, v11, s[0:3], 0 offen
	v_add_co_u32_e32 v3, vcc, 0x80, v9
	v_addc_co_u32_e32 v9, vcc, 0, v10, vcc
	s_cselect_b64 vcc, -1, 0
	s_lshr_b32 s46, s33, 6
	s_addk_i32 s46, 0x60
	v_cndmask_b32_e64 v5, v5, v9, s[40:41]
	v_cndmask_b32_e64 v6, v6, v3, s[40:41]
	v_cndmask_b32_e32 v7, v7, v9, vcc
	v_cndmask_b32_e32 v8, v8, v3, vcc
	s_and_b64 vcc, exec, s[30:31]
	s_mov_b64 s[30:31], 0
	s_cbranch_vccnz .LBB8_1937
; %bb.1938:                             ;   in Loop: Header=BB8_1936 Depth=3
	s_and_saveexec_b64 s[40:41], s[94:95]
	s_cbranch_execz .LBB8_1944
; %bb.1939:                             ;   in Loop: Header=BB8_1936 Depth=3
	buffer_load_ushort v3, off, s[0:3], s33 offset:56
	buffer_load_ushort v9, off, s[0:3], s33 offset:58
	s_waitcnt vmcnt(1)
	v_lshlrev_b32_e32 v3, 16, v3
	s_waitcnt vmcnt(0)
	v_lshlrev_b32_e32 v9, 16, v9
	v_max_f32_e32 v9, v9, v9
	v_max_f32_e32 v3, v3, v3
	v_min_f32_e32 v10, v3, v9
	v_max_f32_e32 v3, v3, v9
	v_cndmask_b32_e64 v3, v3, v10, s[28:29]
	v_and_b32_e32 v9, 0x7f800000, v3
	v_cmp_ne_u32_e32 vcc, s96, v9
                                        ; implicit-def: $vgpr9
	s_and_saveexec_b64 s[46:47], vcc
	s_xor_b64 s[94:95], exec, s[46:47]
; %bb.1940:                             ;   in Loop: Header=BB8_1936 Depth=3
	v_bfe_u32 v9, v3, 16, 1
	v_add3_u32 v9, v3, v9, s97
                                        ; implicit-def: $vgpr3
; %bb.1941:                             ;   in Loop: Header=BB8_1936 Depth=3
	s_andn2_saveexec_b64 s[94:95], s[94:95]
; %bb.1942:                             ;   in Loop: Header=BB8_1936 Depth=3
	v_or_b32_e32 v9, 0x10000, v3
	v_cmp_eq_u32_sdwa vcc, v3, v2 src0_sel:WORD_0 src1_sel:DWORD
	v_cndmask_b32_e32 v9, v9, v3, vcc
; %bb.1943:                             ;   in Loop: Header=BB8_1936 Depth=3
	s_or_b64 exec, exec, s[94:95]
	v_lshrrev_b32_e32 v3, 16, v9
	buffer_store_short v3, off, s[0:3], s33 offset:56
	flat_store_short v[0:1], v3 glc slc
	buffer_load_dword v3, off, s[0:3], s33 offset:180 ; 4-byte Folded Reload
	s_waitcnt vmcnt(0)
	v_add_co_u32_e32 v0, vcc, v0, v3
	buffer_load_dword v3, off, s[0:3], s33 offset:184 ; 4-byte Folded Reload
	s_waitcnt vmcnt(0)
	v_addc_co_u32_e32 v1, vcc, v1, v3, vcc
.LBB8_1944:                             ;   in Loop: Header=BB8_1936 Depth=3
	s_or_b64 exec, exec, s[40:41]
	buffer_load_dword v9, off, s[0:3], s33 offset:172 ; 4-byte Folded Reload
	buffer_load_dword v10, off, s[0:3], s33 offset:176 ; 4-byte Folded Reload
	;; [unrolled: 1-line block ×3, first 2 shown]
	s_waitcnt vmcnt(0)
	v_add_co_u32_e32 v8, vcc, v8, v9
	v_addc_co_u32_e32 v7, vcc, v7, v10, vcc
	v_add_co_u32_e32 v6, vcc, v6, v9
	v_sub_u32_e32 v4, v4, v3
	v_addc_co_u32_e32 v5, vcc, v5, v10, vcc
	v_cmp_lt_i32_e64 s[94:95], 1, v4
	s_and_saveexec_b64 s[30:31], s[94:95]
	s_cbranch_execz .LBB8_1947
; %bb.1945:                             ;   in Loop: Header=BB8_1936 Depth=3
	s_lshr_b32 s46, s33, 6
	s_add_i32 s46, s46, 56
	s_mov_b64 s[36:37], 0
	s_mov_b64 s[34:35], -1
.LBB8_1946:                             ;   Parent Loop BB8_47 Depth=1
                                        ;     Parent Loop BB8_955 Depth=2
                                        ;       Parent Loop BB8_1936 Depth=3
                                        ; =>      This Inner Loop Header: Depth=4
	s_cmp_eq_u32 s36, 1
	s_cselect_b64 s[40:41], -1, 0
	v_cndmask_b32_e64 v10, v7, v5, s[40:41]
	v_cndmask_b32_e64 v9, v8, v6, s[40:41]
	flat_load_ushort v3, v[9:10] glc slc
	v_mov_b32_e32 v11, s46
	s_cmp_eq_u32 s36, 0
	s_mov_b64 s[36:37], 1
	s_waitcnt vmcnt(0) lgkmcnt(0)
	buffer_store_short v3, v11, s[0:3], 0 offen
	v_add_co_u32_e32 v3, vcc, 0x80, v9
	v_addc_co_u32_e32 v9, vcc, 0, v10, vcc
	s_cselect_b64 vcc, -1, 0
	s_lshr_b32 s46, s33, 6
	s_add_i32 s46, s46, 58
	v_cndmask_b32_e32 v7, v7, v9, vcc
	v_cndmask_b32_e32 v8, v8, v3, vcc
	v_cndmask_b32_e64 v5, v5, v9, s[40:41]
	v_cndmask_b32_e64 v6, v6, v3, s[40:41]
	s_and_b64 vcc, exec, s[34:35]
	s_mov_b64 s[34:35], 0
	s_cbranch_vccnz .LBB8_1946
.LBB8_1947:                             ;   in Loop: Header=BB8_1936 Depth=3
	s_or_b64 exec, exec, s[30:31]
	buffer_load_ushort v3, off, s[0:3], s33 offset:64
	buffer_load_ushort v9, off, s[0:3], s33 offset:96
	s_waitcnt vmcnt(0)
	v_lshlrev_b32_e32 v3, 16, v3
	v_lshlrev_b32_e32 v9, 16, v9
	v_max_f32_e32 v9, v9, v9
	v_max_f32_e32 v3, v3, v3
	v_min_f32_e32 v10, v3, v9
	v_max_f32_e32 v3, v3, v9
	v_cndmask_b32_e64 v3, v3, v10, s[28:29]
	v_and_b32_e32 v9, 0x7f800000, v3
	v_cmp_ne_u32_e32 vcc, s96, v9
                                        ; implicit-def: $vgpr9
	s_and_saveexec_b64 s[40:41], vcc
	s_xor_b64 s[40:41], exec, s[40:41]
; %bb.1948:                             ;   in Loop: Header=BB8_1936 Depth=3
	v_bfe_u32 v9, v3, 16, 1
	v_add3_u32 v9, v3, v9, s97
                                        ; implicit-def: $vgpr3
; %bb.1949:                             ;   in Loop: Header=BB8_1936 Depth=3
	s_andn2_saveexec_b64 s[40:41], s[40:41]
	s_cbranch_execz .LBB8_1935
; %bb.1950:                             ;   in Loop: Header=BB8_1936 Depth=3
	v_or_b32_e32 v9, 0x10000, v3
	v_cmp_eq_u32_sdwa vcc, v3, v2 src0_sel:WORD_0 src1_sel:DWORD
	v_cndmask_b32_e32 v9, v9, v3, vcc
	s_branch .LBB8_1935
.LBB8_1951:                             ;   in Loop: Header=BB8_955 Depth=2
	s_or_b64 exec, exec, s[44:45]
	s_and_b64 exec, exec, s[92:93]
	s_cbranch_execz .LBB8_1957
; %bb.1952:                             ;   in Loop: Header=BB8_955 Depth=2
	buffer_load_ushort v3, off, s[0:3], s33 offset:56
	buffer_load_ushort v4, off, s[0:3], s33 offset:58
	s_waitcnt vmcnt(0)
	v_lshlrev_b32_e32 v3, 16, v3
	v_lshlrev_b32_e32 v4, 16, v4
	v_max_f32_e32 v4, v4, v4
	v_max_f32_e32 v3, v3, v3
	v_min_f32_e32 v5, v3, v4
	v_max_f32_e32 v3, v3, v4
	v_cndmask_b32_e64 v3, v3, v5, s[28:29]
	v_and_b32_e32 v4, 0x7f800000, v3
	v_cmp_ne_u32_e32 vcc, s96, v4
                                        ; implicit-def: $vgpr4
	s_and_saveexec_b64 s[28:29], vcc
	s_xor_b64 s[28:29], exec, s[28:29]
; %bb.1953:                             ;   in Loop: Header=BB8_955 Depth=2
	v_bfe_u32 v4, v3, 16, 1
	v_add3_u32 v4, v3, v4, s97
                                        ; implicit-def: $vgpr3
; %bb.1954:                             ;   in Loop: Header=BB8_955 Depth=2
	s_andn2_saveexec_b64 s[28:29], s[28:29]
; %bb.1955:                             ;   in Loop: Header=BB8_955 Depth=2
	v_or_b32_e32 v4, 0x10000, v3
	v_cmp_eq_u32_sdwa vcc, v3, v2 src0_sel:WORD_0 src1_sel:DWORD
	v_cndmask_b32_e32 v4, v4, v3, vcc
; %bb.1956:                             ;   in Loop: Header=BB8_955 Depth=2
	s_or_b64 exec, exec, s[28:29]
	flat_store_short_d16_hi v[0:1], v4 glc slc
.LBB8_1957:                             ;   in Loop: Header=BB8_955 Depth=2
	s_or_b64 exec, exec, s[42:43]
.LBB8_1958:                             ;   in Loop: Header=BB8_955 Depth=2
	buffer_load_dword v0, off, s[0:3], s33 offset:312 ; 4-byte Folded Reload
	s_waitcnt vmcnt(0)
	v_cmp_lt_i32_e64 s[28:29], 0, v0
	s_and_saveexec_b64 s[40:41], s[10:11]
	s_cbranch_execz .LBB8_1977
.LBB8_1959:                             ;   in Loop: Header=BB8_955 Depth=2
	s_and_saveexec_b64 s[42:43], s[58:59]
	s_xor_b64 s[42:43], exec, s[42:43]
	s_cbranch_execz .LBB8_1974
; %bb.1960:                             ;   in Loop: Header=BB8_955 Depth=2
	s_and_saveexec_b64 s[44:45], s[16:17]
	s_cbranch_execz .LBB8_1973
; %bb.1961:                             ;   in Loop: Header=BB8_955 Depth=2
	s_mov_b64 s[94:95], exec
	v_mbcnt_lo_u32_b32 v0, s94, 0
	v_mbcnt_hi_u32_b32 v0, s95, v0
	v_cmp_eq_u32_e32 vcc, 0, v0
	s_waitcnt vmcnt(0) lgkmcnt(0)
	buffer_wbinvl1_vol
	s_and_saveexec_b64 s[92:93], vcc
	s_cbranch_execz .LBB8_1963
; %bb.1962:                             ;   in Loop: Header=BB8_955 Depth=2
	s_bcnt1_i32_b64 s46, s[94:95]
	v_mov_b32_e32 v0, s46
	v_mov_b32_e32 v1, v2
	ds_add_u64 v0, v[0:1]
	s_trap 2
.LBB8_1963:                             ;   in Loop: Header=BB8_955 Depth=2
	s_or_b64 exec, exec, s[92:93]
	s_trap 2
	ds_read_b64 v[0:1], v0
	s_waitcnt lgkmcnt(0)
	buffer_load_dword v3, off, s[0:3], s33 offset:132 ; 4-byte Folded Reload
	buffer_load_dword v4, off, s[0:3], s33 offset:136 ; 4-byte Folded Reload
	s_waitcnt vmcnt(1)
	v_add_co_u32_e32 v3, vcc, v3, v52
	s_waitcnt vmcnt(0)
	v_addc_co_u32_e32 v4, vcc, 0, v4, vcc
	buffer_store_dword v3, off, s[0:3], s33 offset:132 ; 4-byte Folded Spill
	s_nop 0
	buffer_store_dword v4, off, s[0:3], s33 offset:136 ; 4-byte Folded Spill
	v_cmp_lt_u64_e32 vcc, v[0:1], v[3:4]
	s_and_saveexec_b64 s[92:93], vcc
	s_cbranch_execz .LBB8_1972
; %bb.1964:                             ;   in Loop: Header=BB8_955 Depth=2
	s_mov_b32 s46, 0
	s_mov_b64 s[94:95], 0
                                        ; implicit-def: $sgpr30_sgpr31
                                        ; implicit-def: $sgpr34_sgpr35
	s_branch .LBB8_1966
.LBB8_1965:                             ;   in Loop: Header=BB8_1966 Depth=3
	s_or_b64 exec, exec, s[38:39]
	s_and_b64 vcc, exec, vcc
	s_or_b64 s[94:95], vcc, s[94:95]
	s_andn2_b64 vcc, s[30:31], exec
	s_and_b64 s[30:31], s[34:35], exec
	s_or_b64 s[30:31], vcc, s[30:31]
	s_andn2_b64 exec, exec, s[94:95]
	s_cbranch_execz .LBB8_1970
.LBB8_1966:                             ;   Parent Loop BB8_47 Depth=1
                                        ;     Parent Loop BB8_955 Depth=2
                                        ; =>    This Inner Loop Header: Depth=3
	s_add_i32 s46, s46, 1
	s_cmpk_lg_i32 s46, 0x2710
	s_cselect_b64 s[36:37], -1, 0
	s_and_b64 vcc, exec, s[36:37]
	s_cbranch_vccz .LBB8_1968
; %bb.1967:                             ;   in Loop: Header=BB8_1966 Depth=3
	s_mov_b64 vcc, -1
	s_or_b64 s[34:35], s[34:35], exec
	s_and_saveexec_b64 s[38:39], s[36:37]
	s_cbranch_execz .LBB8_1965
	s_branch .LBB8_1969
.LBB8_1968:                             ;   in Loop: Header=BB8_1966 Depth=3
	s_trap 2
	ds_read_b64 v[0:1], v0
	s_andn2_b64 s[36:37], s[36:37], exec
	s_mov_b32 s46, 0
	s_waitcnt vmcnt(0) lgkmcnt(0)
	flat_load_dword v0, v[0:1] glc
	s_waitcnt vmcnt(0) lgkmcnt(0)
	buffer_wbinvl1_vol
	v_cmp_eq_u32_e32 vcc, 0, v0
	s_and_b64 vcc, vcc, exec
	s_or_b64 s[36:37], s[36:37], vcc
	s_mov_b64 vcc, -1
	s_or_b64 s[34:35], s[34:35], exec
	s_and_saveexec_b64 s[38:39], s[36:37]
	s_cbranch_execz .LBB8_1965
.LBB8_1969:                             ;   in Loop: Header=BB8_1966 Depth=3
	s_sleep 1
	s_trap 2
	ds_read_b64 v[0:1], v0
	s_waitcnt lgkmcnt(0)
	buffer_load_dword v3, off, s[0:3], s33 offset:132 ; 4-byte Folded Reload
	buffer_load_dword v4, off, s[0:3], s33 offset:136 ; 4-byte Folded Reload
	s_andn2_b64 s[34:35], s[34:35], exec
	s_waitcnt vmcnt(0)
	v_cmp_ge_u64_e32 vcc, v[0:1], v[3:4]
	s_orn2_b64 vcc, vcc, exec
	s_branch .LBB8_1965
.LBB8_1970:                             ;   in Loop: Header=BB8_955 Depth=2
	s_or_b64 exec, exec, s[94:95]
	s_and_saveexec_b64 s[46:47], s[30:31]
	s_xor_b64 s[46:47], exec, s[46:47]
	s_cbranch_execz .LBB8_1972
; %bb.1971:                             ;   in Loop: Header=BB8_955 Depth=2
	v_mov_b32_e32 v0, 1
	ds_write_b32 v0, v0
	s_trap 2
.LBB8_1972:                             ;   in Loop: Header=BB8_955 Depth=2
	s_or_b64 exec, exec, s[92:93]
	;;#ASMSTART
	s_wakeup
	;;#ASMEND
.LBB8_1973:                             ;   in Loop: Header=BB8_955 Depth=2
	s_or_b64 exec, exec, s[44:45]
.LBB8_1974:                             ;   in Loop: Header=BB8_955 Depth=2
	s_andn2_saveexec_b64 s[42:43], s[42:43]
	s_cbranch_execz .LBB8_1976
; %bb.1975:                             ;   in Loop: Header=BB8_955 Depth=2
	s_waitcnt vmcnt(0) lgkmcnt(0)
	buffer_wbinvl1_vol
	s_barrier
.LBB8_1976:                             ;   in Loop: Header=BB8_955 Depth=2
	s_or_b64 exec, exec, s[42:43]
.LBB8_1977:                             ;   in Loop: Header=BB8_955 Depth=2
	s_or_b64 exec, exec, s[40:41]
	v_and_b32_e32 v0, 16, v56
	s_and_saveexec_b64 s[40:41], s[24:25]
	s_xor_b64 s[40:41], exec, s[40:41]
	s_cbranch_execz .LBB8_1981
; %bb.1978:                             ;   in Loop: Header=BB8_955 Depth=2
	v_and_b32_e32 v1, 16, v56
	v_cmp_ne_u32_e32 vcc, 0, v1
	v_and_b32_e32 v0, 16, v56
	s_and_b64 s[42:43], vcc, s[28:29]
	s_and_saveexec_b64 s[28:29], s[42:43]
	s_cbranch_execz .LBB8_1980
; %bb.1979:                             ;   in Loop: Header=BB8_955 Depth=2
	v_mov_b32_e32 v0, 1
	s_waitcnt vmcnt(0) lgkmcnt(0)
	buffer_wbinvl1_vol
.LBB8_1980:                             ;   in Loop: Header=BB8_955 Depth=2
	s_or_b64 exec, exec, s[28:29]
.LBB8_1981:                             ;   in Loop: Header=BB8_955 Depth=2
	s_andn2_saveexec_b64 s[28:29], s[40:41]
	s_cbranch_execz .LBB8_2000
; %bb.1982:                             ;   in Loop: Header=BB8_955 Depth=2
	s_and_saveexec_b64 s[40:41], s[58:59]
	s_xor_b64 s[40:41], exec, s[40:41]
	s_cbranch_execz .LBB8_1997
; %bb.1983:                             ;   in Loop: Header=BB8_955 Depth=2
	s_and_saveexec_b64 s[42:43], s[16:17]
	s_cbranch_execz .LBB8_1996
; %bb.1984:                             ;   in Loop: Header=BB8_955 Depth=2
	s_mov_b64 s[92:93], exec
	v_mbcnt_lo_u32_b32 v1, s92, 0
	v_mbcnt_hi_u32_b32 v1, s93, v1
	v_cmp_eq_u32_e32 vcc, 0, v1
	;;#ASMSTART
	s_waitcnt lgkmcnt(0) vmcnt(0)
	;;#ASMEND
	s_and_saveexec_b64 s[44:45], vcc
	s_cbranch_execz .LBB8_1986
; %bb.1985:                             ;   in Loop: Header=BB8_955 Depth=2
	s_bcnt1_i32_b64 s46, s[92:93]
	v_mov_b32_e32 v3, s46
	v_mov_b32_e32 v4, v2
	s_waitcnt lgkmcnt(0)
	ds_add_u64 v0, v[3:4]
	s_trap 2
.LBB8_1986:                             ;   in Loop: Header=BB8_955 Depth=2
	s_or_b64 exec, exec, s[44:45]
	s_trap 2
	ds_read_b64 v[3:4], v0
	s_waitcnt lgkmcnt(0)
	buffer_load_dword v5, off, s[0:3], s33 offset:132 ; 4-byte Folded Reload
	buffer_load_dword v6, off, s[0:3], s33 offset:136 ; 4-byte Folded Reload
	s_waitcnt vmcnt(1)
	v_add_co_u32_e32 v5, vcc, v5, v52
	s_waitcnt vmcnt(0)
	v_addc_co_u32_e32 v6, vcc, 0, v6, vcc
	buffer_store_dword v5, off, s[0:3], s33 offset:132 ; 4-byte Folded Spill
	s_nop 0
	buffer_store_dword v6, off, s[0:3], s33 offset:136 ; 4-byte Folded Spill
	v_cmp_lt_u64_e32 vcc, v[3:4], v[5:6]
	s_and_saveexec_b64 s[44:45], vcc
	s_cbranch_execz .LBB8_1995
; %bb.1987:                             ;   in Loop: Header=BB8_955 Depth=2
	s_mov_b32 s46, 0
	s_mov_b64 s[92:93], 0
                                        ; implicit-def: $sgpr94_sgpr95
                                        ; implicit-def: $sgpr30_sgpr31
	s_branch .LBB8_1989
.LBB8_1988:                             ;   in Loop: Header=BB8_1989 Depth=3
	s_or_b64 exec, exec, s[36:37]
	s_and_b64 vcc, exec, vcc
	s_or_b64 s[92:93], vcc, s[92:93]
	s_andn2_b64 s[94:95], s[94:95], exec
	s_and_b64 vcc, s[30:31], exec
	s_or_b64 s[94:95], s[94:95], vcc
	s_andn2_b64 exec, exec, s[92:93]
	s_cbranch_execz .LBB8_1993
.LBB8_1989:                             ;   Parent Loop BB8_47 Depth=1
                                        ;     Parent Loop BB8_955 Depth=2
                                        ; =>    This Inner Loop Header: Depth=3
	s_add_i32 s46, s46, 1
	s_cmpk_lg_i32 s46, 0x2710
	s_cselect_b64 s[34:35], -1, 0
	s_and_b64 vcc, exec, s[34:35]
	s_cbranch_vccz .LBB8_1991
; %bb.1990:                             ;   in Loop: Header=BB8_1989 Depth=3
	s_mov_b64 vcc, -1
	s_or_b64 s[30:31], s[30:31], exec
	s_and_saveexec_b64 s[36:37], s[34:35]
	s_cbranch_execz .LBB8_1988
	s_branch .LBB8_1992
.LBB8_1991:                             ;   in Loop: Header=BB8_1989 Depth=3
	s_trap 2
	ds_read_b64 v[3:4], v0
	s_andn2_b64 s[34:35], s[34:35], exec
	s_mov_b32 s46, 0
	s_waitcnt vmcnt(0) lgkmcnt(0)
	flat_load_dword v1, v[3:4] glc
	s_waitcnt vmcnt(0) lgkmcnt(0)
	buffer_wbinvl1_vol
	v_cmp_eq_u32_e32 vcc, 0, v1
	s_and_b64 vcc, vcc, exec
	s_or_b64 s[34:35], s[34:35], vcc
	s_mov_b64 vcc, -1
	s_or_b64 s[30:31], s[30:31], exec
	s_and_saveexec_b64 s[36:37], s[34:35]
	s_cbranch_execz .LBB8_1988
.LBB8_1992:                             ;   in Loop: Header=BB8_1989 Depth=3
	s_sleep 1
	s_trap 2
	ds_read_b64 v[3:4], v0
	s_waitcnt lgkmcnt(0)
	buffer_load_dword v5, off, s[0:3], s33 offset:132 ; 4-byte Folded Reload
	buffer_load_dword v6, off, s[0:3], s33 offset:136 ; 4-byte Folded Reload
	s_andn2_b64 s[30:31], s[30:31], exec
	s_waitcnt vmcnt(0)
	v_cmp_ge_u64_e32 vcc, v[3:4], v[5:6]
	s_orn2_b64 vcc, vcc, exec
	s_branch .LBB8_1988
.LBB8_1993:                             ;   in Loop: Header=BB8_955 Depth=2
	s_or_b64 exec, exec, s[92:93]
	s_and_saveexec_b64 s[46:47], s[94:95]
	s_xor_b64 s[46:47], exec, s[46:47]
	s_cbranch_execz .LBB8_1995
; %bb.1994:                             ;   in Loop: Header=BB8_955 Depth=2
	v_mov_b32_e32 v1, 1
	ds_write_b32 v0, v1
	s_trap 2
.LBB8_1995:                             ;   in Loop: Header=BB8_955 Depth=2
	s_or_b64 exec, exec, s[44:45]
	;;#ASMSTART
	s_wakeup
	;;#ASMEND
.LBB8_1996:                             ;   in Loop: Header=BB8_955 Depth=2
	s_or_b64 exec, exec, s[42:43]
.LBB8_1997:                             ;   in Loop: Header=BB8_955 Depth=2
	s_andn2_saveexec_b64 s[40:41], s[40:41]
	s_cbranch_execz .LBB8_1999
; %bb.1998:                             ;   in Loop: Header=BB8_955 Depth=2
	;;#ASMSTART
	s_waitcnt lgkmcnt(0) vmcnt(0)
	;;#ASMEND
	s_waitcnt vmcnt(0) lgkmcnt(0)
	s_barrier
.LBB8_1999:                             ;   in Loop: Header=BB8_955 Depth=2
	s_or_b64 exec, exec, s[40:41]
.LBB8_2000:                             ;   in Loop: Header=BB8_955 Depth=2
	s_or_b64 exec, exec, s[28:29]
	v_cmp_ne_u32_e32 vcc, 0, v0
	s_xor_b64 s[28:29], s[12:13], -1
	s_and_b64 s[40:41], vcc, s[28:29]
	s_and_saveexec_b64 s[28:29], s[40:41]
	s_cbranch_execz .LBB8_2002
; %bb.2001:                             ;   in Loop: Header=BB8_955 Depth=2
	buffer_load_dword v0, off, s[0:3], s33 offset:220 ; 4-byte Folded Reload
	buffer_load_dword v1, off, s[0:3], s33 offset:224 ; 4-byte Folded Reload
	v_mov_b32_e32 v3, 1
	s_waitcnt vmcnt(0)
	flat_store_dword v[0:1], v3
.LBB8_2002:                             ;   in Loop: Header=BB8_955 Depth=2
	s_or_b64 exec, exec, s[28:29]
	v_and_b32_e32 v0, 48, v56
	v_cmp_ne_u32_e32 vcc, 0, v0
	s_and_saveexec_b64 s[28:29], vcc
	s_cbranch_execz .LBB8_954
; %bb.2003:                             ;   in Loop: Header=BB8_955 Depth=2
	buffer_load_dword v0, off, s[0:3], s33 offset:148 ; 4-byte Folded Reload
	buffer_load_dword v1, off, s[0:3], s33 offset:152 ; 4-byte Folded Reload
	s_waitcnt vmcnt(0)
	v_add_co_u32_e32 v0, vcc, 2, v0
	v_addc_co_u32_e32 v1, vcc, 0, v1, vcc
	buffer_store_dword v0, off, s[0:3], s33 offset:148 ; 4-byte Folded Spill
	s_nop 0
	buffer_store_dword v1, off, s[0:3], s33 offset:152 ; 4-byte Folded Spill
	flat_store_dwordx2 v[40:41], v[0:1]
	s_branch .LBB8_954
.LBB8_2004:                             ;   in Loop: Header=BB8_47 Depth=1
	s_or_b64 exec, exec, s[78:79]
	v_cmp_gt_i32_e32 vcc, 2, v3
	s_and_saveexec_b64 s[40:41], vcc
	s_cbranch_execz .LBB8_2080
.LBB8_2005:                             ;   in Loop: Header=BB8_47 Depth=1
	buffer_load_dword v10, off, s[0:3], s33 offset:276 ; 4-byte Folded Reload
	buffer_load_dword v11, off, s[0:3], s33 offset:280 ; 4-byte Folded Reload
	;; [unrolled: 1-line block ×4, first 2 shown]
	v_cmp_eq_u32_e64 s[44:45], 0, v3
	s_mov_b64 s[42:43], 0
	s_branch .LBB8_2007
.LBB8_2006:                             ;   in Loop: Header=BB8_2007 Depth=2
	s_or_b64 exec, exec, s[28:29]
	v_mov_b32_e32 v0, v11
	v_add_u32_e32 v0, v10, v0
	s_mov_b64 s[44:45], 0
	s_andn2_b64 exec, exec, s[42:43]
	s_cbranch_execz .LBB8_2081
.LBB8_2007:                             ;   Parent Loop BB8_47 Depth=1
                                        ; =>  This Loop Header: Depth=2
                                        ;       Child Loop BB8_2013 Depth 3
                                        ;       Child Loop BB8_2041 Depth 3
	;; [unrolled: 1-line block ×3, first 2 shown]
	s_waitcnt vmcnt(0)
	v_mov_b32_e32 v11, v0
	v_sub_u32_e32 v0, v31, v0
	v_min_i32_e32 v10, v10, v0
	v_and_b32_e32 v0, 12, v56
	v_cmp_ne_u32_e32 vcc, 0, v0
	s_and_saveexec_b64 s[78:79], vcc
	s_cbranch_execz .LBB8_2033
; %bb.2008:                             ;   in Loop: Header=BB8_2007 Depth=2
	buffer_load_dword v0, off, s[0:3], s33 offset:148 ; 4-byte Folded Reload
	buffer_load_dword v1, off, s[0:3], s33 offset:152 ; 4-byte Folded Reload
	v_and_b32_e32 v8, 8, v56
	s_waitcnt lgkmcnt(0)
	v_add_co_u32_e32 v3, vcc, v46, v8
	v_addc_co_u32_e32 v4, vcc, 0, v47, vcc
	s_waitcnt vmcnt(1)
	v_add_co_u32_e32 v0, vcc, 2, v0
	s_waitcnt vmcnt(0)
	v_addc_co_u32_e32 v1, vcc, 0, v1, vcc
	v_cmp_lt_u64_e32 vcc, v[3:4], v[0:1]
	s_and_saveexec_b64 s[88:89], vcc
	s_cbranch_execz .LBB8_2020
; %bb.2009:                             ;   in Loop: Header=BB8_2007 Depth=2
	v_and_b32_e32 v3, 64, v56
	s_mov_b32 s46, 0
	v_cmp_eq_u32_e32 vcc, 0, v3
	s_mov_b64 s[90:91], 0
                                        ; implicit-def: $sgpr92_sgpr93
                                        ; implicit-def: $sgpr94_sgpr95
                                        ; implicit-def: $sgpr30_sgpr31
	s_branch .LBB8_2013
.LBB8_2010:                             ;   in Loop: Header=BB8_2013 Depth=3
	s_waitcnt vmcnt(0) lgkmcnt(0)
	v_add_co_u32_e64 v4, s[28:29], v46, v8
	v_addc_co_u32_e64 v5, s[28:29], 0, v47, s[28:29]
	v_cmp_ge_u64_e64 s[28:29], v[4:5], v[0:1]
	s_or_b64 s[38:39], s[38:39], exec
	s_orn2_b64 s[36:37], s[28:29], exec
.LBB8_2011:                             ;   in Loop: Header=BB8_2013 Depth=3
	s_or_b64 exec, exec, s[50:51]
	s_andn2_b64 s[28:29], s[30:31], exec
	s_and_b64 s[30:31], s[38:39], exec
	s_or_b64 s[30:31], s[28:29], s[30:31]
	s_andn2_b64 s[28:29], s[94:95], exec
	s_and_b64 s[94:95], s[36:37], exec
	s_or_b64 s[94:95], s[28:29], s[94:95]
.LBB8_2012:                             ;   in Loop: Header=BB8_2013 Depth=3
	s_or_b64 exec, exec, s[34:35]
	s_and_b64 s[28:29], exec, s[94:95]
	s_or_b64 s[90:91], s[28:29], s[90:91]
	s_andn2_b64 s[28:29], s[92:93], exec
	s_and_b64 s[92:93], s[30:31], exec
	s_or_b64 s[92:93], s[28:29], s[92:93]
	s_andn2_b64 exec, exec, s[90:91]
	s_cbranch_execz .LBB8_2017
.LBB8_2013:                             ;   Parent Loop BB8_47 Depth=1
                                        ;     Parent Loop BB8_2007 Depth=2
                                        ; =>    This Inner Loop Header: Depth=3
	s_sleep 1
	s_waitcnt vmcnt(0) lgkmcnt(0)
	flat_load_dwordx2 v[46:47], v[40:41] glc
	s_or_b64 s[30:31], s[30:31], exec
	s_or_b64 s[94:95], s[94:95], exec
                                        ; implicit-def: $vgpr3
	s_and_saveexec_b64 s[34:35], vcc
	s_cbranch_execz .LBB8_2012
; %bb.2014:                             ;   in Loop: Header=BB8_2013 Depth=3
	s_cmpk_lt_i32 s46, 0x270f
	s_cselect_b64 s[48:49], -1, 0
	s_cmpk_gt_i32 s46, 0x270e
	s_mov_b64 s[36:37], -1
	s_cbranch_scc0 .LBB8_2016
; %bb.2015:                             ;   in Loop: Header=BB8_2013 Depth=3
	s_trap 2
	ds_read_b64 v[3:4], v0
	s_andn2_b64 s[48:49], s[48:49], exec
	s_mov_b32 s46, 0
	s_mov_b64 s[38:39], 0
	s_waitcnt vmcnt(0) lgkmcnt(0)
	flat_load_dword v3, v[3:4] glc
	s_waitcnt vmcnt(0) lgkmcnt(0)
	buffer_wbinvl1_vol
	v_cmp_eq_u32_e64 s[28:29], 0, v3
	s_and_b64 s[28:29], s[28:29], exec
	s_or_b64 s[48:49], s[48:49], s[28:29]
	s_and_saveexec_b64 s[50:51], s[48:49]
	s_cbranch_execz .LBB8_2011
	s_branch .LBB8_2010
.LBB8_2016:                             ;   in Loop: Header=BB8_2013 Depth=3
	s_add_i32 s46, s46, 1
	s_mov_b64 s[38:39], -1
                                        ; implicit-def: $vgpr3
	s_and_saveexec_b64 s[50:51], s[48:49]
	s_cbranch_execz .LBB8_2011
	s_branch .LBB8_2010
.LBB8_2017:                             ;   in Loop: Header=BB8_2007 Depth=2
	s_or_b64 exec, exec, s[90:91]
	s_xor_b64 s[28:29], s[92:93], -1
	s_and_saveexec_b64 s[46:47], s[28:29]
	s_xor_b64 s[28:29], exec, s[46:47]
	s_cbranch_execz .LBB8_2019
; %bb.2018:                             ;   in Loop: Header=BB8_2007 Depth=2
	v_or_b32_e32 v56, 64, v56
	s_waitcnt lgkmcnt(0)
	ds_write_b32 v0, v3
	s_trap 2
.LBB8_2019:                             ;   in Loop: Header=BB8_2007 Depth=2
	s_or_b64 exec, exec, s[28:29]
.LBB8_2020:                             ;   in Loop: Header=BB8_2007 Depth=2
	s_or_b64 exec, exec, s[88:89]
	v_and_b32_e32 v3, 0x108, v56
	;;#ASMSTART
	s_wakeup
	;;#ASMEND
	v_cmp_ne_u32_e32 vcc, s87, v3
	buffer_load_dword v3, off, s[0:3], s33 offset:148 ; 4-byte Folded Reload
	buffer_load_dword v4, off, s[0:3], s33 offset:152 ; 4-byte Folded Reload
	s_waitcnt vmcnt(0)
	v_and_b32_e32 v3, 7, v3
	s_and_saveexec_b64 s[28:29], vcc
	s_xor_b64 s[28:29], exec, s[28:29]
                                        ; implicit-def: $vgpr9
; %bb.2021:                             ;   in Loop: Header=BB8_2007 Depth=2
	v_mov_b32_e32 v9, v2
; %bb.2022:                             ;   in Loop: Header=BB8_2007 Depth=2
	s_andn2_saveexec_b64 s[28:29], s[28:29]
	s_cbranch_execz .LBB8_2024
; %bb.2023:                             ;   in Loop: Header=BB8_2007 Depth=2
	buffer_load_dword v4, off, s[0:3], s33 offset:204 ; 4-byte Folded Reload
	buffer_load_dword v5, off, s[0:3], s33 offset:208 ; 4-byte Folded Reload
	;; [unrolled: 1-line block ×4, first 2 shown]
	s_waitcnt vmcnt(0)
	v_mov_b32_e32 v6, v10
	v_ashrrev_i32_e32 v7, 31, v6
	v_lshlrev_b64 v[6:7], 1, v[6:7]
	v_mov_b32_e32 v9, v2
	v_mad_u64_u32 v[4:5], s[46:47], v3, 24, v[4:5]
	flat_store_dwordx2 v[4:5], v[6:7] offset:8
.LBB8_2024:                             ;   in Loop: Header=BB8_2007 Depth=2
	s_or_b64 exec, exec, s[28:29]
	v_and_b32_e32 v4, 0x100, v56
	v_cmp_ne_u32_e32 vcc, 0, v4
	s_mov_b64 s[28:29], -1
                                        ; implicit-def: $vgpr4_vgpr5
	s_and_saveexec_b64 s[88:89], vcc
	s_cbranch_execz .LBB8_2028
; %bb.2025:                             ;   in Loop: Header=BB8_2007 Depth=2
	buffer_load_dword v4, off, s[0:3], s33 offset:204 ; 4-byte Folded Reload
	buffer_load_dword v5, off, s[0:3], s33 offset:208 ; 4-byte Folded Reload
	;; [unrolled: 1-line block ×4, first 2 shown]
	s_waitcnt vmcnt(0)
	v_mad_u64_u32 v[6:7], s[28:29], v3, 24, v[4:5]
	v_mov_b32_e32 v4, v7
	v_mad_u64_u32 v[4:5], s[28:29], v9, 24, v[4:5]
	v_mov_b32_e32 v7, v4
	flat_load_dword v4, v[6:7]
	s_waitcnt vmcnt(0) lgkmcnt(0)
	v_cmp_ne_u32_e32 vcc, 1, v4
	v_cmp_eq_u32_e64 s[28:29], 1, v4
                                        ; implicit-def: $vgpr4_vgpr5
	s_and_saveexec_b64 s[90:91], s[28:29]
	s_cbranch_execz .LBB8_2027
; %bb.2026:                             ;   in Loop: Header=BB8_2007 Depth=2
	flat_load_dword v4, v[6:7] offset:4 glc
	s_waitcnt vmcnt(0) lgkmcnt(0)
	v_ashrrev_i32_e32 v5, 31, v4
	v_lshrrev_b64 v[4:5], 1, v[4:5]
.LBB8_2027:                             ;   in Loop: Header=BB8_2007 Depth=2
	s_or_b64 exec, exec, s[90:91]
	s_orn2_b64 s[28:29], vcc, exec
.LBB8_2028:                             ;   in Loop: Header=BB8_2007 Depth=2
	s_or_b64 exec, exec, s[88:89]
	s_and_saveexec_b64 s[88:89], s[28:29]
	s_cbranch_execz .LBB8_2030
; %bb.2029:                             ;   in Loop: Header=BB8_2007 Depth=2
	buffer_load_dword v4, off, s[0:3], s33 offset:228 ; 4-byte Folded Reload
	buffer_load_dword v5, off, s[0:3], s33 offset:232 ; 4-byte Folded Reload
	s_waitcnt vmcnt(0)
	v_mul_lo_u32 v6, v9, v4
	v_mul_lo_u32 v7, v3, v5
	v_mad_u64_u32 v[4:5], s[28:29], v3, v4, 0
	v_add3_u32 v5, v5, v7, v6
.LBB8_2030:                             ;   in Loop: Header=BB8_2007 Depth=2
	s_or_b64 exec, exec, s[88:89]
	v_cmp_eq_u32_e32 vcc, 0, v8
	buffer_load_dword v7, off, s[0:3], s33 offset:196 ; 4-byte Folded Reload
	buffer_load_dword v8, off, s[0:3], s33 offset:200 ; 4-byte Folded Reload
	v_mov_b32_e32 v3, 0x90
	v_mov_b32_e32 v6, 0xd0
	v_cndmask_b32_e32 v6, v6, v3, vcc
	v_lshlrev_b64 v[3:4], 1, v[4:5]
	v_add_u32_e32 v5, v0, v6
	s_waitcnt vmcnt(0)
	v_add_co_u32_e32 v3, vcc, v7, v3
	v_addc_co_u32_e32 v4, vcc, v8, v4, vcc
	ds_write_b64 v5, v[3:4] offset:584
	v_and_b32_e32 v3, 0x2000, v56
	v_cmp_ne_u32_e32 vcc, 0, v3
	s_and_saveexec_b64 s[28:29], vcc
	s_cbranch_execz .LBB8_2032
; %bb.2031:                             ;   in Loop: Header=BB8_2007 Depth=2
	ds_read_b64 v[3:4], v0 offset:872
	s_waitcnt lgkmcnt(0)
	v_add_co_u32_e32 v3, vcc, 1, v3
	v_addc_co_u32_e32 v4, vcc, 0, v4, vcc
	ds_write_b64 v0, v[3:4] offset:872
.LBB8_2032:                             ;   in Loop: Header=BB8_2007 Depth=2
	s_or_b64 exec, exec, s[28:29]
	buffer_store_dword v0, off, s[0:3], s33 offset:148 ; 4-byte Folded Spill
	s_nop 0
	buffer_store_dword v1, off, s[0:3], s33 offset:152 ; 4-byte Folded Spill
.LBB8_2033:                             ;   in Loop: Header=BB8_2007 Depth=2
	s_or_b64 exec, exec, s[78:79]
	s_xor_b64 s[28:29], s[44:45], -1
	s_and_b64 s[28:29], exec, s[28:29]
	s_or_b64 s[42:43], s[28:29], s[42:43]
	s_and_saveexec_b64 s[28:29], s[10:11]
	s_cbranch_execz .LBB8_2052
; %bb.2034:                             ;   in Loop: Header=BB8_2007 Depth=2
	s_and_saveexec_b64 s[44:45], s[58:59]
	s_xor_b64 s[44:45], exec, s[44:45]
	s_cbranch_execz .LBB8_2049
; %bb.2035:                             ;   in Loop: Header=BB8_2007 Depth=2
	s_and_saveexec_b64 s[78:79], s[16:17]
	s_cbranch_execz .LBB8_2048
; %bb.2036:                             ;   in Loop: Header=BB8_2007 Depth=2
	s_mov_b64 s[90:91], exec
	v_mbcnt_lo_u32_b32 v0, s90, 0
	v_mbcnt_hi_u32_b32 v0, s91, v0
	v_cmp_eq_u32_e32 vcc, 0, v0
	s_waitcnt vmcnt(0) lgkmcnt(0)
	buffer_wbinvl1_vol
	s_and_saveexec_b64 s[88:89], vcc
	s_cbranch_execz .LBB8_2038
; %bb.2037:                             ;   in Loop: Header=BB8_2007 Depth=2
	s_bcnt1_i32_b64 s46, s[90:91]
	v_mov_b32_e32 v0, s46
	v_mov_b32_e32 v1, v2
	ds_add_u64 v0, v[0:1]
	s_trap 2
.LBB8_2038:                             ;   in Loop: Header=BB8_2007 Depth=2
	s_or_b64 exec, exec, s[88:89]
	s_trap 2
	ds_read_b64 v[0:1], v0
	s_waitcnt lgkmcnt(0)
	buffer_load_dword v3, off, s[0:3], s33 offset:132 ; 4-byte Folded Reload
	buffer_load_dword v4, off, s[0:3], s33 offset:136 ; 4-byte Folded Reload
	s_waitcnt vmcnt(1)
	v_add_co_u32_e32 v3, vcc, v3, v52
	s_waitcnt vmcnt(0)
	v_addc_co_u32_e32 v4, vcc, 0, v4, vcc
	buffer_store_dword v3, off, s[0:3], s33 offset:132 ; 4-byte Folded Spill
	s_nop 0
	buffer_store_dword v4, off, s[0:3], s33 offset:136 ; 4-byte Folded Spill
	v_cmp_lt_u64_e32 vcc, v[0:1], v[3:4]
	s_and_saveexec_b64 s[88:89], vcc
	s_cbranch_execz .LBB8_2047
; %bb.2039:                             ;   in Loop: Header=BB8_2007 Depth=2
	s_mov_b32 s46, 0
	s_mov_b64 s[90:91], 0
                                        ; implicit-def: $sgpr92_sgpr93
                                        ; implicit-def: $sgpr94_sgpr95
	s_branch .LBB8_2041
.LBB8_2040:                             ;   in Loop: Header=BB8_2041 Depth=3
	s_or_b64 exec, exec, s[34:35]
	s_and_b64 vcc, exec, vcc
	s_or_b64 s[90:91], vcc, s[90:91]
	s_andn2_b64 s[92:93], s[92:93], exec
	s_and_b64 vcc, s[94:95], exec
	s_or_b64 s[92:93], s[92:93], vcc
	s_andn2_b64 exec, exec, s[90:91]
	s_cbranch_execz .LBB8_2045
.LBB8_2041:                             ;   Parent Loop BB8_47 Depth=1
                                        ;     Parent Loop BB8_2007 Depth=2
                                        ; =>    This Inner Loop Header: Depth=3
	s_add_i32 s46, s46, 1
	s_cmpk_lg_i32 s46, 0x2710
	s_cselect_b64 s[30:31], -1, 0
	s_and_b64 vcc, exec, s[30:31]
	s_cbranch_vccz .LBB8_2043
; %bb.2042:                             ;   in Loop: Header=BB8_2041 Depth=3
	s_mov_b64 vcc, -1
	s_or_b64 s[94:95], s[94:95], exec
	s_and_saveexec_b64 s[34:35], s[30:31]
	s_cbranch_execz .LBB8_2040
	s_branch .LBB8_2044
.LBB8_2043:                             ;   in Loop: Header=BB8_2041 Depth=3
	s_trap 2
	ds_read_b64 v[0:1], v0
	s_andn2_b64 s[30:31], s[30:31], exec
	s_mov_b32 s46, 0
	s_waitcnt vmcnt(0) lgkmcnt(0)
	flat_load_dword v0, v[0:1] glc
	s_waitcnt vmcnt(0) lgkmcnt(0)
	buffer_wbinvl1_vol
	v_cmp_eq_u32_e32 vcc, 0, v0
	s_and_b64 vcc, vcc, exec
	s_or_b64 s[30:31], s[30:31], vcc
	s_mov_b64 vcc, -1
	s_or_b64 s[94:95], s[94:95], exec
	s_and_saveexec_b64 s[34:35], s[30:31]
	s_cbranch_execz .LBB8_2040
.LBB8_2044:                             ;   in Loop: Header=BB8_2041 Depth=3
	s_sleep 1
	s_trap 2
	ds_read_b64 v[0:1], v0
	s_waitcnt lgkmcnt(0)
	buffer_load_dword v3, off, s[0:3], s33 offset:132 ; 4-byte Folded Reload
	buffer_load_dword v4, off, s[0:3], s33 offset:136 ; 4-byte Folded Reload
	s_andn2_b64 s[94:95], s[94:95], exec
	s_waitcnt vmcnt(0)
	v_cmp_ge_u64_e32 vcc, v[0:1], v[3:4]
	s_orn2_b64 vcc, vcc, exec
	s_branch .LBB8_2040
.LBB8_2045:                             ;   in Loop: Header=BB8_2007 Depth=2
	s_or_b64 exec, exec, s[90:91]
	s_and_saveexec_b64 s[46:47], s[92:93]
	s_xor_b64 s[46:47], exec, s[46:47]
	s_cbranch_execz .LBB8_2047
; %bb.2046:                             ;   in Loop: Header=BB8_2007 Depth=2
	v_mov_b32_e32 v0, 1
	ds_write_b32 v0, v0
	s_trap 2
.LBB8_2047:                             ;   in Loop: Header=BB8_2007 Depth=2
	s_or_b64 exec, exec, s[88:89]
	;;#ASMSTART
	s_wakeup
	;;#ASMEND
.LBB8_2048:                             ;   in Loop: Header=BB8_2007 Depth=2
	s_or_b64 exec, exec, s[78:79]
.LBB8_2049:                             ;   in Loop: Header=BB8_2007 Depth=2
	s_andn2_saveexec_b64 s[44:45], s[44:45]
	s_cbranch_execz .LBB8_2051
; %bb.2050:                             ;   in Loop: Header=BB8_2007 Depth=2
	s_waitcnt vmcnt(0) lgkmcnt(0)
	buffer_wbinvl1_vol
	s_barrier
.LBB8_2051:                             ;   in Loop: Header=BB8_2007 Depth=2
	s_or_b64 exec, exec, s[44:45]
.LBB8_2052:                             ;   in Loop: Header=BB8_2007 Depth=2
	s_or_b64 exec, exec, s[28:29]
	v_and_b32_e32 v0, 16, v56
	s_and_saveexec_b64 s[28:29], s[24:25]
	s_xor_b64 s[28:29], exec, s[28:29]
	s_cbranch_execz .LBB8_2056
; %bb.2053:                             ;   in Loop: Header=BB8_2007 Depth=2
	s_trap 2
	ds_read_b32 v0, v0
	v_cmp_lt_i32_e32 vcc, 0, v10
	v_and_b32_e32 v1, 16, v56
	s_waitcnt lgkmcnt(0)
	v_readfirstlane_b32 s44, v0
	s_cmp_eq_u32 s44, 0
	s_cselect_b64 s[44:45], -1, 0
	s_and_b64 s[44:45], vcc, s[44:45]
	v_cmp_ne_u32_e32 vcc, 0, v1
	v_and_b32_e32 v0, 16, v56
	s_and_b64 s[46:47], vcc, s[44:45]
	s_and_saveexec_b64 s[44:45], s[46:47]
	s_cbranch_execz .LBB8_2055
; %bb.2054:                             ;   in Loop: Header=BB8_2007 Depth=2
	v_mov_b32_e32 v0, 1
	s_waitcnt vmcnt(0)
	buffer_wbinvl1_vol
.LBB8_2055:                             ;   in Loop: Header=BB8_2007 Depth=2
	s_or_b64 exec, exec, s[44:45]
.LBB8_2056:                             ;   in Loop: Header=BB8_2007 Depth=2
	s_andn2_saveexec_b64 s[28:29], s[28:29]
	s_cbranch_execz .LBB8_2075
; %bb.2057:                             ;   in Loop: Header=BB8_2007 Depth=2
	s_and_saveexec_b64 s[44:45], s[58:59]
	s_xor_b64 s[44:45], exec, s[44:45]
	s_cbranch_execz .LBB8_2072
; %bb.2058:                             ;   in Loop: Header=BB8_2007 Depth=2
	s_and_saveexec_b64 s[78:79], s[16:17]
	s_cbranch_execz .LBB8_2071
; %bb.2059:                             ;   in Loop: Header=BB8_2007 Depth=2
	s_mov_b64 s[90:91], exec
	v_mbcnt_lo_u32_b32 v1, s90, 0
	v_mbcnt_hi_u32_b32 v1, s91, v1
	v_cmp_eq_u32_e32 vcc, 0, v1
	;;#ASMSTART
	s_waitcnt lgkmcnt(0) vmcnt(0)
	;;#ASMEND
	s_and_saveexec_b64 s[88:89], vcc
	s_cbranch_execz .LBB8_2061
; %bb.2060:                             ;   in Loop: Header=BB8_2007 Depth=2
	s_bcnt1_i32_b64 s46, s[90:91]
	v_mov_b32_e32 v3, s46
	v_mov_b32_e32 v4, v2
	s_waitcnt lgkmcnt(0)
	ds_add_u64 v0, v[3:4]
	s_trap 2
.LBB8_2061:                             ;   in Loop: Header=BB8_2007 Depth=2
	s_or_b64 exec, exec, s[88:89]
	s_trap 2
	ds_read_b64 v[3:4], v0
	s_waitcnt lgkmcnt(0)
	buffer_load_dword v5, off, s[0:3], s33 offset:132 ; 4-byte Folded Reload
	buffer_load_dword v6, off, s[0:3], s33 offset:136 ; 4-byte Folded Reload
	s_waitcnt vmcnt(1)
	v_add_co_u32_e32 v5, vcc, v5, v52
	s_waitcnt vmcnt(0)
	v_addc_co_u32_e32 v6, vcc, 0, v6, vcc
	buffer_store_dword v5, off, s[0:3], s33 offset:132 ; 4-byte Folded Spill
	s_nop 0
	buffer_store_dword v6, off, s[0:3], s33 offset:136 ; 4-byte Folded Spill
	v_cmp_lt_u64_e32 vcc, v[3:4], v[5:6]
	s_and_saveexec_b64 s[88:89], vcc
	s_cbranch_execz .LBB8_2070
; %bb.2062:                             ;   in Loop: Header=BB8_2007 Depth=2
	s_mov_b32 s46, 0
	s_mov_b64 s[90:91], 0
                                        ; implicit-def: $sgpr92_sgpr93
                                        ; implicit-def: $sgpr94_sgpr95
	s_branch .LBB8_2064
.LBB8_2063:                             ;   in Loop: Header=BB8_2064 Depth=3
	s_or_b64 exec, exec, s[34:35]
	s_and_b64 vcc, exec, vcc
	s_or_b64 s[90:91], vcc, s[90:91]
	s_andn2_b64 s[92:93], s[92:93], exec
	s_and_b64 vcc, s[94:95], exec
	s_or_b64 s[92:93], s[92:93], vcc
	s_andn2_b64 exec, exec, s[90:91]
	s_cbranch_execz .LBB8_2068
.LBB8_2064:                             ;   Parent Loop BB8_47 Depth=1
                                        ;     Parent Loop BB8_2007 Depth=2
                                        ; =>    This Inner Loop Header: Depth=3
	s_add_i32 s46, s46, 1
	s_cmpk_lg_i32 s46, 0x2710
	s_cselect_b64 s[30:31], -1, 0
	s_and_b64 vcc, exec, s[30:31]
	s_cbranch_vccz .LBB8_2066
; %bb.2065:                             ;   in Loop: Header=BB8_2064 Depth=3
	s_mov_b64 vcc, -1
	s_or_b64 s[94:95], s[94:95], exec
	s_and_saveexec_b64 s[34:35], s[30:31]
	s_cbranch_execz .LBB8_2063
	s_branch .LBB8_2067
.LBB8_2066:                             ;   in Loop: Header=BB8_2064 Depth=3
	s_trap 2
	ds_read_b64 v[3:4], v0
	s_andn2_b64 s[30:31], s[30:31], exec
	s_mov_b32 s46, 0
	s_waitcnt vmcnt(0) lgkmcnt(0)
	flat_load_dword v1, v[3:4] glc
	s_waitcnt vmcnt(0) lgkmcnt(0)
	buffer_wbinvl1_vol
	v_cmp_eq_u32_e32 vcc, 0, v1
	s_and_b64 vcc, vcc, exec
	s_or_b64 s[30:31], s[30:31], vcc
	s_mov_b64 vcc, -1
	s_or_b64 s[94:95], s[94:95], exec
	s_and_saveexec_b64 s[34:35], s[30:31]
	s_cbranch_execz .LBB8_2063
.LBB8_2067:                             ;   in Loop: Header=BB8_2064 Depth=3
	s_sleep 1
	s_trap 2
	ds_read_b64 v[3:4], v0
	s_waitcnt lgkmcnt(0)
	buffer_load_dword v5, off, s[0:3], s33 offset:132 ; 4-byte Folded Reload
	buffer_load_dword v6, off, s[0:3], s33 offset:136 ; 4-byte Folded Reload
	s_andn2_b64 s[94:95], s[94:95], exec
	s_waitcnt vmcnt(0)
	v_cmp_ge_u64_e32 vcc, v[3:4], v[5:6]
	s_orn2_b64 vcc, vcc, exec
	s_branch .LBB8_2063
.LBB8_2068:                             ;   in Loop: Header=BB8_2007 Depth=2
	s_or_b64 exec, exec, s[90:91]
	s_and_saveexec_b64 s[46:47], s[92:93]
	s_xor_b64 s[46:47], exec, s[46:47]
	s_cbranch_execz .LBB8_2070
; %bb.2069:                             ;   in Loop: Header=BB8_2007 Depth=2
	v_mov_b32_e32 v1, 1
	ds_write_b32 v0, v1
	s_trap 2
.LBB8_2070:                             ;   in Loop: Header=BB8_2007 Depth=2
	s_or_b64 exec, exec, s[88:89]
	;;#ASMSTART
	s_wakeup
	;;#ASMEND
.LBB8_2071:                             ;   in Loop: Header=BB8_2007 Depth=2
	s_or_b64 exec, exec, s[78:79]
.LBB8_2072:                             ;   in Loop: Header=BB8_2007 Depth=2
	s_andn2_saveexec_b64 s[44:45], s[44:45]
	s_cbranch_execz .LBB8_2074
; %bb.2073:                             ;   in Loop: Header=BB8_2007 Depth=2
	;;#ASMSTART
	s_waitcnt lgkmcnt(0) vmcnt(0)
	;;#ASMEND
	s_waitcnt vmcnt(0) lgkmcnt(0)
	s_barrier
.LBB8_2074:                             ;   in Loop: Header=BB8_2007 Depth=2
	s_or_b64 exec, exec, s[44:45]
.LBB8_2075:                             ;   in Loop: Header=BB8_2007 Depth=2
	s_or_b64 exec, exec, s[28:29]
	v_cmp_ne_u32_e32 vcc, 0, v0
	s_xor_b64 s[28:29], s[12:13], -1
	s_and_b64 s[44:45], vcc, s[28:29]
	s_and_saveexec_b64 s[28:29], s[44:45]
	s_cbranch_execz .LBB8_2077
; %bb.2076:                             ;   in Loop: Header=BB8_2007 Depth=2
	buffer_load_dword v0, off, s[0:3], s33 offset:220 ; 4-byte Folded Reload
	buffer_load_dword v1, off, s[0:3], s33 offset:224 ; 4-byte Folded Reload
	v_mov_b32_e32 v3, 1
	s_waitcnt vmcnt(0)
	flat_store_dword v[0:1], v3
.LBB8_2077:                             ;   in Loop: Header=BB8_2007 Depth=2
	s_or_b64 exec, exec, s[28:29]
	v_and_b32_e32 v0, 48, v56
	v_cmp_ne_u32_e32 vcc, 0, v0
	s_and_saveexec_b64 s[28:29], vcc
	s_cbranch_execz .LBB8_2006
; %bb.2078:                             ;   in Loop: Header=BB8_2007 Depth=2
	buffer_load_dword v0, off, s[0:3], s33 offset:148 ; 4-byte Folded Reload
	buffer_load_dword v1, off, s[0:3], s33 offset:152 ; 4-byte Folded Reload
	s_waitcnt vmcnt(0)
	v_add_co_u32_e32 v0, vcc, 2, v0
	v_addc_co_u32_e32 v1, vcc, 0, v1, vcc
	buffer_store_dword v0, off, s[0:3], s33 offset:148 ; 4-byte Folded Spill
	s_nop 0
	buffer_store_dword v1, off, s[0:3], s33 offset:152 ; 4-byte Folded Spill
	flat_store_dwordx2 v[40:41], v[0:1]
	s_branch .LBB8_2006
.LBB8_2079:                             ;   in Loop: Header=BB8_47 Depth=1
	s_or_b64 exec, exec, s[88:89]
	s_or_b64 exec, exec, s[78:79]
	v_cmp_gt_i32_e32 vcc, 2, v3
	s_and_saveexec_b64 s[40:41], vcc
	s_cbranch_execnz .LBB8_2005
.LBB8_2080:                             ;   in Loop: Header=BB8_47 Depth=1
	s_or_b64 exec, exec, s[40:41]
	s_and_b64 vcc, exec, s[26:27]
	s_cbranch_vccz .LBB8_2082
	s_branch .LBB8_2404
.LBB8_2081:                             ;   in Loop: Header=BB8_47 Depth=1
	s_or_b64 exec, exec, s[42:43]
	s_or_b64 exec, exec, s[40:41]
	s_and_b64 vcc, exec, s[26:27]
	s_cbranch_vccnz .LBB8_2404
.LBB8_2082:                             ;   in Loop: Header=BB8_47 Depth=1
	s_mov_b32 s46, 1
.LBB8_2083:                             ;   Parent Loop BB8_47 Depth=1
                                        ; =>  This Loop Header: Depth=2
                                        ;       Child Loop BB8_2086 Depth 3
                                        ;         Child Loop BB8_2094 Depth 4
                                        ;         Child Loop BB8_2122 Depth 4
	;; [unrolled: 1-line block ×5, first 2 shown]
                                        ;           Child Loop BB8_2184 Depth 5
                                        ;           Child Loop BB8_2189 Depth 5
                                        ;         Child Loop BB8_2195 Depth 4
                                        ;         Child Loop BB8_2203 Depth 4
	;; [unrolled: 1-line block ×3, first 2 shown]
                                        ;           Child Loop BB8_2215 Depth 5
                                        ;           Child Loop BB8_2220 Depth 5
                                        ;         Child Loop BB8_2224 Depth 4
                                        ;         Child Loop BB8_2236 Depth 4
	;; [unrolled: 1-line block ×7, first 2 shown]
                                        ;       Child Loop BB8_2328 Depth 3
                                        ;         Child Loop BB8_2334 Depth 4
                                        ;         Child Loop BB8_2362 Depth 4
	;; [unrolled: 1-line block ×3, first 2 shown]
	buffer_load_dword v3, off, s[0:3], s33 offset:328 ; 4-byte Folded Reload
	buffer_load_dword v4, off, s[0:3], s33 offset:332 ; 4-byte Folded Reload
	s_sub_i32 s26, s66, s46
	s_cmp_ge_i32 s26, s52
	s_cselect_b32 s27, s52, 0
	s_sub_i32 s26, s26, s27
	s_ashr_i32 s28, s26, 31
	v_mov_b32_e32 v28, 0
	s_waitcnt vmcnt(0)
	v_mul_lo_u32 v1, v3, s28
	v_mul_lo_u32 v0, v4, s26
	v_mad_u64_u32 v[6:7], s[26:27], v3, s26, 0
	v_add3_u32 v7, v7, v1, v0
	buffer_load_dword v0, off, s[0:3], s33 offset:320 ; 4-byte Folded Reload
	buffer_load_dword v1, off, s[0:3], s33 offset:324 ; 4-byte Folded Reload
	s_waitcnt vmcnt(0)
	v_sub_co_u32_e32 v0, vcc, v0, v6
	v_subb_co_u32_e32 v1, vcc, v1, v7, vcc
	v_cmp_lt_i64_e32 vcc, v[3:4], v[0:1]
	v_cndmask_b32_e32 v1, v0, v3, vcc
	v_max_i32_e32 v5, 0, v1
	v_add_u32_e32 v0, 31, v5
	v_lshrrev_b32_e32 v0, 1, v0
	v_and_b32_e32 v0, 0x3ffffff0, v0
	v_cmp_lt_i32_e32 vcc, 0, v1
	v_max_i32_e32 v0, s69, v0
	s_and_b64 s[26:27], s[74:75], vcc
	v_mov_b32_e32 v1, 0
	s_and_saveexec_b64 s[42:43], s[26:27]
	s_cbranch_execz .LBB8_2325
; %bb.2084:                             ;   in Loop: Header=BB8_2083 Depth=2
	buffer_load_dword v3, off, s[0:3], s33 offset:256 ; 4-byte Folded Reload
	buffer_load_dword v4, off, s[0:3], s33 offset:260 ; 4-byte Folded Reload
	s_mov_b32 s47, 1
	s_mov_b64 s[78:79], -1
	v_mov_b32_e32 v28, 0
	s_mov_b64 s[44:45], 0
	s_waitcnt vmcnt(0)
	v_add_co_u32_e32 v3, vcc, v6, v3
	v_addc_co_u32_e32 v4, vcc, v7, v4, vcc
	v_lshlrev_b64 v[48:49], 1, v[3:4]
	s_branch .LBB8_2086
.LBB8_2085:                             ;   in Loop: Header=BB8_2086 Depth=3
	s_or_b64 exec, exec, s[26:27]
	v_add_u32_e32 v28, v0, v28
	v_cmp_ge_i32_e32 vcc, v28, v5
	s_xor_b64 s[26:27], s[78:79], -1
	s_or_b64 s[26:27], s[26:27], vcc
	s_and_b64 s[26:27], exec, s[26:27]
	s_or_b64 s[44:45], s[26:27], s[44:45]
	s_mov_b64 s[78:79], 0
	v_mov_b32_e32 v1, s47
	s_mov_b32 s47, 2
	s_andn2_b64 exec, exec, s[44:45]
	s_cbranch_execz .LBB8_2400
.LBB8_2086:                             ;   Parent Loop BB8_47 Depth=1
                                        ;     Parent Loop BB8_2083 Depth=2
                                        ; =>    This Loop Header: Depth=3
                                        ;         Child Loop BB8_2094 Depth 4
                                        ;         Child Loop BB8_2122 Depth 4
	;; [unrolled: 1-line block ×5, first 2 shown]
                                        ;           Child Loop BB8_2184 Depth 5
                                        ;           Child Loop BB8_2189 Depth 5
                                        ;         Child Loop BB8_2195 Depth 4
                                        ;         Child Loop BB8_2203 Depth 4
                                        ;         Child Loop BB8_2213 Depth 4
                                        ;           Child Loop BB8_2215 Depth 5
                                        ;           Child Loop BB8_2220 Depth 5
                                        ;         Child Loop BB8_2224 Depth 4
                                        ;         Child Loop BB8_2236 Depth 4
	;; [unrolled: 1-line block ×7, first 2 shown]
	s_and_saveexec_b64 s[26:27], s[4:5]
	s_cbranch_execz .LBB8_2088
; %bb.2087:                             ;   in Loop: Header=BB8_2086 Depth=3
	s_trap 2
	s_waitcnt vmcnt(0)
	ds_read_b128 v[6:9], v0
	v_ashrrev_i32_e32 v29, 31, v28
	v_lshlrev_b64 v[3:4], 1, v[28:29]
	s_waitcnt lgkmcnt(0)
	v_add_co_u32_e32 v1, vcc, v6, v48
	v_addc_co_u32_e32 v7, vcc, v7, v49, vcc
	v_add_co_u32_e32 v6, vcc, v1, v3
	v_addc_co_u32_e32 v7, vcc, v7, v4, vcc
	v_add_co_u32_e32 v1, vcc, v8, v48
	ds_write_b64 v0, v[6:7]
	v_addc_co_u32_e32 v6, vcc, v9, v49, vcc
	v_add_co_u32_e32 v1, vcc, v1, v3
	v_addc_co_u32_e32 v3, vcc, v6, v4, vcc
	v_cmp_ne_u64_e32 vcc, 0, v[8:9]
	v_cndmask_b32_e32 v4, 0, v3, vcc
	v_cndmask_b32_e32 v3, 0, v1, vcc
	ds_write_b64 v0, v[3:4]
.LBB8_2088:                             ;   in Loop: Header=BB8_2086 Depth=3
	s_or_b64 exec, exec, s[26:27]
	v_sub_u32_e32 v1, v5, v28
	v_min_i32_e32 v0, v0, v1
	v_and_b32_e32 v1, 12, v56
	v_cmp_ne_u32_e32 vcc, 0, v1
	s_and_saveexec_b64 s[28:29], vcc
	s_cbranch_execz .LBB8_2114
; %bb.2089:                             ;   in Loop: Header=BB8_2086 Depth=3
	buffer_load_dword v6, off, s[0:3], s33 offset:148 ; 4-byte Folded Reload
	buffer_load_dword v7, off, s[0:3], s33 offset:152 ; 4-byte Folded Reload
	s_waitcnt vmcnt(0)
	v_and_b32_e32 v12, 8, v56
	s_waitcnt lgkmcnt(0)
	v_add_co_u32_e32 v3, vcc, v46, v12
	v_addc_co_u32_e32 v4, vcc, 0, v47, vcc
	s_waitcnt vmcnt(1)
	v_add_co_u32_e32 v6, vcc, 2, v6
	s_waitcnt vmcnt(0)
	v_addc_co_u32_e32 v7, vcc, 0, v7, vcc
	v_cmp_lt_u64_e32 vcc, v[3:4], v[6:7]
	s_and_saveexec_b64 s[40:41], vcc
	s_cbranch_execz .LBB8_2101
; %bb.2090:                             ;   in Loop: Header=BB8_2086 Depth=3
	v_and_b32_e32 v1, 64, v56
	s_mov_b32 s57, 0
	v_cmp_eq_u32_e32 vcc, 0, v1
	s_mov_b64 s[88:89], 0
                                        ; implicit-def: $sgpr90_sgpr91
                                        ; implicit-def: $sgpr92_sgpr93
                                        ; implicit-def: $sgpr94_sgpr95
	s_branch .LBB8_2094
.LBB8_2091:                             ;   in Loop: Header=BB8_2094 Depth=4
	s_waitcnt vmcnt(0) lgkmcnt(0)
	v_add_co_u32_e64 v3, s[26:27], v46, v12
	v_addc_co_u32_e64 v4, s[26:27], 0, v47, s[26:27]
	v_cmp_ge_u64_e64 s[26:27], v[3:4], v[6:7]
	s_or_b64 s[36:37], s[36:37], exec
	s_orn2_b64 s[34:35], s[26:27], exec
.LBB8_2092:                             ;   in Loop: Header=BB8_2094 Depth=4
	s_or_b64 exec, exec, s[48:49]
	s_andn2_b64 s[26:27], s[94:95], exec
	s_and_b64 s[94:95], s[36:37], exec
	s_or_b64 s[94:95], s[26:27], s[94:95]
	s_andn2_b64 s[26:27], s[92:93], exec
	s_and_b64 s[92:93], s[34:35], exec
	s_or_b64 s[92:93], s[26:27], s[92:93]
.LBB8_2093:                             ;   in Loop: Header=BB8_2094 Depth=4
	s_or_b64 exec, exec, s[30:31]
	s_and_b64 s[26:27], exec, s[92:93]
	s_or_b64 s[88:89], s[26:27], s[88:89]
	s_andn2_b64 s[26:27], s[90:91], exec
	s_and_b64 s[90:91], s[94:95], exec
	s_or_b64 s[90:91], s[26:27], s[90:91]
	s_andn2_b64 exec, exec, s[88:89]
	s_cbranch_execz .LBB8_2098
.LBB8_2094:                             ;   Parent Loop BB8_47 Depth=1
                                        ;     Parent Loop BB8_2083 Depth=2
                                        ;       Parent Loop BB8_2086 Depth=3
                                        ; =>      This Inner Loop Header: Depth=4
	s_sleep 1
	s_waitcnt vmcnt(0) lgkmcnt(0)
	flat_load_dwordx2 v[46:47], v[40:41] glc
	s_or_b64 s[94:95], s[94:95], exec
	s_or_b64 s[92:93], s[92:93], exec
                                        ; implicit-def: $vgpr1
	s_and_saveexec_b64 s[30:31], vcc
	s_cbranch_execz .LBB8_2093
; %bb.2095:                             ;   in Loop: Header=BB8_2094 Depth=4
	s_cmpk_lt_i32 s57, 0x270f
	s_cselect_b64 s[38:39], -1, 0
	s_cmpk_gt_i32 s57, 0x270e
	s_mov_b64 s[34:35], -1
	s_cbranch_scc0 .LBB8_2097
; %bb.2096:                             ;   in Loop: Header=BB8_2094 Depth=4
	s_trap 2
	ds_read_b64 v[3:4], v0
	s_andn2_b64 s[38:39], s[38:39], exec
	s_mov_b32 s57, 0
	s_mov_b64 s[36:37], 0
	s_waitcnt vmcnt(0) lgkmcnt(0)
	flat_load_dword v1, v[3:4] glc
	s_waitcnt vmcnt(0) lgkmcnt(0)
	buffer_wbinvl1_vol
	v_cmp_eq_u32_e64 s[26:27], 0, v1
	s_and_b64 s[26:27], s[26:27], exec
	s_or_b64 s[38:39], s[38:39], s[26:27]
	s_and_saveexec_b64 s[48:49], s[38:39]
	s_cbranch_execz .LBB8_2092
	s_branch .LBB8_2091
.LBB8_2097:                             ;   in Loop: Header=BB8_2094 Depth=4
	s_add_i32 s57, s57, 1
	s_mov_b64 s[36:37], -1
                                        ; implicit-def: $vgpr1
	s_and_saveexec_b64 s[48:49], s[38:39]
	s_cbranch_execz .LBB8_2092
	s_branch .LBB8_2091
.LBB8_2098:                             ;   in Loop: Header=BB8_2086 Depth=3
	s_or_b64 exec, exec, s[88:89]
	s_xor_b64 s[26:27], s[90:91], -1
	s_and_saveexec_b64 s[88:89], s[26:27]
	s_xor_b64 s[26:27], exec, s[88:89]
	s_cbranch_execz .LBB8_2100
; %bb.2099:                             ;   in Loop: Header=BB8_2086 Depth=3
	v_or_b32_e32 v56, 64, v56
	s_waitcnt lgkmcnt(0)
	ds_write_b32 v0, v1
	s_trap 2
.LBB8_2100:                             ;   in Loop: Header=BB8_2086 Depth=3
	s_or_b64 exec, exec, s[26:27]
.LBB8_2101:                             ;   in Loop: Header=BB8_2086 Depth=3
	s_or_b64 exec, exec, s[40:41]
	v_and_b32_e32 v1, 0x108, v56
	v_cmp_ne_u32_e32 vcc, s87, v1
	;;#ASMSTART
	s_wakeup
	;;#ASMEND
                                        ; implicit-def: $vgpr8_vgpr9
	s_and_saveexec_b64 s[26:27], vcc
	s_xor_b64 s[26:27], exec, s[26:27]
	s_cbranch_execz .LBB8_2103
; %bb.2102:                             ;   in Loop: Header=BB8_2086 Depth=3
	buffer_load_dword v3, off, s[0:3], s33 offset:148 ; 4-byte Folded Reload
	buffer_load_dword v4, off, s[0:3], s33 offset:152 ; 4-byte Folded Reload
	v_mov_b32_e32 v9, v2
	s_waitcnt vmcnt(0)
	v_and_b32_e32 v8, 7, v3
                                        ; implicit-def: $vgpr3_vgpr4
                                        ; kill: killed $vgpr3_vgpr4
.LBB8_2103:                             ;   in Loop: Header=BB8_2086 Depth=3
	s_andn2_saveexec_b64 s[26:27], s[26:27]
	s_cbranch_execz .LBB8_2105
; %bb.2104:                             ;   in Loop: Header=BB8_2086 Depth=3
	buffer_load_dword v3, off, s[0:3], s33 offset:148 ; 4-byte Folded Reload
	buffer_load_dword v4, off, s[0:3], s33 offset:152 ; 4-byte Folded Reload
	;; [unrolled: 1-line block ×6, first 2 shown]
	v_ashrrev_i32_e32 v1, 31, v0
	v_lshlrev_b64 v[10:11], 1, v[0:1]
	v_mov_b32_e32 v9, v2
	s_waitcnt vmcnt(0)
	v_and_b32_e32 v8, 7, v3
	v_mad_u64_u32 v[3:4], s[40:41], v8, 24, v[13:14]
	flat_store_dwordx2 v[3:4], v[10:11] offset:8
.LBB8_2105:                             ;   in Loop: Header=BB8_2086 Depth=3
	s_or_b64 exec, exec, s[26:27]
	v_and_b32_e32 v1, 0x100, v56
	v_cmp_ne_u32_e32 vcc, 0, v1
	s_mov_b64 s[26:27], -1
                                        ; implicit-def: $vgpr3_vgpr4
	s_and_saveexec_b64 s[40:41], vcc
	s_cbranch_execz .LBB8_2109
; %bb.2106:                             ;   in Loop: Header=BB8_2086 Depth=3
	buffer_load_dword v13, off, s[0:3], s33 offset:204 ; 4-byte Folded Reload
	buffer_load_dword v14, off, s[0:3], s33 offset:208 ; 4-byte Folded Reload
	buffer_load_dword v15, off, s[0:3], s33 offset:212 ; 4-byte Folded Reload
	buffer_load_dword v16, off, s[0:3], s33 offset:216 ; 4-byte Folded Reload
	s_waitcnt vmcnt(0)
	v_mad_u64_u32 v[10:11], s[26:27], v8, 24, v[13:14]
	v_mov_b32_e32 v1, v11
	v_mad_u64_u32 v[3:4], s[26:27], v9, 24, v[1:2]
	v_mov_b32_e32 v11, v3
	flat_load_dword v1, v[10:11]
                                        ; implicit-def: $vgpr3_vgpr4
	s_waitcnt vmcnt(0) lgkmcnt(0)
	v_cmp_ne_u32_e32 vcc, 1, v1
	v_cmp_eq_u32_e64 s[26:27], 1, v1
	s_and_saveexec_b64 s[88:89], s[26:27]
	s_cbranch_execz .LBB8_2108
; %bb.2107:                             ;   in Loop: Header=BB8_2086 Depth=3
	flat_load_dword v3, v[10:11] offset:4 glc
	s_waitcnt vmcnt(0) lgkmcnt(0)
	v_ashrrev_i32_e32 v4, 31, v3
	v_lshrrev_b64 v[3:4], 1, v[3:4]
.LBB8_2108:                             ;   in Loop: Header=BB8_2086 Depth=3
	s_or_b64 exec, exec, s[88:89]
	s_orn2_b64 s[26:27], vcc, exec
.LBB8_2109:                             ;   in Loop: Header=BB8_2086 Depth=3
	s_or_b64 exec, exec, s[40:41]
	s_and_saveexec_b64 s[40:41], s[26:27]
	s_cbranch_execz .LBB8_2111
; %bb.2110:                             ;   in Loop: Header=BB8_2086 Depth=3
	buffer_load_dword v3, off, s[0:3], s33 offset:228 ; 4-byte Folded Reload
	buffer_load_dword v4, off, s[0:3], s33 offset:232 ; 4-byte Folded Reload
	s_waitcnt vmcnt(0)
	v_mul_lo_u32 v1, v9, v3
	v_mul_lo_u32 v9, v8, v4
	v_mad_u64_u32 v[3:4], s[26:27], v8, v3, 0
	v_add3_u32 v4, v4, v9, v1
.LBB8_2111:                             ;   in Loop: Header=BB8_2086 Depth=3
	s_or_b64 exec, exec, s[40:41]
	v_cmp_eq_u32_e32 vcc, 0, v12
	v_mov_b32_e32 v1, 0xd0
	v_mov_b32_e32 v8, 0x88
	v_cndmask_b32_e32 v1, v1, v8, vcc
	buffer_load_dword v8, off, s[0:3], s33 offset:196 ; 4-byte Folded Reload
	buffer_load_dword v9, off, s[0:3], s33 offset:200 ; 4-byte Folded Reload
	v_lshlrev_b64 v[3:4], 1, v[3:4]
	v_add_u32_e32 v1, v0, v1
	s_waitcnt vmcnt(0)
	v_add_co_u32_e32 v3, vcc, v8, v3
	v_addc_co_u32_e32 v4, vcc, v9, v4, vcc
	ds_write_b64 v1, v[3:4] offset:584
	v_and_b32_e32 v1, 0x2000, v56
	v_cmp_ne_u32_e32 vcc, 0, v1
	s_and_saveexec_b64 s[26:27], vcc
	s_cbranch_execz .LBB8_2113
; %bb.2112:                             ;   in Loop: Header=BB8_2086 Depth=3
	ds_read_b64 v[3:4], v0 offset:872
	s_waitcnt lgkmcnt(0)
	v_add_co_u32_e32 v3, vcc, 1, v3
	v_addc_co_u32_e32 v4, vcc, 0, v4, vcc
	ds_write_b64 v0, v[3:4] offset:872
.LBB8_2113:                             ;   in Loop: Header=BB8_2086 Depth=3
	s_or_b64 exec, exec, s[26:27]
	buffer_store_dword v6, off, s[0:3], s33 offset:148 ; 4-byte Folded Spill
	s_nop 0
	buffer_store_dword v7, off, s[0:3], s33 offset:152 ; 4-byte Folded Spill
.LBB8_2114:                             ;   in Loop: Header=BB8_2086 Depth=3
	s_or_b64 exec, exec, s[28:29]
	s_and_saveexec_b64 s[26:27], s[10:11]
	s_cbranch_execz .LBB8_2133
; %bb.2115:                             ;   in Loop: Header=BB8_2086 Depth=3
	s_and_saveexec_b64 s[28:29], s[58:59]
	s_xor_b64 s[28:29], exec, s[28:29]
	s_cbranch_execz .LBB8_2130
; %bb.2116:                             ;   in Loop: Header=BB8_2086 Depth=3
	s_and_saveexec_b64 s[40:41], s[16:17]
	s_cbranch_execz .LBB8_2129
; %bb.2117:                             ;   in Loop: Header=BB8_2086 Depth=3
	s_mov_b64 s[90:91], exec
	v_mbcnt_lo_u32_b32 v1, s90, 0
	v_mbcnt_hi_u32_b32 v1, s91, v1
	v_cmp_eq_u32_e32 vcc, 0, v1
	s_waitcnt vmcnt(0) lgkmcnt(0)
	buffer_wbinvl1_vol
	s_and_saveexec_b64 s[88:89], vcc
	s_cbranch_execz .LBB8_2119
; %bb.2118:                             ;   in Loop: Header=BB8_2086 Depth=3
	s_bcnt1_i32_b64 s57, s[90:91]
	v_mov_b32_e32 v3, s57
	v_mov_b32_e32 v4, v2
	ds_add_u64 v0, v[3:4]
	s_trap 2
.LBB8_2119:                             ;   in Loop: Header=BB8_2086 Depth=3
	s_or_b64 exec, exec, s[88:89]
	s_trap 2
	ds_read_b64 v[3:4], v0
	s_waitcnt lgkmcnt(0)
	buffer_load_dword v6, off, s[0:3], s33 offset:132 ; 4-byte Folded Reload
	buffer_load_dword v7, off, s[0:3], s33 offset:136 ; 4-byte Folded Reload
	s_waitcnt vmcnt(1)
	v_add_co_u32_e32 v6, vcc, v6, v52
	s_waitcnt vmcnt(0)
	v_addc_co_u32_e32 v7, vcc, 0, v7, vcc
	buffer_store_dword v6, off, s[0:3], s33 offset:132 ; 4-byte Folded Spill
	s_nop 0
	buffer_store_dword v7, off, s[0:3], s33 offset:136 ; 4-byte Folded Spill
	v_cmp_lt_u64_e32 vcc, v[3:4], v[6:7]
	s_and_saveexec_b64 s[88:89], vcc
	s_cbranch_execz .LBB8_2128
; %bb.2120:                             ;   in Loop: Header=BB8_2086 Depth=3
	s_mov_b32 s57, 0
	s_mov_b64 s[90:91], 0
                                        ; implicit-def: $sgpr92_sgpr93
                                        ; implicit-def: $sgpr94_sgpr95
	s_branch .LBB8_2122
.LBB8_2121:                             ;   in Loop: Header=BB8_2122 Depth=4
	s_or_b64 exec, exec, s[34:35]
	s_and_b64 vcc, exec, vcc
	s_or_b64 s[90:91], vcc, s[90:91]
	s_andn2_b64 s[92:93], s[92:93], exec
	s_and_b64 vcc, s[94:95], exec
	s_or_b64 s[92:93], s[92:93], vcc
	s_andn2_b64 exec, exec, s[90:91]
	s_cbranch_execz .LBB8_2126
.LBB8_2122:                             ;   Parent Loop BB8_47 Depth=1
                                        ;     Parent Loop BB8_2083 Depth=2
                                        ;       Parent Loop BB8_2086 Depth=3
                                        ; =>      This Inner Loop Header: Depth=4
	s_add_i32 s57, s57, 1
	s_cmpk_lg_i32 s57, 0x2710
	s_cselect_b64 s[30:31], -1, 0
	s_and_b64 vcc, exec, s[30:31]
	s_cbranch_vccz .LBB8_2124
; %bb.2123:                             ;   in Loop: Header=BB8_2122 Depth=4
	s_mov_b64 vcc, -1
	s_or_b64 s[94:95], s[94:95], exec
	s_and_saveexec_b64 s[34:35], s[30:31]
	s_cbranch_execz .LBB8_2121
	s_branch .LBB8_2125
.LBB8_2124:                             ;   in Loop: Header=BB8_2122 Depth=4
	s_trap 2
	ds_read_b64 v[3:4], v0
	s_andn2_b64 s[30:31], s[30:31], exec
	s_mov_b32 s57, 0
	s_waitcnt vmcnt(0) lgkmcnt(0)
	flat_load_dword v1, v[3:4] glc
	s_waitcnt vmcnt(0) lgkmcnt(0)
	buffer_wbinvl1_vol
	v_cmp_eq_u32_e32 vcc, 0, v1
	s_and_b64 vcc, vcc, exec
	s_or_b64 s[30:31], s[30:31], vcc
	s_mov_b64 vcc, -1
	s_or_b64 s[94:95], s[94:95], exec
	s_and_saveexec_b64 s[34:35], s[30:31]
	s_cbranch_execz .LBB8_2121
.LBB8_2125:                             ;   in Loop: Header=BB8_2122 Depth=4
	s_sleep 1
	s_trap 2
	ds_read_b64 v[3:4], v0
	s_waitcnt lgkmcnt(0)
	buffer_load_dword v6, off, s[0:3], s33 offset:132 ; 4-byte Folded Reload
	buffer_load_dword v7, off, s[0:3], s33 offset:136 ; 4-byte Folded Reload
	s_andn2_b64 s[94:95], s[94:95], exec
	s_waitcnt vmcnt(0)
	v_cmp_ge_u64_e32 vcc, v[3:4], v[6:7]
	s_orn2_b64 vcc, vcc, exec
	s_branch .LBB8_2121
.LBB8_2126:                             ;   in Loop: Header=BB8_2086 Depth=3
	s_or_b64 exec, exec, s[90:91]
	s_and_saveexec_b64 s[90:91], s[92:93]
	s_xor_b64 s[90:91], exec, s[90:91]
	s_cbranch_execz .LBB8_2128
; %bb.2127:                             ;   in Loop: Header=BB8_2086 Depth=3
	v_mov_b32_e32 v1, 1
	ds_write_b32 v0, v1
	s_trap 2
.LBB8_2128:                             ;   in Loop: Header=BB8_2086 Depth=3
	s_or_b64 exec, exec, s[88:89]
	;;#ASMSTART
	s_wakeup
	;;#ASMEND
.LBB8_2129:                             ;   in Loop: Header=BB8_2086 Depth=3
	s_or_b64 exec, exec, s[40:41]
.LBB8_2130:                             ;   in Loop: Header=BB8_2086 Depth=3
	s_andn2_saveexec_b64 s[28:29], s[28:29]
	s_cbranch_execz .LBB8_2132
; %bb.2131:                             ;   in Loop: Header=BB8_2086 Depth=3
	s_waitcnt vmcnt(0) lgkmcnt(0)
	buffer_wbinvl1_vol
	s_barrier
.LBB8_2132:                             ;   in Loop: Header=BB8_2086 Depth=3
	s_or_b64 exec, exec, s[28:29]
.LBB8_2133:                             ;   in Loop: Header=BB8_2086 Depth=3
	s_or_b64 exec, exec, s[26:27]
	s_trap 2
	ds_read_b32 v1, v0
	v_and_b32_e32 v3, 0x4000, v56
	v_cmp_ne_u32_e32 vcc, 0, v3
	s_xor_b64 s[26:27], s[6:7], -1
	s_and_b64 s[28:29], s[26:27], vcc
	s_and_saveexec_b64 s[26:27], s[28:29]
	s_cbranch_execz .LBB8_2152
; %bb.2134:                             ;   in Loop: Header=BB8_2086 Depth=3
	s_and_saveexec_b64 s[28:29], s[58:59]
	s_xor_b64 s[28:29], exec, s[28:29]
	s_cbranch_execz .LBB8_2149
; %bb.2135:                             ;   in Loop: Header=BB8_2086 Depth=3
	s_and_saveexec_b64 s[40:41], s[16:17]
	s_cbranch_execz .LBB8_2148
; %bb.2136:                             ;   in Loop: Header=BB8_2086 Depth=3
	s_mov_b64 s[90:91], exec
	v_mbcnt_lo_u32_b32 v3, s90, 0
	v_mbcnt_hi_u32_b32 v3, s91, v3
	v_cmp_eq_u32_e32 vcc, 0, v3
	s_waitcnt vmcnt(0) lgkmcnt(0)
	buffer_wbinvl1_vol
	s_and_saveexec_b64 s[88:89], vcc
	s_cbranch_execz .LBB8_2138
; %bb.2137:                             ;   in Loop: Header=BB8_2086 Depth=3
	s_bcnt1_i32_b64 s57, s[90:91]
	v_mov_b32_e32 v3, s57
	v_mov_b32_e32 v4, v2
	ds_add_u64 v0, v[3:4]
	s_trap 2
.LBB8_2138:                             ;   in Loop: Header=BB8_2086 Depth=3
	s_or_b64 exec, exec, s[88:89]
	s_trap 2
	ds_read_b64 v[3:4], v0
	s_waitcnt lgkmcnt(0)
	buffer_load_dword v6, off, s[0:3], s33 offset:132 ; 4-byte Folded Reload
	buffer_load_dword v7, off, s[0:3], s33 offset:136 ; 4-byte Folded Reload
	s_waitcnt vmcnt(1)
	v_add_co_u32_e32 v6, vcc, v6, v52
	s_waitcnt vmcnt(0)
	v_addc_co_u32_e32 v7, vcc, 0, v7, vcc
	buffer_store_dword v6, off, s[0:3], s33 offset:132 ; 4-byte Folded Spill
	s_nop 0
	buffer_store_dword v7, off, s[0:3], s33 offset:136 ; 4-byte Folded Spill
	v_cmp_lt_u64_e32 vcc, v[3:4], v[6:7]
	s_and_saveexec_b64 s[88:89], vcc
	s_cbranch_execz .LBB8_2147
; %bb.2139:                             ;   in Loop: Header=BB8_2086 Depth=3
	s_mov_b32 s57, 0
	s_mov_b64 s[90:91], 0
                                        ; implicit-def: $sgpr92_sgpr93
                                        ; implicit-def: $sgpr94_sgpr95
	s_branch .LBB8_2141
.LBB8_2140:                             ;   in Loop: Header=BB8_2141 Depth=4
	s_or_b64 exec, exec, s[34:35]
	s_and_b64 vcc, exec, vcc
	s_or_b64 s[90:91], vcc, s[90:91]
	s_andn2_b64 s[92:93], s[92:93], exec
	s_and_b64 vcc, s[94:95], exec
	s_or_b64 s[92:93], s[92:93], vcc
	s_andn2_b64 exec, exec, s[90:91]
	s_cbranch_execz .LBB8_2145
.LBB8_2141:                             ;   Parent Loop BB8_47 Depth=1
                                        ;     Parent Loop BB8_2083 Depth=2
                                        ;       Parent Loop BB8_2086 Depth=3
                                        ; =>      This Inner Loop Header: Depth=4
	s_add_i32 s57, s57, 1
	s_cmpk_lg_i32 s57, 0x2710
	s_cselect_b64 s[30:31], -1, 0
	s_and_b64 vcc, exec, s[30:31]
	s_cbranch_vccz .LBB8_2143
; %bb.2142:                             ;   in Loop: Header=BB8_2141 Depth=4
	s_mov_b64 vcc, -1
	s_or_b64 s[94:95], s[94:95], exec
	s_and_saveexec_b64 s[34:35], s[30:31]
	s_cbranch_execz .LBB8_2140
	s_branch .LBB8_2144
.LBB8_2143:                             ;   in Loop: Header=BB8_2141 Depth=4
	s_trap 2
	ds_read_b64 v[3:4], v0
	s_andn2_b64 s[30:31], s[30:31], exec
	s_mov_b32 s57, 0
	s_waitcnt vmcnt(0) lgkmcnt(0)
	flat_load_dword v3, v[3:4] glc
	s_waitcnt vmcnt(0) lgkmcnt(0)
	buffer_wbinvl1_vol
	v_cmp_eq_u32_e32 vcc, 0, v3
	s_and_b64 vcc, vcc, exec
	s_or_b64 s[30:31], s[30:31], vcc
	s_mov_b64 vcc, -1
	s_or_b64 s[94:95], s[94:95], exec
	s_and_saveexec_b64 s[34:35], s[30:31]
	s_cbranch_execz .LBB8_2140
.LBB8_2144:                             ;   in Loop: Header=BB8_2141 Depth=4
	s_sleep 1
	s_trap 2
	ds_read_b64 v[3:4], v0
	s_waitcnt lgkmcnt(0)
	buffer_load_dword v6, off, s[0:3], s33 offset:132 ; 4-byte Folded Reload
	buffer_load_dword v7, off, s[0:3], s33 offset:136 ; 4-byte Folded Reload
	s_andn2_b64 s[94:95], s[94:95], exec
	s_waitcnt vmcnt(0)
	v_cmp_ge_u64_e32 vcc, v[3:4], v[6:7]
	s_orn2_b64 vcc, vcc, exec
	s_branch .LBB8_2140
.LBB8_2145:                             ;   in Loop: Header=BB8_2086 Depth=3
	s_or_b64 exec, exec, s[90:91]
	s_and_saveexec_b64 s[90:91], s[92:93]
	s_xor_b64 s[90:91], exec, s[90:91]
	s_cbranch_execz .LBB8_2147
; %bb.2146:                             ;   in Loop: Header=BB8_2086 Depth=3
	v_mov_b32_e32 v3, 1
	ds_write_b32 v0, v3
	s_trap 2
.LBB8_2147:                             ;   in Loop: Header=BB8_2086 Depth=3
	s_or_b64 exec, exec, s[88:89]
	;;#ASMSTART
	s_wakeup
	;;#ASMEND
.LBB8_2148:                             ;   in Loop: Header=BB8_2086 Depth=3
	s_or_b64 exec, exec, s[40:41]
.LBB8_2149:                             ;   in Loop: Header=BB8_2086 Depth=3
	s_andn2_saveexec_b64 s[28:29], s[28:29]
	s_cbranch_execz .LBB8_2151
; %bb.2150:                             ;   in Loop: Header=BB8_2086 Depth=3
	s_waitcnt vmcnt(0) lgkmcnt(0)
	buffer_wbinvl1_vol
	s_barrier
.LBB8_2151:                             ;   in Loop: Header=BB8_2086 Depth=3
	s_or_b64 exec, exec, s[28:29]
.LBB8_2152:                             ;   in Loop: Header=BB8_2086 Depth=3
	s_or_b64 exec, exec, s[26:27]
	s_trap 2
	ds_read_b64 v[58:59], v0
	s_waitcnt lgkmcnt(0)
	v_cmp_eq_u64_e32 vcc, 0, v[58:59]
	s_cbranch_vccnz .LBB8_2168
; %bb.2153:                             ;   in Loop: Header=BB8_2086 Depth=3
	s_trap 2
	ds_read_b64 v[60:61], v0
	s_waitcnt lgkmcnt(0)
	v_cmp_eq_u64_e32 vcc, 0, v[60:61]
	s_cbranch_vccnz .LBB8_2168
; %bb.2154:                             ;   in Loop: Header=BB8_2086 Depth=3
	s_trap 2
	s_waitcnt vmcnt(0)
	ds_read_b64 v[6:7], v0
	v_cmp_eq_u32_e32 vcc, 0, v1
	v_cndmask_b32_e32 v57, 0, v0, vcc
	v_lshlrev_b32_e32 v3, 1, v57
	s_mov_b64 s[26:27], -1
	s_waitcnt lgkmcnt(0)
	v_cmp_ne_u64_e32 vcc, 0, v[6:7]
	s_cbranch_vccz .LBB8_2226
; %bb.2155:                             ;   in Loop: Header=BB8_2086 Depth=3
	s_and_saveexec_b64 s[28:29], s[20:21]
	s_cbranch_execz .LBB8_2157
; %bb.2156:                             ;   in Loop: Header=BB8_2086 Depth=3
	ds_read_b32 v1, v0 offset:720
	s_waitcnt lgkmcnt(0)
	v_and_b32_e32 v1, 15, v1
	v_cmp_eq_u32_e32 vcc, 0, v1
	s_orn2_b64 s[26:27], vcc, exec
.LBB8_2157:                             ;   in Loop: Header=BB8_2086 Depth=3
	s_or_b64 exec, exec, s[28:29]
	s_and_saveexec_b64 s[28:29], s[22:23]
	s_cbranch_execz .LBB8_2159
; %bb.2158:                             ;   in Loop: Header=BB8_2086 Depth=3
	ds_read_b32 v1, v0 offset:784
	s_waitcnt lgkmcnt(0)
	v_and_b32_e32 v1, 15, v1
	v_cmp_eq_u32_e32 vcc, 0, v1
	s_and_b64 s[40:41], s[26:27], vcc
	s_andn2_b64 s[26:27], s[26:27], exec
	s_and_b64 s[40:41], s[40:41], exec
	s_or_b64 s[26:27], s[26:27], s[40:41]
.LBB8_2159:                             ;   in Loop: Header=BB8_2086 Depth=3
	s_or_b64 exec, exec, s[28:29]
	s_xor_b64 s[26:27], s[26:27], -1
	v_cndmask_b32_e64 v1, 0, 1, s[26:27]
	s_mov_b64 s[28:29], -1
	v_cmp_ne_u32_e32 vcc, 0, v1
	s_cbranch_vccz .LBB8_2173
; %bb.2160:                             ;   in Loop: Header=BB8_2086 Depth=3
	s_mov_b64 s[88:89], -1
	v_mov_b32_e32 v16, 0
	s_cbranch_execnz .LBB8_2174
.LBB8_2161:                             ;   in Loop: Header=BB8_2086 Depth=3
	v_ashrrev_i32_e32 v1, 31, v3
	v_lshrrev_b32_e32 v1, 21, v1
	v_add_u32_e32 v1, v3, v1
	v_ashrrev_i32_e32 v4, 11, v1
	buffer_load_dword v1, off, s[0:3], s33 offset:264 ; 4-byte Folded Reload
	s_mov_b64 s[28:29], 0
                                        ; implicit-def: $vgpr8_vgpr9
                                        ; implicit-def: $vgpr12_vgpr13
	s_waitcnt vmcnt(0)
	v_add_co_u32_e32 v26, vcc, v60, v1
	v_addc_co_u32_e32 v27, vcc, 0, v61, vcc
	v_add_co_u32_e32 v24, vcc, v6, v1
	buffer_load_dword v1, off, s[0:3], s33 offset:272 ; 4-byte Folded Reload
	v_addc_co_u32_e32 v25, vcc, 0, v7, vcc
	s_waitcnt vmcnt(0)
	v_sub_u32_e32 v29, v4, v1
	v_cmp_lt_i32_e32 vcc, 0, v29
	s_and_saveexec_b64 s[26:27], vcc
	s_cbranch_execz .LBB8_2176
; %bb.2162:                             ;   in Loop: Header=BB8_2086 Depth=3
	buffer_load_dword v1, off, s[0:3], s33 offset:264 ; 4-byte Folded Reload
	s_mov_b64 s[90:91], 0
                                        ; implicit-def: $sgpr40_sgpr41
                                        ; implicit-def: $vgpr8_vgpr9
                                        ; implicit-def: $vgpr12_vgpr13
	s_waitcnt vmcnt(0)
	v_add_co_u32_e32 v32, vcc, v58, v1
	v_addc_co_u32_e32 v33, vcc, 0, v59, vcc
	s_branch .LBB8_2164
.LBB8_2163:                             ;   in Loop: Header=BB8_2164 Depth=4
	s_or_b64 exec, exec, s[92:93]
	global_store_dwordx4 v[26:27], v[16:19], off glc slc
	global_store_dwordx4 v[26:27], v[20:23], off offset:1024 glc slc
	global_store_dwordx4 v[24:25], v[16:19], off glc slc
	global_store_dwordx4 v[24:25], v[20:23], off offset:1024 glc slc
	buffer_load_dword v20, off, s[0:3], s33 offset:160 ; 4-byte Folded Reload
	s_nop 0
	buffer_load_dword v21, off, s[0:3], s33 offset:164 ; 4-byte Folded Reload
	v_add_co_u32_e32 v1, vcc, 0x800, v26
	v_addc_co_u32_e32 v26, vcc, 0, v27, vcc
	v_add_co_u32_e32 v16, vcc, 0x800, v24
	v_addc_co_u32_e32 v17, vcc, 0, v25, vcc
	v_sub_u32_e32 v29, v29, v36
	s_waitcnt vmcnt(1)
	v_add_co_u32_e32 v18, vcc, v1, v20
	s_waitcnt vmcnt(0)
	v_addc_co_u32_e32 v19, vcc, v26, v21, vcc
	v_add_co_u32_e32 v20, vcc, v16, v20
	v_addc_co_u32_e32 v21, vcc, v17, v21, vcc
	v_add_co_u32_e32 v32, vcc, v32, v34
	v_addc_co_u32_e32 v33, vcc, v33, v35, vcc
	v_cmp_gt_i32_e32 vcc, 1, v29
	s_or_b64 s[28:29], vcc, s[28:29]
	s_andn2_b64 s[40:41], s[40:41], exec
	s_and_b64 s[92:93], s[90:91], exec
	v_cndmask_b32_e64 v27, v26, v19, s[90:91]
	v_cndmask_b32_e64 v26, v1, v18, s[90:91]
	;; [unrolled: 1-line block ×4, first 2 shown]
	s_or_b64 s[40:41], s[40:41], s[92:93]
	s_andn2_b64 exec, exec, s[28:29]
	s_cbranch_execz .LBB8_2175
.LBB8_2164:                             ;   Parent Loop BB8_47 Depth=1
                                        ;     Parent Loop BB8_2083 Depth=2
                                        ;       Parent Loop BB8_2086 Depth=3
                                        ; =>      This Inner Loop Header: Depth=4
	global_load_dwordx4 v[16:19], v[32:33], off glc slc
	global_load_dwordx4 v[20:23], v[32:33], off offset:1024 glc slc
	s_and_saveexec_b64 s[92:93], s[90:91]
	s_cbranch_execz .LBB8_2166
; %bb.2165:                             ;   in Loop: Header=BB8_2164 Depth=4
	global_store_dwordx4 v[26:27], v[8:11], off glc slc
	global_store_dwordx4 v[26:27], v[12:15], off offset:1024 glc slc
	global_store_dwordx4 v[24:25], v[8:11], off glc slc
	global_store_dwordx4 v[24:25], v[12:15], off offset:1024 glc slc
	buffer_load_dword v1, off, s[0:3], s33 offset:140 ; 4-byte Folded Reload
	buffer_load_dword v30, off, s[0:3], s33 offset:144 ; 4-byte Folded Reload
	s_waitcnt vmcnt(1)
	v_add_co_u32_e32 v26, vcc, v26, v1
	s_waitcnt vmcnt(0)
	v_addc_co_u32_e32 v27, vcc, v27, v30, vcc
	v_add_co_u32_e32 v24, vcc, v24, v1
	v_addc_co_u32_e32 v25, vcc, v25, v30, vcc
.LBB8_2166:                             ;   in Loop: Header=BB8_2164 Depth=4
	s_or_b64 exec, exec, s[92:93]
	buffer_load_dword v1, off, s[0:3], s33 offset:140 ; 4-byte Folded Reload
	v_sub_u32_e32 v29, v29, v52
	v_mov_b32_e32 v34, 0
	v_mov_b32_e32 v36, 0
	;; [unrolled: 1-line block ×3, first 2 shown]
	v_cmp_lt_i32_e64 s[90:91], 0, v29
	s_waitcnt vmcnt(0)
	v_add_co_u32_e32 v32, vcc, v32, v1
	buffer_load_dword v1, off, s[0:3], s33 offset:144 ; 4-byte Folded Reload
	s_waitcnt vmcnt(0)
	v_addc_co_u32_e32 v33, vcc, v33, v1, vcc
	s_and_saveexec_b64 s[92:93], s[90:91]
	s_cbranch_execz .LBB8_2163
; %bb.2167:                             ;   in Loop: Header=BB8_2164 Depth=4
	global_load_dwordx4 v[8:11], v[32:33], off glc slc
	global_load_dwordx4 v[12:15], v[32:33], off offset:1024 glc slc
	buffer_load_dword v34, off, s[0:3], s33 offset:160 ; 4-byte Folded Reload
	buffer_load_dword v35, off, s[0:3], s33 offset:164 ; 4-byte Folded Reload
	v_add_co_u32_e32 v32, vcc, 0x800, v32
	v_addc_co_u32_e32 v33, vcc, 0, v33, vcc
	v_mov_b32_e32 v36, v52
	s_branch .LBB8_2163
.LBB8_2168:                             ;   in Loop: Header=BB8_2086 Depth=3
	s_mov_b64 s[26:27], 0
	s_and_saveexec_b64 s[28:29], s[10:11]
	s_cbranch_execnz .LBB8_2284
.LBB8_2169:                             ;   in Loop: Header=BB8_2086 Depth=3
	s_or_b64 exec, exec, s[28:29]
                                        ; implicit-def: $vgpr1
	s_and_saveexec_b64 s[28:29], s[24:25]
	s_xor_b64 s[28:29], exec, s[28:29]
	s_cbranch_execz .LBB8_2302
.LBB8_2170:                             ;   in Loop: Header=BB8_2086 Depth=3
	v_and_b32_e32 v3, 16, v56
	v_cmp_ne_u32_e32 vcc, 0, v3
	v_and_b32_e32 v1, 16, v56
	s_and_b64 s[40:41], vcc, s[26:27]
	s_and_saveexec_b64 s[26:27], s[40:41]
	s_cbranch_execz .LBB8_2172
; %bb.2171:                             ;   in Loop: Header=BB8_2086 Depth=3
	v_mov_b32_e32 v1, 1
	s_waitcnt vmcnt(0) lgkmcnt(0)
	buffer_wbinvl1_vol
.LBB8_2172:                             ;   in Loop: Header=BB8_2086 Depth=3
	s_or_b64 exec, exec, s[26:27]
	s_andn2_saveexec_b64 s[26:27], s[28:29]
	s_cbranch_execz .LBB8_2321
	s_branch .LBB8_2303
.LBB8_2173:                             ;   in Loop: Header=BB8_2086 Depth=3
	s_mov_b64 s[88:89], 0
	s_andn2_b64 vcc, exec, s[28:29]
	v_mov_b32_e32 v16, 0
	s_cbranch_vccz .LBB8_2161
.LBB8_2174:                             ;   in Loop: Header=BB8_2086 Depth=3
	buffer_load_dword v8, off, s[0:3], s33 offset:268 ; 4-byte Folded Reload
	buffer_load_dword v22, off, s[0:3], s33 offset:252 ; 4-byte Folded Reload
	v_mov_b32_e32 v17, v3
	s_and_saveexec_b64 s[40:41], s[88:89]
	s_cbranch_execnz .LBB8_2200
	s_branch .LBB8_2225
.LBB8_2175:                             ;   in Loop: Header=BB8_2086 Depth=3
	s_or_b64 exec, exec, s[28:29]
	s_and_b64 s[28:29], s[40:41], exec
.LBB8_2176:                             ;   in Loop: Header=BB8_2086 Depth=3
	s_or_b64 exec, exec, s[26:27]
	s_and_saveexec_b64 s[26:27], s[28:29]
	s_cbranch_execz .LBB8_2178
; %bb.2177:                             ;   in Loop: Header=BB8_2086 Depth=3
	global_store_dwordx4 v[26:27], v[8:11], off glc slc
	global_store_dwordx4 v[26:27], v[12:15], off offset:1024 glc slc
	global_store_dwordx4 v[24:25], v[8:11], off glc slc
	global_store_dwordx4 v[24:25], v[12:15], off offset:1024 glc slc
.LBB8_2178:                             ;   in Loop: Header=BB8_2086 Depth=3
	s_or_b64 exec, exec, s[26:27]
	v_lshlrev_b32_e32 v4, 11, v4
	v_cmp_ne_u32_e32 vcc, v3, v4
                                        ; implicit-def: $vgpr17
                                        ; implicit-def: $vgpr16
                                        ; implicit-def: $vgpr8
                                        ; implicit-def: $vgpr22
	s_and_saveexec_b64 s[90:91], vcc
	s_cbranch_execz .LBB8_2199
; %bb.2179:                             ;   in Loop: Header=BB8_2086 Depth=3
	buffer_load_dword v9, off, s[0:3], s33 offset:252 ; 4-byte Folded Reload
	v_lshlrev_b32_e32 v1, 6, v29
	v_sub_u32_e32 v8, v3, v4
	s_mov_b64 s[28:29], 0
	s_waitcnt vmcnt(0)
	v_sub_u32_e32 v1, v9, v1
	v_ashrrev_i32_e32 v9, 31, v1
	v_lshrrev_b32_e32 v9, 26, v9
	v_add_u32_e32 v9, v1, v9
	v_ashrrev_i32_e32 v11, 6, v9
	v_and_b32_e32 v9, 0xffffffc0, v9
	v_sub_u32_e32 v18, v1, v9
	v_lshlrev_b32_e32 v1, 4, v18
	v_lshl_add_u32 v9, v11, 10, v1
	v_add_u32_e32 v1, v9, v4
	v_sub_u32_e32 v26, v8, v9
	v_ashrrev_i32_e32 v9, 31, v8
	v_lshrrev_b32_e32 v9, 22, v9
	v_add_u32_e32 v9, v8, v9
	v_and_b32_e32 v19, 0xfffffc00, v9
	v_sub_u32_e32 v20, v8, v19
	v_ashrrev_i32_e32 v10, 10, v9
	v_cmp_lt_i32_e64 s[26:27], 15, v20
	v_addc_co_u32_e64 v8, vcc, 0, v10, s[26:27]
	v_ashrrev_i32_e32 v10, 31, v1
	v_add_co_u32_e32 v22, vcc, v1, v60
	v_addc_co_u32_e32 v23, vcc, v10, v61, vcc
	v_add_co_u32_e32 v24, vcc, v1, v6
	v_addc_co_u32_e32 v25, vcc, v10, v7, vcc
	v_sub_u32_e32 v21, v8, v11
	v_cmp_lt_i32_e32 vcc, 15, v26
                                        ; implicit-def: $vgpr8_vgpr9
	s_and_saveexec_b64 s[92:93], vcc
	s_cbranch_execz .LBB8_2193
; %bb.2180:                             ;   in Loop: Header=BB8_2086 Depth=3
	v_add_co_u32_e32 v16, vcc, v1, v58
	v_addc_co_u32_e32 v17, vcc, v10, v59, vcc
	s_mov_b64 s[34:35], 0
	s_mov_b64 s[94:95], 0
                                        ; implicit-def: $sgpr30_sgpr31
                                        ; implicit-def: $vgpr8_vgpr9
	s_branch .LBB8_2182
.LBB8_2181:                             ;   in Loop: Header=BB8_2182 Depth=4
	s_or_b64 exec, exec, s[28:29]
	v_cmp_gt_i32_e32 vcc, 16, v26
	s_or_b64 s[94:95], vcc, s[94:95]
	s_andn2_b64 s[28:29], s[30:31], exec
	s_and_b64 s[40:41], s[34:35], exec
	s_or_b64 s[30:31], s[28:29], s[40:41]
	s_andn2_b64 exec, exec, s[94:95]
	s_cbranch_execz .LBB8_2192
.LBB8_2182:                             ;   Parent Loop BB8_47 Depth=1
                                        ;     Parent Loop BB8_2083 Depth=2
                                        ;       Parent Loop BB8_2086 Depth=3
                                        ; =>      This Loop Header: Depth=4
                                        ;           Child Loop BB8_2184 Depth 5
                                        ;           Child Loop BB8_2189 Depth 5
	global_load_dwordx4 v[12:15], v[16:17], off glc slc
	s_and_saveexec_b64 s[36:37], s[34:35]
	s_cbranch_execz .LBB8_2186
; %bb.2183:                             ;   in Loop: Header=BB8_2182 Depth=4
	s_mov_b64 s[38:39], 0
	s_mov_b64 s[34:35], -1
.LBB8_2184:                             ;   Parent Loop BB8_47 Depth=1
                                        ;     Parent Loop BB8_2083 Depth=2
                                        ;       Parent Loop BB8_2086 Depth=3
                                        ;         Parent Loop BB8_2182 Depth=4
                                        ; =>        This Inner Loop Header: Depth=5
	s_cmp_eq_u32 s38, 1
	s_cselect_b64 s[28:29], -1, 0
	v_cndmask_b32_e64 v32, v22, v24, s[28:29]
	v_cndmask_b32_e64 v33, v23, v25, s[28:29]
	v_add_co_u32_e32 v1, vcc, 0x400, v32
	s_cmp_eq_u32 s38, 0
	v_addc_co_u32_e32 v27, vcc, 0, v33, vcc
	s_cselect_b64 vcc, -1, 0
	s_and_b64 s[40:41], exec, s[34:35]
	s_mov_b64 s[38:39], 1
	v_cndmask_b32_e64 v24, v24, v1, s[28:29]
	s_mov_b64 s[34:35], 0
	v_cndmask_b32_e64 v25, v25, v27, s[28:29]
	v_cndmask_b32_e32 v23, v23, v27, vcc
	v_cndmask_b32_e32 v22, v22, v1, vcc
	s_mov_b64 vcc, s[40:41]
	s_waitcnt vmcnt(2)
	global_store_dwordx4 v[32:33], v[8:11], off glc slc
	s_cbranch_vccnz .LBB8_2184
; %bb.2185:                             ;   in Loop: Header=BB8_2182 Depth=4
	v_add_co_u32_e32 v22, vcc, v22, v54
	v_addc_co_u32_e32 v23, vcc, v23, v55, vcc
	v_add_co_u32_e32 v24, vcc, v24, v54
	v_addc_co_u32_e32 v25, vcc, v25, v55, vcc
.LBB8_2186:                             ;   in Loop: Header=BB8_2182 Depth=4
	s_or_b64 exec, exec, s[36:37]
	buffer_load_dword v1, off, s[0:3], s33 offset:128 ; 4-byte Folded Reload
	s_waitcnt vmcnt(0)
	v_add_co_u32_e32 v16, vcc, v1, v16
	buffer_load_dword v1, off, s[0:3], s33 offset:168 ; 4-byte Folded Reload
	v_addc_co_u32_e32 v17, vcc, v53, v17, vcc
	s_waitcnt vmcnt(0)
	v_sub_u32_e32 v26, v26, v1
	v_cmp_lt_i32_e64 s[34:35], 15, v26
	s_and_saveexec_b64 s[28:29], s[34:35]
	s_cbranch_execz .LBB8_2188
; %bb.2187:                             ;   in Loop: Header=BB8_2182 Depth=4
	global_load_dwordx4 v[8:11], v[16:17], off glc slc
	v_add_co_u32_e32 v16, vcc, 0x400, v16
	v_addc_co_u32_e32 v17, vcc, 0, v17, vcc
.LBB8_2188:                             ;   in Loop: Header=BB8_2182 Depth=4
	s_or_b64 exec, exec, s[28:29]
	s_mov_b64 s[38:39], 0
	s_mov_b64 s[36:37], -1
.LBB8_2189:                             ;   Parent Loop BB8_47 Depth=1
                                        ;     Parent Loop BB8_2083 Depth=2
                                        ;       Parent Loop BB8_2086 Depth=3
                                        ;         Parent Loop BB8_2182 Depth=4
                                        ; =>        This Inner Loop Header: Depth=5
	s_cmp_eq_u32 s38, 1
	s_cselect_b64 s[28:29], -1, 0
	v_cndmask_b32_e64 v32, v22, v24, s[28:29]
	v_cndmask_b32_e64 v33, v23, v25, s[28:29]
	v_add_co_u32_e32 v1, vcc, 0x400, v32
	s_cmp_eq_u32 s38, 0
	v_addc_co_u32_e32 v27, vcc, 0, v33, vcc
	s_cselect_b64 vcc, -1, 0
	s_and_b64 s[40:41], exec, s[36:37]
	s_mov_b64 s[38:39], 1
	v_cndmask_b32_e64 v24, v24, v1, s[28:29]
	s_mov_b64 s[36:37], 0
	v_cndmask_b32_e64 v25, v25, v27, s[28:29]
	v_cndmask_b32_e32 v23, v23, v27, vcc
	v_cndmask_b32_e32 v22, v22, v1, vcc
	s_mov_b64 vcc, s[40:41]
	global_store_dwordx4 v[32:33], v[12:15], off glc slc
	s_cbranch_vccnz .LBB8_2189
; %bb.2190:                             ;   in Loop: Header=BB8_2182 Depth=4
	v_sub_u32_e32 v21, v21, v52
	s_and_saveexec_b64 s[28:29], s[34:35]
	s_cbranch_execz .LBB8_2181
; %bb.2191:                             ;   in Loop: Header=BB8_2182 Depth=4
	buffer_load_dword v1, off, s[0:3], s33 offset:168 ; 4-byte Folded Reload
	v_add_co_u32_e32 v22, vcc, v22, v54
	v_addc_co_u32_e32 v23, vcc, v23, v55, vcc
	v_add_co_u32_e32 v24, vcc, v24, v54
	v_addc_co_u32_e32 v25, vcc, v25, v55, vcc
	;; [unrolled: 2-line block ×3, first 2 shown]
	v_sub_u32_e32 v21, v21, v52
	s_waitcnt vmcnt(0)
	v_sub_u32_e32 v26, v26, v1
	s_branch .LBB8_2181
.LBB8_2192:                             ;   in Loop: Header=BB8_2086 Depth=3
	s_or_b64 exec, exec, s[94:95]
	s_and_b64 s[28:29], s[30:31], exec
.LBB8_2193:                             ;   in Loop: Header=BB8_2086 Depth=3
	s_or_b64 exec, exec, s[92:93]
	s_and_saveexec_b64 s[92:93], s[28:29]
	s_cbranch_execz .LBB8_2196
; %bb.2194:                             ;   in Loop: Header=BB8_2086 Depth=3
	s_mov_b64 s[30:31], 0
	s_mov_b64 s[94:95], -1
	s_waitcnt vmcnt(0)
.LBB8_2195:                             ;   Parent Loop BB8_47 Depth=1
                                        ;     Parent Loop BB8_2083 Depth=2
                                        ;       Parent Loop BB8_2086 Depth=3
                                        ; =>      This Inner Loop Header: Depth=4
	s_cmp_eq_u32 s30, 1
	s_cselect_b64 s[28:29], -1, 0
	v_cndmask_b32_e64 v12, v22, v24, s[28:29]
	v_cndmask_b32_e64 v13, v23, v25, s[28:29]
	v_add_co_u32_e32 v1, vcc, 0x400, v12
	s_cmp_eq_u32 s30, 0
	global_store_dwordx4 v[12:13], v[8:11], off glc slc
	v_addc_co_u32_e32 v12, vcc, 0, v13, vcc
	s_cselect_b64 vcc, -1, 0
	s_and_b64 s[40:41], exec, s[94:95]
	s_mov_b64 s[30:31], 1
	v_cndmask_b32_e64 v24, v24, v1, s[28:29]
	s_mov_b64 s[94:95], 0
	v_cndmask_b32_e64 v25, v25, v12, s[28:29]
	v_cndmask_b32_e32 v23, v23, v12, vcc
	v_cndmask_b32_e32 v22, v22, v1, vcc
	s_mov_b64 vcc, s[40:41]
	s_cbranch_vccnz .LBB8_2195
.LBB8_2196:                             ;   in Loop: Header=BB8_2086 Depth=3
	s_or_b64 exec, exec, s[92:93]
	v_and_b32_e32 v1, 14, v3
	v_cndmask_b32_e64 v17, v20, v1, s[26:27]
	v_cmp_ne_u32_e32 vcc, 0, v17
	s_mov_b64 s[28:29], s[88:89]
                                        ; implicit-def: $vgpr16
                                        ; implicit-def: $vgpr8
                                        ; implicit-def: $vgpr22
	s_and_saveexec_b64 s[40:41], vcc
	s_cbranch_execz .LBB8_2198
; %bb.2197:                             ;   in Loop: Header=BB8_2086 Depth=3
	v_sub_u32_e32 v1, v20, v1
	v_cndmask_b32_e64 v1, 0, v1, s[26:27]
	v_cmp_lt_i32_e32 vcc, 0, v21
	v_add3_u32 v16, v19, v4, v1
	v_cndmask_b32_e32 v1, 0, v52, vcc
	v_sub_u32_e32 v1, v1, v21
	s_waitcnt vmcnt(1)
	v_lshl_add_u32 v8, v1, 6, v18
	v_ashrrev_i32_e32 v1, 31, v8
	v_lshrrev_b32_e32 v1, 26, v1
	v_add_u32_e32 v1, v8, v1
	v_and_b32_e32 v1, 0xffffffc0, v1
	v_sub_u32_e32 v22, v8, v1
	s_or_b64 s[28:29], s[88:89], exec
.LBB8_2198:                             ;   in Loop: Header=BB8_2086 Depth=3
	s_or_b64 exec, exec, s[40:41]
	s_andn2_b64 s[26:27], s[88:89], exec
	s_and_b64 s[28:29], s[28:29], exec
	s_or_b64 s[88:89], s[26:27], s[28:29]
.LBB8_2199:                             ;   in Loop: Header=BB8_2086 Depth=3
	s_or_b64 exec, exec, s[90:91]
	s_and_saveexec_b64 s[40:41], s[88:89]
	s_cbranch_execz .LBB8_2225
.LBB8_2200:                             ;   in Loop: Header=BB8_2086 Depth=3
	s_waitcnt vmcnt(1)
	v_ashrrev_i32_e32 v1, 31, v8
	v_lshrrev_b32_e32 v1, 26, v1
	v_add_u32_e32 v1, v8, v1
	v_ashrrev_i32_e32 v12, 6, v1
	v_lshlrev_b32_e32 v1, 10, v12
	s_waitcnt vmcnt(0)
	v_lshlrev_b32_e32 v4, 1, v22
	v_add3_u32 v1, v16, v4, v1
	v_ashrrev_i32_e32 v4, 31, v17
	v_lshrrev_b32_e32 v4, 22, v4
	v_ashrrev_i32_e32 v13, 31, v1
	v_add_co_u32_e32 v10, vcc, v60, v1
	v_add_u32_e32 v4, v17, v4
	v_addc_co_u32_e32 v11, vcc, v61, v13, vcc
	v_ashrrev_i32_e32 v4, 10, v4
	v_add_co_u32_e32 v8, vcc, v6, v1
	v_addc_co_u32_e32 v9, vcc, v7, v13, vcc
	v_sub_u32_e32 v14, v4, v12
	v_cmp_lt_i32_e32 vcc, 0, v14
	s_mov_b64 s[28:29], 0
                                        ; implicit-def: $vgpr18
                                        ; implicit-def: $vgpr19
                                        ; implicit-def: $vgpr20
                                        ; implicit-def: $vgpr21
                                        ; implicit-def: $vgpr23
                                        ; implicit-def: $vgpr24
                                        ; implicit-def: $vgpr25
                                        ; implicit-def: $vgpr26
	s_and_saveexec_b64 s[26:27], vcc
	s_cbranch_execz .LBB8_2208
; %bb.2201:                             ;   in Loop: Header=BB8_2086 Depth=3
	v_add_co_u32_e32 v12, vcc, v1, v58
	v_addc_co_u32_e32 v13, vcc, v13, v59, vcc
	s_mov_b64 s[90:91], 0
                                        ; implicit-def: $sgpr88_sgpr89
                                        ; implicit-def: $vgpr18
                                        ; implicit-def: $vgpr19
                                        ; implicit-def: $vgpr20
                                        ; implicit-def: $vgpr21
                                        ; implicit-def: $vgpr23
                                        ; implicit-def: $vgpr24
                                        ; implicit-def: $vgpr25
                                        ; implicit-def: $vgpr26
	s_branch .LBB8_2203
.LBB8_2202:                             ;   in Loop: Header=BB8_2203 Depth=4
	s_or_b64 exec, exec, s[92:93]
	v_add_co_u32_e32 v1, vcc, s55, v10
	s_waitcnt lgkmcnt(0)
	flat_store_short v[10:11], v27 glc slc
	flat_store_short v[10:11], v29 offset:128 glc slc
	flat_store_short v[10:11], v32 offset:256 glc slc
	;; [unrolled: 1-line block ×7, first 2 shown]
	v_addc_co_u32_e32 v10, vcc, 0, v11, vcc
	flat_store_short v[8:9], v27 glc slc
	flat_store_short v[8:9], v29 offset:128 glc slc
	flat_store_short v[8:9], v32 offset:256 glc slc
	;; [unrolled: 1-line block ×7, first 2 shown]
	v_add_co_u32_e32 v8, vcc, s55, v8
	v_addc_co_u32_e32 v9, vcc, 0, v9, vcc
	v_add_co_u32_e32 v27, vcc, v1, v54
	v_addc_co_u32_e32 v11, vcc, v10, v55, vcc
	;; [unrolled: 2-line block ×4, first 2 shown]
	v_sub_u32_e32 v14, v38, v39
	v_cmp_gt_i32_e32 vcc, 1, v14
	s_or_b64 s[28:29], vcc, s[28:29]
	s_andn2_b64 s[88:89], s[88:89], exec
	s_and_b64 s[92:93], s[90:91], exec
	v_cndmask_b32_e64 v11, v10, v11, s[90:91]
	v_cndmask_b32_e64 v10, v1, v27, s[90:91]
	;; [unrolled: 1-line block ×4, first 2 shown]
	s_or_b64 s[88:89], s[88:89], s[92:93]
	s_andn2_b64 exec, exec, s[28:29]
	s_cbranch_execz .LBB8_2207
.LBB8_2203:                             ;   Parent Loop BB8_47 Depth=1
                                        ;     Parent Loop BB8_2083 Depth=2
                                        ;       Parent Loop BB8_2086 Depth=3
                                        ; =>      This Inner Loop Header: Depth=4
	flat_load_ushort v27, v[12:13] glc slc
	flat_load_ushort v29, v[12:13] offset:128 glc slc
	flat_load_ushort v32, v[12:13] offset:256 glc slc
	;; [unrolled: 1-line block ×7, first 2 shown]
	s_and_saveexec_b64 s[92:93], s[90:91]
	s_cbranch_execz .LBB8_2205
; %bb.2204:                             ;   in Loop: Header=BB8_2203 Depth=4
	s_waitcnt vmcnt(0)
	flat_store_short v[10:11], v18 glc slc
	flat_store_short v[10:11], v19 offset:128 glc slc
	flat_store_short v[10:11], v20 offset:256 glc slc
	flat_store_short v[10:11], v21 offset:384 glc slc
	flat_store_short v[10:11], v23 offset:512 glc slc
	flat_store_short v[10:11], v24 offset:640 glc slc
	flat_store_short v[10:11], v25 offset:768 glc slc
	flat_store_short v[10:11], v26 offset:896 glc slc
	flat_store_short v[8:9], v18 glc slc
	flat_store_short v[8:9], v19 offset:128 glc slc
	flat_store_short v[8:9], v20 offset:256 glc slc
	;; [unrolled: 1-line block ×7, first 2 shown]
	buffer_load_dword v1, off, s[0:3], s33 offset:128 ; 4-byte Folded Reload
	v_mov_b32_e32 v15, v53
	s_waitcnt vmcnt(0)
	v_add_co_u32_e32 v10, vcc, v10, v1
	v_addc_co_u32_e32 v11, vcc, v11, v15, vcc
	v_add_co_u32_e32 v8, vcc, v8, v1
	v_addc_co_u32_e32 v9, vcc, v9, v15, vcc
.LBB8_2205:                             ;   in Loop: Header=BB8_2203 Depth=4
	s_or_b64 exec, exec, s[92:93]
	buffer_load_dword v1, off, s[0:3], s33 offset:128 ; 4-byte Folded Reload
	v_sub_u32_e32 v38, v14, v52
	v_mov_b32_e32 v14, 0
	v_mov_b32_e32 v39, 0
	;; [unrolled: 1-line block ×3, first 2 shown]
	v_cmp_lt_i32_e64 s[90:91], 0, v38
	s_waitcnt vmcnt(0)
	v_add_co_u32_e32 v12, vcc, v12, v1
	v_addc_co_u32_e32 v13, vcc, v13, v53, vcc
	s_and_saveexec_b64 s[92:93], s[90:91]
	s_cbranch_execz .LBB8_2202
; %bb.2206:                             ;   in Loop: Header=BB8_2203 Depth=4
	flat_load_ushort v18, v[12:13] glc slc
	flat_load_ushort v19, v[12:13] offset:128 glc slc
	flat_load_ushort v20, v[12:13] offset:256 glc slc
	;; [unrolled: 1-line block ×7, first 2 shown]
	v_add_co_u32_e32 v12, vcc, 0x400, v12
	v_mov_b32_e32 v14, v54
	v_addc_co_u32_e32 v13, vcc, 0, v13, vcc
	v_mov_b32_e32 v39, v52
	v_mov_b32_e32 v15, v55
	s_branch .LBB8_2202
.LBB8_2207:                             ;   in Loop: Header=BB8_2086 Depth=3
	s_or_b64 exec, exec, s[28:29]
	s_and_b64 s[28:29], s[88:89], exec
.LBB8_2208:                             ;   in Loop: Header=BB8_2086 Depth=3
	s_or_b64 exec, exec, s[26:27]
	s_and_saveexec_b64 s[26:27], s[28:29]
	s_cbranch_execz .LBB8_2210
; %bb.2209:                             ;   in Loop: Header=BB8_2086 Depth=3
	s_waitcnt vmcnt(0)
	flat_store_short v[10:11], v18 glc slc
	flat_store_short v[10:11], v19 offset:128 glc slc
	flat_store_short v[10:11], v20 offset:256 glc slc
	;; [unrolled: 1-line block ×7, first 2 shown]
	flat_store_short v[8:9], v18 glc slc
	flat_store_short v[8:9], v19 offset:128 glc slc
	flat_store_short v[8:9], v20 offset:256 glc slc
	;; [unrolled: 1-line block ×7, first 2 shown]
.LBB8_2210:                             ;   in Loop: Header=BB8_2086 Depth=3
	s_or_b64 exec, exec, s[26:27]
	v_lshlrev_b32_e32 v1, 10, v4
	v_cmp_ne_u32_e32 vcc, v17, v1
	s_and_b64 exec, exec, vcc
	s_cbranch_execz .LBB8_2225
; %bb.2211:                             ;   in Loop: Header=BB8_2086 Depth=3
	v_lshlrev_b32_e32 v4, 6, v14
	v_sub_u32_e32 v4, v22, v4
	v_ashrrev_i32_e32 v8, 31, v4
	v_lshrrev_b32_e32 v8, 26, v8
	v_add_u32_e32 v8, v4, v8
	v_and_b32_e32 v9, 0x7fffffc0, v8
	v_sub_u32_e32 v4, v4, v9
	v_lshlrev_b32_e32 v8, 1, v8
	v_and_b32_e32 v8, 0xffffff80, v8
	v_lshlrev_b32_e32 v4, 1, v4
	v_add3_u32 v1, v8, v4, v1
	v_sub_u32_e32 v13, v17, v1
	v_cmp_lt_i32_e32 vcc, 1, v13
	s_and_b64 exec, exec, vcc
	s_cbranch_execz .LBB8_2225
; %bb.2212:                             ;   in Loop: Header=BB8_2086 Depth=3
	v_add_u32_e32 v1, v1, v16
	v_ashrrev_i32_e32 v4, 31, v1
	v_add_co_u32_e32 v8, vcc, v60, v1
	v_addc_co_u32_e32 v9, vcc, v61, v4, vcc
	v_add_co_u32_e32 v10, vcc, v6, v1
	v_addc_co_u32_e32 v11, vcc, v7, v4, vcc
	;; [unrolled: 2-line block ×3, first 2 shown]
	s_mov_b64 s[92:93], 0
	s_mov_b64 s[88:89], 0
                                        ; implicit-def: $sgpr90_sgpr91
                                        ; implicit-def: $vgpr4
.LBB8_2213:                             ;   Parent Loop BB8_47 Depth=1
                                        ;     Parent Loop BB8_2083 Depth=2
                                        ;       Parent Loop BB8_2086 Depth=3
                                        ; =>      This Loop Header: Depth=4
                                        ;           Child Loop BB8_2215 Depth 5
                                        ;           Child Loop BB8_2220 Depth 5
	flat_load_ushort v12, v[6:7] glc slc
	s_and_saveexec_b64 s[94:95], s[92:93]
	s_cbranch_execz .LBB8_2217
; %bb.2214:                             ;   in Loop: Header=BB8_2213 Depth=4
	s_mov_b64 s[30:31], 0
	s_mov_b64 s[92:93], -1
.LBB8_2215:                             ;   Parent Loop BB8_47 Depth=1
                                        ;     Parent Loop BB8_2083 Depth=2
                                        ;       Parent Loop BB8_2086 Depth=3
                                        ;         Parent Loop BB8_2213 Depth=4
                                        ; =>        This Inner Loop Header: Depth=5
	s_cmp_eq_u32 s30, 1
	s_cselect_b64 s[26:27], -1, 0
	v_cndmask_b32_e64 v14, v8, v10, s[26:27]
	v_cndmask_b32_e64 v15, v9, v11, s[26:27]
	v_add_co_u32_e32 v1, vcc, 0x80, v14
	s_cmp_eq_u32 s30, 0
	flat_store_short v[14:15], v4 glc slc
	v_addc_co_u32_e32 v14, vcc, 0, v15, vcc
	s_cselect_b64 vcc, -1, 0
	s_and_b64 s[28:29], exec, s[92:93]
	s_mov_b64 s[30:31], 1
	v_cndmask_b32_e64 v10, v10, v1, s[26:27]
	s_mov_b64 s[92:93], 0
	v_cndmask_b32_e64 v11, v11, v14, s[26:27]
	v_cndmask_b32_e32 v9, v9, v14, vcc
	v_cndmask_b32_e32 v8, v8, v1, vcc
	s_mov_b64 vcc, s[28:29]
	s_cbranch_vccnz .LBB8_2215
; %bb.2216:                             ;   in Loop: Header=BB8_2213 Depth=4
	buffer_load_dword v14, off, s[0:3], s33 offset:172 ; 4-byte Folded Reload
	buffer_load_dword v15, off, s[0:3], s33 offset:176 ; 4-byte Folded Reload
	s_waitcnt vmcnt(0)
	v_add_co_u32_e32 v8, vcc, v8, v14
	v_addc_co_u32_e32 v9, vcc, v9, v15, vcc
	v_add_co_u32_e32 v10, vcc, v10, v14
	v_addc_co_u32_e32 v11, vcc, v11, v15, vcc
.LBB8_2217:                             ;   in Loop: Header=BB8_2213 Depth=4
	s_or_b64 exec, exec, s[94:95]
	buffer_load_dword v1, off, s[0:3], s33 offset:180 ; 4-byte Folded Reload
	s_waitcnt vmcnt(0)
	v_add_co_u32_e32 v6, vcc, v1, v6
	buffer_load_dword v1, off, s[0:3], s33 offset:184 ; 4-byte Folded Reload
	s_waitcnt vmcnt(0)
	v_addc_co_u32_e32 v7, vcc, v1, v7, vcc
	buffer_load_dword v1, off, s[0:3], s33 offset:156 ; 4-byte Folded Reload
	s_waitcnt vmcnt(0)
	v_sub_u32_e32 v13, v13, v1
	v_cmp_lt_i32_e64 s[92:93], 1, v13
	s_and_saveexec_b64 s[26:27], s[92:93]
	s_cbranch_execz .LBB8_2219
; %bb.2218:                             ;   in Loop: Header=BB8_2213 Depth=4
	flat_load_ushort v4, v[6:7] glc slc
	v_add_co_u32_e32 v6, vcc, 0x80, v6
	v_addc_co_u32_e32 v7, vcc, 0, v7, vcc
.LBB8_2219:                             ;   in Loop: Header=BB8_2213 Depth=4
	s_or_b64 exec, exec, s[26:27]
	s_mov_b64 s[30:31], 0
	s_mov_b64 s[94:95], -1
.LBB8_2220:                             ;   Parent Loop BB8_47 Depth=1
                                        ;     Parent Loop BB8_2083 Depth=2
                                        ;       Parent Loop BB8_2086 Depth=3
                                        ;         Parent Loop BB8_2213 Depth=4
                                        ; =>        This Inner Loop Header: Depth=5
	s_cmp_eq_u32 s30, 1
	s_cselect_b64 s[26:27], -1, 0
	v_cndmask_b32_e64 v14, v8, v10, s[26:27]
	v_cndmask_b32_e64 v15, v9, v11, s[26:27]
	v_add_co_u32_e32 v1, vcc, 0x80, v14
	s_cmp_eq_u32 s30, 0
	s_waitcnt lgkmcnt(0)
	flat_store_short v[14:15], v12 glc slc
	v_addc_co_u32_e32 v14, vcc, 0, v15, vcc
	s_cselect_b64 vcc, -1, 0
	s_and_b64 s[28:29], exec, s[94:95]
	s_mov_b64 s[30:31], 1
	v_cndmask_b32_e64 v10, v10, v1, s[26:27]
	s_mov_b64 s[94:95], 0
	v_cndmask_b32_e64 v11, v11, v14, s[26:27]
	v_cndmask_b32_e32 v9, v9, v14, vcc
	v_cndmask_b32_e32 v8, v8, v1, vcc
	s_mov_b64 vcc, s[28:29]
	s_cbranch_vccnz .LBB8_2220
; %bb.2221:                             ;   in Loop: Header=BB8_2213 Depth=4
	buffer_load_dword v17, off, s[0:3], s33 offset:172 ; 4-byte Folded Reload
	buffer_load_dword v18, off, s[0:3], s33 offset:176 ; 4-byte Folded Reload
	s_waitcnt vmcnt(0)
	v_add_co_u32_e32 v12, vcc, v8, v17
	v_addc_co_u32_e32 v14, vcc, v9, v18, vcc
	v_add_co_u32_e32 v15, vcc, v10, v17
	v_addc_co_u32_e32 v16, vcc, v11, v18, vcc
	v_cndmask_b32_e64 v17, 0, v17, s[92:93]
	v_cndmask_b32_e64 v1, 0, v18, s[92:93]
	v_add_co_u32_e32 v6, vcc, v6, v17
	v_addc_co_u32_e32 v7, vcc, v7, v1, vcc
	buffer_load_dword v1, off, s[0:3], s33 offset:156 ; 4-byte Folded Reload
	v_cndmask_b32_e64 v11, v11, v16, s[92:93]
	v_cndmask_b32_e64 v10, v10, v15, s[92:93]
	;; [unrolled: 1-line block ×4, first 2 shown]
	s_waitcnt vmcnt(0)
	v_cndmask_b32_e64 v1, 0, v1, s[92:93]
	v_sub_u32_e32 v13, v13, v1
	v_cmp_gt_i32_e32 vcc, 2, v13
	s_or_b64 s[88:89], vcc, s[88:89]
	s_andn2_b64 s[26:27], s[90:91], exec
	s_and_b64 s[28:29], s[92:93], exec
	s_or_b64 s[90:91], s[26:27], s[28:29]
	s_andn2_b64 exec, exec, s[88:89]
	s_cbranch_execnz .LBB8_2213
; %bb.2222:                             ;   in Loop: Header=BB8_2086 Depth=3
	s_or_b64 exec, exec, s[88:89]
	s_and_b64 exec, exec, s[90:91]
	s_cbranch_execz .LBB8_2225
; %bb.2223:                             ;   in Loop: Header=BB8_2086 Depth=3
	s_mov_b64 s[90:91], 0
	s_mov_b64 s[88:89], -1
.LBB8_2224:                             ;   Parent Loop BB8_47 Depth=1
                                        ;     Parent Loop BB8_2083 Depth=2
                                        ;       Parent Loop BB8_2086 Depth=3
                                        ; =>      This Inner Loop Header: Depth=4
	s_cmp_eq_u32 s90, 1
	s_cselect_b64 s[26:27], -1, 0
	v_cndmask_b32_e64 v6, v12, v15, s[26:27]
	v_cndmask_b32_e64 v7, v14, v16, s[26:27]
	v_add_co_u32_e32 v1, vcc, 0x80, v6
	s_cmp_eq_u32 s90, 0
	flat_store_short v[6:7], v4 glc slc
	v_addc_co_u32_e32 v6, vcc, 0, v7, vcc
	s_cselect_b64 vcc, -1, 0
	s_and_b64 s[28:29], exec, s[88:89]
	s_mov_b64 s[90:91], 1
	v_cndmask_b32_e64 v15, v15, v1, s[26:27]
	s_mov_b64 s[88:89], 0
	v_cndmask_b32_e32 v14, v14, v6, vcc
	v_cndmask_b32_e32 v12, v12, v1, vcc
	v_cndmask_b32_e64 v16, v16, v6, s[26:27]
	s_mov_b64 vcc, s[28:29]
	s_cbranch_vccnz .LBB8_2224
.LBB8_2225:                             ;   in Loop: Header=BB8_2086 Depth=3
	s_or_b64 exec, exec, s[40:41]
	s_mov_b64 s[26:27], 0
.LBB8_2226:                             ;   in Loop: Header=BB8_2086 Depth=3
	s_and_b64 vcc, exec, s[26:27]
	s_cbranch_vccz .LBB8_2240
; %bb.2227:                             ;   in Loop: Header=BB8_2086 Depth=3
	s_mov_b64 s[26:27], -1
	s_and_saveexec_b64 s[28:29], s[20:21]
	s_cbranch_execz .LBB8_2229
; %bb.2228:                             ;   in Loop: Header=BB8_2086 Depth=3
	ds_read_b32 v1, v0 offset:720
	s_waitcnt lgkmcnt(0)
	v_and_b32_e32 v1, 15, v1
	v_cmp_eq_u32_e32 vcc, 0, v1
	s_orn2_b64 s[26:27], vcc, exec
.LBB8_2229:                             ;   in Loop: Header=BB8_2086 Depth=3
	s_or_b64 exec, exec, s[28:29]
	s_and_saveexec_b64 s[28:29], s[18:19]
	s_cbranch_execz .LBB8_2231
; %bb.2230:                             ;   in Loop: Header=BB8_2086 Depth=3
	ds_read_b32 v1, v0 offset:784
	s_waitcnt lgkmcnt(0)
	v_and_b32_e32 v1, 15, v1
	v_cmp_eq_u32_e32 vcc, 0, v1
	s_and_b64 s[40:41], s[26:27], vcc
	s_andn2_b64 s[26:27], s[26:27], exec
	s_and_b64 s[40:41], s[40:41], exec
	s_or_b64 s[26:27], s[26:27], s[40:41]
.LBB8_2231:                             ;   in Loop: Header=BB8_2086 Depth=3
	s_or_b64 exec, exec, s[28:29]
	s_xor_b64 s[26:27], s[26:27], -1
	v_cndmask_b32_e64 v1, 0, 1, s[26:27]
	s_mov_b64 s[40:41], -1
	v_cmp_ne_u32_e32 vcc, 0, v1
	s_cbranch_vccz .LBB8_2241
; %bb.2232:                             ;   in Loop: Header=BB8_2086 Depth=3
	s_mov_b64 s[28:29], -1
	v_mov_b32_e32 v4, 0
	s_cbranch_execnz .LBB8_2242
.LBB8_2233:                             ;   in Loop: Header=BB8_2086 Depth=3
	v_ashrrev_i32_e32 v1, 31, v3
	v_lshrrev_b32_e32 v1, 20, v1
	v_add_u32_e32 v1, v3, v1
	v_ashrrev_i32_e32 v4, 12, v1
	buffer_load_dword v1, off, s[0:3], s33 offset:272 ; 4-byte Folded Reload
	s_mov_b64 s[40:41], 0
                                        ; implicit-def: $vgpr8_vgpr9
                                        ; implicit-def: $vgpr12_vgpr13
                                        ; implicit-def: $vgpr16_vgpr17
                                        ; implicit-def: $vgpr20_vgpr21
	s_waitcnt vmcnt(0)
	v_sub_u32_e32 v29, v4, v1
	buffer_load_dword v1, off, s[0:3], s33 offset:316 ; 4-byte Folded Reload
	s_waitcnt vmcnt(0)
	v_add_co_u32_e32 v6, vcc, v60, v1
	v_addc_co_u32_e32 v7, vcc, 0, v61, vcc
	v_cmp_lt_i32_e32 vcc, 0, v29
	s_and_saveexec_b64 s[26:27], vcc
	s_cbranch_execz .LBB8_2244
; %bb.2234:                             ;   in Loop: Header=BB8_2086 Depth=3
	buffer_load_dword v1, off, s[0:3], s33 offset:316 ; 4-byte Folded Reload
	v_mov_b32_e32 v30, v48
	v_mov_b32_e32 v31, v49
	s_mov_b64 s[90:91], 0
                                        ; implicit-def: $sgpr88_sgpr89
                                        ; implicit-def: $vgpr8_vgpr9
                                        ; implicit-def: $vgpr12_vgpr13
                                        ; implicit-def: $vgpr16_vgpr17
                                        ; implicit-def: $vgpr20_vgpr21
	s_waitcnt vmcnt(0)
	v_add_co_u32_e32 v42, vcc, v58, v1
	v_addc_co_u32_e32 v43, vcc, 0, v59, vcc
	s_branch .LBB8_2236
.LBB8_2235:                             ;   in Loop: Header=BB8_2236 Depth=4
	s_or_b64 exec, exec, s[92:93]
	global_store_dwordx4 v[6:7], v[24:27], off glc slc
	global_store_dwordx4 v[6:7], v[32:35], off offset:1024 glc slc
	global_store_dwordx4 v[6:7], v[36:39], off offset:2048 glc slc
	;; [unrolled: 1-line block ×3, first 2 shown]
	s_waitcnt vmcnt(0)
	v_add_co_u32_e32 v6, vcc, v6, v44
	v_addc_co_u32_e32 v7, vcc, v7, v45, vcc
	v_add_co_u32_e32 v6, vcc, s54, v6
	v_addc_co_u32_e32 v7, vcc, 0, v7, vcc
	;; [unrolled: 2-line block ×3, first 2 shown]
	v_sub_u32_e32 v29, v29, v1
	v_cmp_gt_i32_e32 vcc, 1, v29
	s_or_b64 s[40:41], vcc, s[40:41]
	s_andn2_b64 s[88:89], s[88:89], exec
	s_and_b64 s[92:93], s[90:91], exec
	s_or_b64 s[88:89], s[88:89], s[92:93]
	s_andn2_b64 exec, exec, s[40:41]
	s_cbranch_execz .LBB8_2243
.LBB8_2236:                             ;   Parent Loop BB8_47 Depth=1
                                        ;     Parent Loop BB8_2083 Depth=2
                                        ;       Parent Loop BB8_2086 Depth=3
                                        ; =>      This Inner Loop Header: Depth=4
	global_load_dwordx4 v[24:27], v[42:43], off glc slc
	global_load_dwordx4 v[32:35], v[42:43], off offset:1024 glc slc
	global_load_dwordx4 v[36:39], v[42:43], off offset:2048 glc slc
	;; [unrolled: 1-line block ×3, first 2 shown]
	s_and_saveexec_b64 s[92:93], s[90:91]
	s_cbranch_execz .LBB8_2238
; %bb.2237:                             ;   in Loop: Header=BB8_2236 Depth=4
	global_store_dwordx4 v[6:7], v[8:11], off glc slc
	global_store_dwordx4 v[6:7], v[12:15], off offset:1024 glc slc
	global_store_dwordx4 v[6:7], v[16:19], off offset:2048 glc slc
	;; [unrolled: 1-line block ×3, first 2 shown]
	buffer_load_dword v1, off, s[0:3], s33 offset:188 ; 4-byte Folded Reload
	s_waitcnt vmcnt(0)
	v_add_co_u32_e32 v6, vcc, v6, v1
	buffer_load_dword v1, off, s[0:3], s33 offset:192 ; 4-byte Folded Reload
	s_waitcnt vmcnt(0)
	v_addc_co_u32_e32 v7, vcc, v7, v1, vcc
.LBB8_2238:                             ;   in Loop: Header=BB8_2236 Depth=4
	s_or_b64 exec, exec, s[92:93]
	buffer_load_dword v1, off, s[0:3], s33 offset:188 ; 4-byte Folded Reload
	v_sub_u32_e32 v29, v29, v52
	v_mov_b32_e32 v44, 0
	v_mov_b32_e32 v45, 0
	v_cmp_lt_i32_e64 s[90:91], 0, v29
	s_waitcnt vmcnt(0)
	v_add_co_u32_e32 v42, vcc, v42, v1
	buffer_load_dword v1, off, s[0:3], s33 offset:192 ; 4-byte Folded Reload
	s_waitcnt vmcnt(0)
	v_addc_co_u32_e32 v43, vcc, v43, v1, vcc
	v_mov_b32_e32 v1, 0
	s_and_saveexec_b64 s[92:93], s[90:91]
	s_cbranch_execz .LBB8_2235
; %bb.2239:                             ;   in Loop: Header=BB8_2236 Depth=4
	global_load_dwordx4 v[8:11], v[42:43], off glc slc
	global_load_dwordx4 v[12:15], v[42:43], off offset:1024 glc slc
	global_load_dwordx4 v[16:19], v[42:43], off offset:2048 glc slc
	;; [unrolled: 1-line block ×3, first 2 shown]
	buffer_load_dword v44, off, s[0:3], s33 offset:236 ; 4-byte Folded Reload
	buffer_load_dword v45, off, s[0:3], s33 offset:240 ; 4-byte Folded Reload
	v_add_co_u32_e32 v42, vcc, 0x1000, v42
	v_addc_co_u32_e32 v43, vcc, 0, v43, vcc
	v_mov_b32_e32 v1, v52
	s_branch .LBB8_2235
.LBB8_2240:                             ;   in Loop: Header=BB8_2086 Depth=3
	v_cmp_lt_i32_e64 s[26:27], 0, v57
	s_and_saveexec_b64 s[28:29], s[10:11]
	s_cbranch_execnz .LBB8_2284
	s_branch .LBB8_2169
.LBB8_2241:                             ;   in Loop: Header=BB8_2086 Depth=3
	s_mov_b64 s[28:29], 0
	s_andn2_b64 vcc, exec, s[40:41]
	v_mov_b32_e32 v4, 0
	s_cbranch_vccz .LBB8_2233
.LBB8_2242:                             ;   in Loop: Header=BB8_2086 Depth=3
	buffer_load_dword v6, off, s[0:3], s33 offset:268 ; 4-byte Folded Reload
	buffer_load_dword v12, off, s[0:3], s33 offset:252 ; 4-byte Folded Reload
	s_and_saveexec_b64 s[26:27], s[28:29]
	s_cbranch_execnz .LBB8_2263
	s_branch .LBB8_2283
.LBB8_2243:                             ;   in Loop: Header=BB8_2086 Depth=3
	s_or_b64 exec, exec, s[40:41]
	v_mov_b32_e32 v49, v31
	s_and_b64 s[40:41], s[88:89], exec
	v_mov_b32_e32 v48, v30
.LBB8_2244:                             ;   in Loop: Header=BB8_2086 Depth=3
	s_or_b64 exec, exec, s[26:27]
	s_and_saveexec_b64 s[26:27], s[40:41]
	s_cbranch_execz .LBB8_2246
; %bb.2245:                             ;   in Loop: Header=BB8_2086 Depth=3
	global_store_dwordx4 v[6:7], v[8:11], off glc slc
	global_store_dwordx4 v[6:7], v[12:15], off offset:1024 glc slc
	global_store_dwordx4 v[6:7], v[16:19], off offset:2048 glc slc
	;; [unrolled: 1-line block ×3, first 2 shown]
.LBB8_2246:                             ;   in Loop: Header=BB8_2086 Depth=3
	s_or_b64 exec, exec, s[26:27]
	v_lshlrev_b32_e32 v18, 12, v4
	v_cmp_ne_u32_e32 vcc, v3, v18
                                        ; implicit-def: $vgpr4
                                        ; implicit-def: $vgpr6
                                        ; implicit-def: $vgpr12
	s_and_saveexec_b64 s[40:41], vcc
	s_cbranch_execz .LBB8_2262
; %bb.2247:                             ;   in Loop: Header=BB8_2086 Depth=3
	buffer_load_dword v4, off, s[0:3], s33 offset:252 ; 4-byte Folded Reload
	v_lshlrev_b32_e32 v1, 6, v29
	v_sub_u32_e32 v6, v3, v18
	v_ashrrev_i32_e32 v8, 31, v6
	v_lshrrev_b32_e32 v8, 22, v8
	v_add_u32_e32 v8, v6, v8
	v_and_b32_e32 v20, 0xfffffc00, v8
	v_sub_u32_e32 v22, v6, v20
	v_ashrrev_i32_e32 v9, 10, v8
	v_cmp_lt_i32_e64 s[26:27], 15, v22
	s_mov_b64 s[90:91], 0
	s_waitcnt vmcnt(0)
	v_sub_u32_e32 v1, v4, v1
	v_ashrrev_i32_e32 v4, 31, v1
	v_lshrrev_b32_e32 v4, 26, v4
	v_add_u32_e32 v4, v1, v4
	v_ashrrev_i32_e32 v7, 6, v4
	v_and_b32_e32 v4, 0xffffffc0, v4
	v_sub_u32_e32 v19, v1, v4
	v_lshlrev_b32_e32 v1, 4, v19
	v_lshl_add_u32 v4, v7, 10, v1
	v_add_u32_e32 v1, v4, v18
	v_sub_u32_e32 v4, v6, v4
	v_addc_co_u32_e64 v6, vcc, 0, v9, s[26:27]
	v_sub_u32_e32 v21, v6, v7
	v_ashrrev_i32_e32 v10, 31, v1
	v_add_co_u32_e32 v6, vcc, v1, v60
	v_addc_co_u32_e32 v7, vcc, v10, v61, vcc
	v_cmp_lt_i32_e32 vcc, 15, v4
                                        ; implicit-def: $vgpr8_vgpr9
	s_and_saveexec_b64 s[88:89], vcc
	s_cbranch_execz .LBB8_2257
; %bb.2248:                             ;   in Loop: Header=BB8_2086 Depth=3
	v_add_co_u32_e32 v16, vcc, v1, v58
	v_addc_co_u32_e32 v17, vcc, v10, v59, vcc
	s_mov_b64 s[94:95], 0
                                        ; implicit-def: $sgpr92_sgpr93
                                        ; implicit-def: $vgpr8_vgpr9
	s_branch .LBB8_2250
.LBB8_2249:                             ;   in Loop: Header=BB8_2250 Depth=4
	s_or_b64 exec, exec, s[30:31]
	v_cmp_gt_i32_e32 vcc, 16, v4
	s_or_b64 s[90:91], vcc, s[90:91]
	s_andn2_b64 s[92:93], s[92:93], exec
	s_and_b64 vcc, s[94:95], exec
	s_or_b64 s[92:93], s[92:93], vcc
	s_andn2_b64 exec, exec, s[90:91]
	s_cbranch_execz .LBB8_2256
.LBB8_2250:                             ;   Parent Loop BB8_47 Depth=1
                                        ;     Parent Loop BB8_2083 Depth=2
                                        ;       Parent Loop BB8_2086 Depth=3
                                        ; =>      This Inner Loop Header: Depth=4
	global_load_dwordx4 v[12:15], v[16:17], off glc slc
	s_and_saveexec_b64 s[30:31], s[94:95]
	s_cbranch_execz .LBB8_2252
; %bb.2251:                             ;   in Loop: Header=BB8_2250 Depth=4
	buffer_load_dword v1, off, s[0:3], s33 offset:128 ; 4-byte Folded Reload
	s_waitcnt vmcnt(0)
	v_add_co_u32_e32 v23, vcc, v6, v1
	v_addc_co_u32_e32 v24, vcc, v7, v53, vcc
	global_store_dwordx4 v[6:7], v[8:11], off glc slc
	v_mov_b32_e32 v6, v23
	v_mov_b32_e32 v7, v24
.LBB8_2252:                             ;   in Loop: Header=BB8_2250 Depth=4
	s_or_b64 exec, exec, s[30:31]
	buffer_load_dword v1, off, s[0:3], s33 offset:128 ; 4-byte Folded Reload
	s_waitcnt vmcnt(0)
	v_add_co_u32_e32 v16, vcc, v16, v1
	buffer_load_dword v1, off, s[0:3], s33 offset:168 ; 4-byte Folded Reload
	v_addc_co_u32_e32 v17, vcc, v17, v53, vcc
	s_waitcnt vmcnt(0)
	v_sub_u32_e32 v4, v4, v1
	v_cmp_lt_i32_e64 s[94:95], 15, v4
	s_and_saveexec_b64 s[30:31], s[94:95]
	s_cbranch_execz .LBB8_2254
; %bb.2253:                             ;   in Loop: Header=BB8_2250 Depth=4
	global_load_dwordx4 v[8:11], v[16:17], off glc slc
	v_add_co_u32_e32 v16, vcc, 0x400, v16
	v_addc_co_u32_e32 v17, vcc, 0, v17, vcc
.LBB8_2254:                             ;   in Loop: Header=BB8_2250 Depth=4
	s_or_b64 exec, exec, s[30:31]
	global_store_dwordx4 v[6:7], v[12:15], off glc slc
	v_add_co_u32_e32 v6, vcc, 0x400, v6
	v_sub_u32_e32 v21, v21, v52
	v_addc_co_u32_e32 v7, vcc, 0, v7, vcc
	s_and_saveexec_b64 s[30:31], s[94:95]
	s_cbranch_execz .LBB8_2249
; %bb.2255:                             ;   in Loop: Header=BB8_2250 Depth=4
	buffer_load_dword v1, off, s[0:3], s33 offset:168 ; 4-byte Folded Reload
	v_add_co_u32_e32 v16, vcc, v16, v54
	v_addc_co_u32_e32 v17, vcc, v17, v55, vcc
	v_add_co_u32_e32 v6, vcc, v6, v54
	v_sub_u32_e32 v21, v21, v52
	v_addc_co_u32_e32 v7, vcc, v7, v55, vcc
	s_waitcnt vmcnt(0)
	v_sub_u32_e32 v4, v4, v1
	s_branch .LBB8_2249
.LBB8_2256:                             ;   in Loop: Header=BB8_2086 Depth=3
	s_or_b64 exec, exec, s[90:91]
	s_and_b64 s[90:91], s[92:93], exec
.LBB8_2257:                             ;   in Loop: Header=BB8_2086 Depth=3
	s_or_b64 exec, exec, s[88:89]
	s_and_saveexec_b64 s[88:89], s[90:91]
	s_cbranch_execz .LBB8_2259
; %bb.2258:                             ;   in Loop: Header=BB8_2086 Depth=3
	s_waitcnt vmcnt(0)
	global_store_dwordx4 v[6:7], v[8:11], off glc slc
.LBB8_2259:                             ;   in Loop: Header=BB8_2086 Depth=3
	s_or_b64 exec, exec, s[88:89]
	v_and_b32_e32 v1, 14, v3
	v_cndmask_b32_e64 v3, v22, v1, s[26:27]
	v_cmp_ne_u32_e32 vcc, 0, v3
	s_mov_b64 s[90:91], s[28:29]
                                        ; implicit-def: $vgpr4
                                        ; implicit-def: $vgpr6
                                        ; implicit-def: $vgpr12
	s_and_saveexec_b64 s[88:89], vcc
	s_cbranch_execz .LBB8_2261
; %bb.2260:                             ;   in Loop: Header=BB8_2086 Depth=3
	v_sub_u32_e32 v1, v22, v1
	v_cndmask_b32_e64 v1, 0, v1, s[26:27]
	v_cmp_lt_i32_e32 vcc, 0, v21
	v_add3_u32 v4, v20, v18, v1
	v_cndmask_b32_e32 v1, 0, v52, vcc
	v_sub_u32_e32 v1, v1, v21
	v_lshl_add_u32 v6, v1, 6, v19
	v_ashrrev_i32_e32 v1, 31, v6
	v_lshrrev_b32_e32 v1, 26, v1
	v_add_u32_e32 v1, v6, v1
	v_and_b32_e32 v1, 0xffffffc0, v1
	v_sub_u32_e32 v12, v6, v1
	s_or_b64 s[90:91], s[28:29], exec
.LBB8_2261:                             ;   in Loop: Header=BB8_2086 Depth=3
	s_or_b64 exec, exec, s[88:89]
	s_andn2_b64 s[26:27], s[28:29], exec
	s_and_b64 s[28:29], s[90:91], exec
	s_or_b64 s[28:29], s[26:27], s[28:29]
.LBB8_2262:                             ;   in Loop: Header=BB8_2086 Depth=3
	s_or_b64 exec, exec, s[40:41]
	s_and_saveexec_b64 s[26:27], s[28:29]
	s_cbranch_execz .LBB8_2283
.LBB8_2263:                             ;   in Loop: Header=BB8_2086 Depth=3
	s_waitcnt vmcnt(0)
	v_ashrrev_i32_e32 v1, 31, v6
	v_lshrrev_b32_e32 v1, 26, v1
	v_add_u32_e32 v1, v6, v1
	v_ashrrev_i32_e32 v6, 6, v1
	v_lshlrev_b32_e32 v1, 10, v6
	v_lshlrev_b32_e32 v7, 1, v12
	v_add3_u32 v1, v4, v7, v1
	v_ashrrev_i32_e32 v7, 31, v3
	v_lshrrev_b32_e32 v7, 22, v7
	v_add_u32_e32 v7, v3, v7
	v_ashrrev_i32_e32 v13, 10, v7
	v_sub_u32_e32 v10, v13, v6
	v_ashrrev_i32_e32 v9, 31, v1
	v_add_co_u32_e32 v6, vcc, v60, v1
	v_addc_co_u32_e32 v7, vcc, v61, v9, vcc
	v_cmp_lt_i32_e32 vcc, 0, v10
	s_mov_b64 s[40:41], 0
                                        ; implicit-def: $vgpr14
                                        ; implicit-def: $vgpr15
                                        ; implicit-def: $vgpr16
                                        ; implicit-def: $vgpr17
                                        ; implicit-def: $vgpr18
                                        ; implicit-def: $vgpr19
                                        ; implicit-def: $vgpr20
                                        ; implicit-def: $vgpr21
	s_and_saveexec_b64 s[28:29], vcc
	s_cbranch_execz .LBB8_2271
; %bb.2264:                             ;   in Loop: Header=BB8_2086 Depth=3
	v_add_co_u32_e32 v8, vcc, v1, v58
	v_addc_co_u32_e32 v9, vcc, v9, v59, vcc
	s_mov_b64 s[90:91], 0
                                        ; implicit-def: $sgpr88_sgpr89
                                        ; implicit-def: $vgpr14
                                        ; implicit-def: $vgpr15
                                        ; implicit-def: $vgpr16
                                        ; implicit-def: $vgpr17
                                        ; implicit-def: $vgpr18
                                        ; implicit-def: $vgpr19
                                        ; implicit-def: $vgpr20
                                        ; implicit-def: $vgpr21
	s_branch .LBB8_2266
.LBB8_2265:                             ;   in Loop: Header=BB8_2266 Depth=4
	s_or_b64 exec, exec, s[92:93]
	v_add_co_u32_e32 v1, vcc, v6, v10
	s_waitcnt lgkmcnt(0)
	flat_store_short v[6:7], v22 glc slc
	flat_store_short v[6:7], v23 offset:128 glc slc
	flat_store_short v[6:7], v24 offset:256 glc slc
	;; [unrolled: 1-line block ×7, first 2 shown]
	v_addc_co_u32_e32 v7, vcc, v7, v11, vcc
	v_add_co_u32_e32 v6, vcc, s55, v1
	v_addc_co_u32_e32 v7, vcc, 0, v7, vcc
	v_add_co_u32_e32 v8, vcc, v8, v10
	v_addc_co_u32_e32 v9, vcc, v9, v11, vcc
	v_sub_u32_e32 v10, v33, v34
	v_cmp_gt_i32_e32 vcc, 1, v10
	s_or_b64 s[40:41], vcc, s[40:41]
	s_andn2_b64 s[88:89], s[88:89], exec
	s_and_b64 s[92:93], s[90:91], exec
	s_or_b64 s[88:89], s[88:89], s[92:93]
	s_andn2_b64 exec, exec, s[40:41]
	s_cbranch_execz .LBB8_2270
.LBB8_2266:                             ;   Parent Loop BB8_47 Depth=1
                                        ;     Parent Loop BB8_2083 Depth=2
                                        ;       Parent Loop BB8_2086 Depth=3
                                        ; =>      This Inner Loop Header: Depth=4
	flat_load_ushort v22, v[8:9] glc slc
	flat_load_ushort v23, v[8:9] offset:128 glc slc
	flat_load_ushort v24, v[8:9] offset:256 glc slc
	;; [unrolled: 1-line block ×7, first 2 shown]
	s_and_saveexec_b64 s[92:93], s[90:91]
	s_cbranch_execz .LBB8_2268
; %bb.2267:                             ;   in Loop: Header=BB8_2266 Depth=4
	s_waitcnt vmcnt(0)
	flat_store_short v[6:7], v14 glc slc
	flat_store_short v[6:7], v15 offset:128 glc slc
	flat_store_short v[6:7], v16 offset:256 glc slc
	;; [unrolled: 1-line block ×7, first 2 shown]
	buffer_load_dword v1, off, s[0:3], s33 offset:128 ; 4-byte Folded Reload
	s_waitcnt vmcnt(0)
	v_add_co_u32_e32 v6, vcc, v6, v1
	v_addc_co_u32_e32 v7, vcc, v7, v53, vcc
.LBB8_2268:                             ;   in Loop: Header=BB8_2266 Depth=4
	s_or_b64 exec, exec, s[92:93]
	buffer_load_dword v1, off, s[0:3], s33 offset:128 ; 4-byte Folded Reload
	v_sub_u32_e32 v33, v10, v52
	v_mov_b32_e32 v10, 0
	v_mov_b32_e32 v34, 0
	;; [unrolled: 1-line block ×3, first 2 shown]
	v_cmp_lt_i32_e64 s[90:91], 0, v33
	s_waitcnt vmcnt(0)
	v_add_co_u32_e32 v8, vcc, v8, v1
	v_addc_co_u32_e32 v9, vcc, v9, v53, vcc
	s_and_saveexec_b64 s[92:93], s[90:91]
	s_cbranch_execz .LBB8_2265
; %bb.2269:                             ;   in Loop: Header=BB8_2266 Depth=4
	flat_load_ushort v14, v[8:9] glc slc
	flat_load_ushort v15, v[8:9] offset:128 glc slc
	flat_load_ushort v16, v[8:9] offset:256 glc slc
	;; [unrolled: 1-line block ×7, first 2 shown]
	v_add_co_u32_e32 v8, vcc, 0x400, v8
	v_mov_b32_e32 v10, v54
	v_addc_co_u32_e32 v9, vcc, 0, v9, vcc
	v_mov_b32_e32 v34, v52
	v_mov_b32_e32 v11, v55
	s_branch .LBB8_2265
.LBB8_2270:                             ;   in Loop: Header=BB8_2086 Depth=3
	s_or_b64 exec, exec, s[40:41]
	s_and_b64 s[40:41], s[88:89], exec
.LBB8_2271:                             ;   in Loop: Header=BB8_2086 Depth=3
	s_or_b64 exec, exec, s[28:29]
	s_and_saveexec_b64 s[28:29], s[40:41]
	s_cbranch_execz .LBB8_2273
; %bb.2272:                             ;   in Loop: Header=BB8_2086 Depth=3
	s_waitcnt vmcnt(0)
	flat_store_short v[6:7], v14 glc slc
	flat_store_short v[6:7], v15 offset:128 glc slc
	flat_store_short v[6:7], v16 offset:256 glc slc
	;; [unrolled: 1-line block ×7, first 2 shown]
.LBB8_2273:                             ;   in Loop: Header=BB8_2086 Depth=3
	s_or_b64 exec, exec, s[28:29]
	v_lshlrev_b32_e32 v1, 10, v13
	v_cmp_ne_u32_e32 vcc, v3, v1
	s_and_b64 exec, exec, vcc
	s_cbranch_execz .LBB8_2283
; %bb.2274:                             ;   in Loop: Header=BB8_2086 Depth=3
	v_lshlrev_b32_e32 v6, 6, v10
	v_sub_u32_e32 v6, v12, v6
	v_ashrrev_i32_e32 v7, 31, v6
	v_lshrrev_b32_e32 v7, 26, v7
	v_add_u32_e32 v7, v6, v7
	v_and_b32_e32 v8, 0x7fffffc0, v7
	v_sub_u32_e32 v6, v6, v8
	v_lshlrev_b32_e32 v7, 1, v7
	v_and_b32_e32 v7, 0xffffff80, v7
	v_lshlrev_b32_e32 v6, 1, v6
	v_add3_u32 v1, v7, v6, v1
	v_sub_u32_e32 v10, v3, v1
	v_cmp_lt_i32_e32 vcc, 1, v10
	s_and_b64 exec, exec, vcc
	s_cbranch_execz .LBB8_2283
; %bb.2275:                             ;   in Loop: Header=BB8_2086 Depth=3
	v_add_u32_e32 v1, v1, v4
	v_ashrrev_i32_e32 v3, 31, v1
	v_add_co_u32_e32 v6, vcc, v60, v1
	v_addc_co_u32_e32 v7, vcc, v61, v3, vcc
	v_add_co_u32_e32 v8, vcc, v1, v58
	v_addc_co_u32_e32 v9, vcc, v3, v59, vcc
	s_mov_b64 s[88:89], 0
	s_mov_b64 s[28:29], 0
                                        ; implicit-def: $sgpr40_sgpr41
                                        ; implicit-def: $vgpr3
	s_branch .LBB8_2277
.LBB8_2276:                             ;   in Loop: Header=BB8_2277 Depth=4
	s_or_b64 exec, exec, s[90:91]
	s_waitcnt lgkmcnt(0)
	flat_store_short v[6:7], v1 glc slc
	s_waitcnt vmcnt(0)
	v_add_co_u32_e32 v1, vcc, v6, v10
	v_addc_co_u32_e32 v7, vcc, v7, v11, vcc
	v_add_co_u32_e32 v8, vcc, v8, v10
	v_addc_co_u32_e32 v9, vcc, v9, v11, vcc
	;; [unrolled: 2-line block ×3, first 2 shown]
	v_sub_u32_e32 v10, v4, v12
	v_cmp_gt_i32_e32 vcc, 2, v10
	s_or_b64 s[28:29], vcc, s[28:29]
	s_andn2_b64 s[40:41], s[40:41], exec
	s_and_b64 s[90:91], s[88:89], exec
	s_or_b64 s[40:41], s[40:41], s[90:91]
	s_andn2_b64 exec, exec, s[28:29]
	s_cbranch_execz .LBB8_2281
.LBB8_2277:                             ;   Parent Loop BB8_47 Depth=1
                                        ;     Parent Loop BB8_2083 Depth=2
                                        ;       Parent Loop BB8_2086 Depth=3
                                        ; =>      This Inner Loop Header: Depth=4
	flat_load_ushort v1, v[8:9] glc slc
	s_and_saveexec_b64 s[90:91], s[88:89]
	s_cbranch_execz .LBB8_2279
; %bb.2278:                             ;   in Loop: Header=BB8_2277 Depth=4
	buffer_load_dword v4, off, s[0:3], s33 offset:180 ; 4-byte Folded Reload
	s_waitcnt vmcnt(0)
	v_add_co_u32_e32 v11, vcc, v6, v4
	buffer_load_dword v4, off, s[0:3], s33 offset:184 ; 4-byte Folded Reload
	s_waitcnt vmcnt(0)
	v_addc_co_u32_e32 v12, vcc, v7, v4, vcc
	flat_store_short v[6:7], v3 glc slc
	v_mov_b32_e32 v6, v11
	v_mov_b32_e32 v7, v12
.LBB8_2279:                             ;   in Loop: Header=BB8_2277 Depth=4
	s_or_b64 exec, exec, s[90:91]
	buffer_load_dword v4, off, s[0:3], s33 offset:180 ; 4-byte Folded Reload
	v_mov_b32_e32 v12, 0
	s_waitcnt vmcnt(0)
	v_add_co_u32_e32 v8, vcc, v8, v4
	buffer_load_dword v4, off, s[0:3], s33 offset:184 ; 4-byte Folded Reload
	s_waitcnt vmcnt(0)
	v_addc_co_u32_e32 v9, vcc, v9, v4, vcc
	buffer_load_dword v4, off, s[0:3], s33 offset:156 ; 4-byte Folded Reload
	s_waitcnt vmcnt(0)
	v_sub_u32_e32 v4, v10, v4
	v_mov_b32_e32 v10, 0
	v_cmp_lt_i32_e64 s[88:89], 1, v4
	v_mov_b32_e32 v11, 0
	s_and_saveexec_b64 s[90:91], s[88:89]
	s_cbranch_execz .LBB8_2276
; %bb.2280:                             ;   in Loop: Header=BB8_2277 Depth=4
	flat_load_ushort v3, v[8:9] glc slc
	buffer_load_dword v12, off, s[0:3], s33 offset:156 ; 4-byte Folded Reload
	buffer_load_dword v10, off, s[0:3], s33 offset:172 ; 4-byte Folded Reload
	;; [unrolled: 1-line block ×3, first 2 shown]
	v_add_co_u32_e32 v8, vcc, 0x80, v8
	v_addc_co_u32_e32 v9, vcc, 0, v9, vcc
	s_branch .LBB8_2276
.LBB8_2281:                             ;   in Loop: Header=BB8_2086 Depth=3
	s_or_b64 exec, exec, s[28:29]
	s_and_b64 exec, exec, s[40:41]
	s_cbranch_execz .LBB8_2283
; %bb.2282:                             ;   in Loop: Header=BB8_2086 Depth=3
	flat_store_short v[6:7], v3 glc slc
.LBB8_2283:                             ;   in Loop: Header=BB8_2086 Depth=3
	s_or_b64 exec, exec, s[26:27]
	v_cmp_lt_i32_e64 s[26:27], 0, v57
	s_and_saveexec_b64 s[28:29], s[10:11]
	s_cbranch_execz .LBB8_2169
.LBB8_2284:                             ;   in Loop: Header=BB8_2086 Depth=3
	s_and_saveexec_b64 s[40:41], s[58:59]
	s_xor_b64 s[40:41], exec, s[40:41]
	s_cbranch_execz .LBB8_2299
; %bb.2285:                             ;   in Loop: Header=BB8_2086 Depth=3
	s_and_saveexec_b64 s[88:89], s[16:17]
	s_cbranch_execz .LBB8_2298
; %bb.2286:                             ;   in Loop: Header=BB8_2086 Depth=3
	s_mov_b64 s[92:93], exec
	v_mbcnt_lo_u32_b32 v1, s92, 0
	v_mbcnt_hi_u32_b32 v1, s93, v1
	v_cmp_eq_u32_e32 vcc, 0, v1
	s_waitcnt vmcnt(0) lgkmcnt(0)
	buffer_wbinvl1_vol
	s_and_saveexec_b64 s[90:91], vcc
	s_cbranch_execz .LBB8_2288
; %bb.2287:                             ;   in Loop: Header=BB8_2086 Depth=3
	s_bcnt1_i32_b64 s57, s[92:93]
	v_mov_b32_e32 v3, s57
	v_mov_b32_e32 v4, v2
	ds_add_u64 v0, v[3:4]
	s_trap 2
.LBB8_2288:                             ;   in Loop: Header=BB8_2086 Depth=3
	s_or_b64 exec, exec, s[90:91]
	s_trap 2
	ds_read_b64 v[3:4], v0
	s_waitcnt lgkmcnt(0)
	buffer_load_dword v6, off, s[0:3], s33 offset:132 ; 4-byte Folded Reload
	buffer_load_dword v7, off, s[0:3], s33 offset:136 ; 4-byte Folded Reload
	s_waitcnt vmcnt(1)
	v_add_co_u32_e32 v6, vcc, v6, v52
	s_waitcnt vmcnt(0)
	v_addc_co_u32_e32 v7, vcc, 0, v7, vcc
	buffer_store_dword v6, off, s[0:3], s33 offset:132 ; 4-byte Folded Spill
	s_nop 0
	buffer_store_dword v7, off, s[0:3], s33 offset:136 ; 4-byte Folded Spill
	v_cmp_lt_u64_e32 vcc, v[3:4], v[6:7]
	s_and_saveexec_b64 s[90:91], vcc
	s_cbranch_execz .LBB8_2297
; %bb.2289:                             ;   in Loop: Header=BB8_2086 Depth=3
	s_mov_b32 s57, 0
	s_mov_b64 s[92:93], 0
                                        ; implicit-def: $sgpr94_sgpr95
                                        ; implicit-def: $sgpr30_sgpr31
	s_branch .LBB8_2291
.LBB8_2290:                             ;   in Loop: Header=BB8_2291 Depth=4
	s_or_b64 exec, exec, s[36:37]
	s_and_b64 vcc, exec, vcc
	s_or_b64 s[92:93], vcc, s[92:93]
	s_andn2_b64 s[94:95], s[94:95], exec
	s_and_b64 vcc, s[30:31], exec
	s_or_b64 s[94:95], s[94:95], vcc
	s_andn2_b64 exec, exec, s[92:93]
	s_cbranch_execz .LBB8_2295
.LBB8_2291:                             ;   Parent Loop BB8_47 Depth=1
                                        ;     Parent Loop BB8_2083 Depth=2
                                        ;       Parent Loop BB8_2086 Depth=3
                                        ; =>      This Inner Loop Header: Depth=4
	s_add_i32 s57, s57, 1
	s_cmpk_lg_i32 s57, 0x2710
	s_cselect_b64 s[34:35], -1, 0
	s_and_b64 vcc, exec, s[34:35]
	s_cbranch_vccz .LBB8_2293
; %bb.2292:                             ;   in Loop: Header=BB8_2291 Depth=4
	s_mov_b64 vcc, -1
	s_or_b64 s[30:31], s[30:31], exec
	s_and_saveexec_b64 s[36:37], s[34:35]
	s_cbranch_execz .LBB8_2290
	s_branch .LBB8_2294
.LBB8_2293:                             ;   in Loop: Header=BB8_2291 Depth=4
	s_trap 2
	ds_read_b64 v[3:4], v0
	s_andn2_b64 s[34:35], s[34:35], exec
	s_mov_b32 s57, 0
	s_waitcnt vmcnt(0) lgkmcnt(0)
	flat_load_dword v1, v[3:4] glc
	s_waitcnt vmcnt(0) lgkmcnt(0)
	buffer_wbinvl1_vol
	v_cmp_eq_u32_e32 vcc, 0, v1
	s_and_b64 vcc, vcc, exec
	s_or_b64 s[34:35], s[34:35], vcc
	s_mov_b64 vcc, -1
	s_or_b64 s[30:31], s[30:31], exec
	s_and_saveexec_b64 s[36:37], s[34:35]
	s_cbranch_execz .LBB8_2290
.LBB8_2294:                             ;   in Loop: Header=BB8_2291 Depth=4
	s_sleep 1
	s_trap 2
	ds_read_b64 v[3:4], v0
	s_waitcnt lgkmcnt(0)
	buffer_load_dword v6, off, s[0:3], s33 offset:132 ; 4-byte Folded Reload
	buffer_load_dword v7, off, s[0:3], s33 offset:136 ; 4-byte Folded Reload
	s_andn2_b64 s[30:31], s[30:31], exec
	s_waitcnt vmcnt(0)
	v_cmp_ge_u64_e32 vcc, v[3:4], v[6:7]
	s_orn2_b64 vcc, vcc, exec
	s_branch .LBB8_2290
.LBB8_2295:                             ;   in Loop: Header=BB8_2086 Depth=3
	s_or_b64 exec, exec, s[92:93]
	s_and_saveexec_b64 s[92:93], s[94:95]
	s_xor_b64 s[92:93], exec, s[92:93]
	s_cbranch_execz .LBB8_2297
; %bb.2296:                             ;   in Loop: Header=BB8_2086 Depth=3
	v_mov_b32_e32 v1, 1
	ds_write_b32 v0, v1
	s_trap 2
.LBB8_2297:                             ;   in Loop: Header=BB8_2086 Depth=3
	s_or_b64 exec, exec, s[90:91]
	;;#ASMSTART
	s_wakeup
	;;#ASMEND
.LBB8_2298:                             ;   in Loop: Header=BB8_2086 Depth=3
	s_or_b64 exec, exec, s[88:89]
.LBB8_2299:                             ;   in Loop: Header=BB8_2086 Depth=3
	s_andn2_saveexec_b64 s[40:41], s[40:41]
	s_cbranch_execz .LBB8_2301
; %bb.2300:                             ;   in Loop: Header=BB8_2086 Depth=3
	s_waitcnt vmcnt(0) lgkmcnt(0)
	buffer_wbinvl1_vol
	s_barrier
.LBB8_2301:                             ;   in Loop: Header=BB8_2086 Depth=3
	s_or_b64 exec, exec, s[40:41]
	s_or_b64 exec, exec, s[28:29]
                                        ; implicit-def: $vgpr1
	s_and_saveexec_b64 s[28:29], s[24:25]
	s_xor_b64 s[28:29], exec, s[28:29]
	s_cbranch_execnz .LBB8_2170
.LBB8_2302:                             ;   in Loop: Header=BB8_2086 Depth=3
	s_andn2_saveexec_b64 s[26:27], s[28:29]
	s_cbranch_execz .LBB8_2321
.LBB8_2303:                             ;   in Loop: Header=BB8_2086 Depth=3
	s_and_saveexec_b64 s[28:29], s[58:59]
	s_xor_b64 s[28:29], exec, s[28:29]
	s_cbranch_execz .LBB8_2318
; %bb.2304:                             ;   in Loop: Header=BB8_2086 Depth=3
	s_and_saveexec_b64 s[40:41], s[16:17]
	s_cbranch_execz .LBB8_2317
; %bb.2305:                             ;   in Loop: Header=BB8_2086 Depth=3
	s_mov_b64 s[90:91], exec
	v_mbcnt_lo_u32_b32 v1, s90, 0
	v_mbcnt_hi_u32_b32 v1, s91, v1
	v_cmp_eq_u32_e32 vcc, 0, v1
	;;#ASMSTART
	s_waitcnt lgkmcnt(0) vmcnt(0)
	;;#ASMEND
	s_and_saveexec_b64 s[88:89], vcc
	s_cbranch_execz .LBB8_2307
; %bb.2306:                             ;   in Loop: Header=BB8_2086 Depth=3
	s_bcnt1_i32_b64 s57, s[90:91]
	v_mov_b32_e32 v3, s57
	v_mov_b32_e32 v4, v2
	s_waitcnt lgkmcnt(0)
	ds_add_u64 v0, v[3:4]
	s_trap 2
.LBB8_2307:                             ;   in Loop: Header=BB8_2086 Depth=3
	s_or_b64 exec, exec, s[88:89]
	s_trap 2
	ds_read_b64 v[3:4], v0
	s_waitcnt lgkmcnt(0)
	buffer_load_dword v6, off, s[0:3], s33 offset:132 ; 4-byte Folded Reload
	buffer_load_dword v7, off, s[0:3], s33 offset:136 ; 4-byte Folded Reload
	s_waitcnt vmcnt(0)
	v_add_co_u32_e32 v6, vcc, v6, v52
	v_addc_co_u32_e32 v7, vcc, 0, v7, vcc
	buffer_store_dword v6, off, s[0:3], s33 offset:132 ; 4-byte Folded Spill
	s_nop 0
	buffer_store_dword v7, off, s[0:3], s33 offset:136 ; 4-byte Folded Spill
	v_cmp_lt_u64_e32 vcc, v[3:4], v[6:7]
	s_and_saveexec_b64 s[88:89], vcc
	s_cbranch_execz .LBB8_2316
; %bb.2308:                             ;   in Loop: Header=BB8_2086 Depth=3
	s_mov_b32 s57, 0
	s_mov_b64 s[90:91], 0
                                        ; implicit-def: $sgpr92_sgpr93
                                        ; implicit-def: $sgpr94_sgpr95
	s_branch .LBB8_2310
.LBB8_2309:                             ;   in Loop: Header=BB8_2310 Depth=4
	s_or_b64 exec, exec, s[34:35]
	s_and_b64 vcc, exec, vcc
	s_or_b64 s[90:91], vcc, s[90:91]
	s_andn2_b64 s[92:93], s[92:93], exec
	s_and_b64 vcc, s[94:95], exec
	s_or_b64 s[92:93], s[92:93], vcc
	s_andn2_b64 exec, exec, s[90:91]
	s_cbranch_execz .LBB8_2314
.LBB8_2310:                             ;   Parent Loop BB8_47 Depth=1
                                        ;     Parent Loop BB8_2083 Depth=2
                                        ;       Parent Loop BB8_2086 Depth=3
                                        ; =>      This Inner Loop Header: Depth=4
	s_add_i32 s57, s57, 1
	s_cmpk_lg_i32 s57, 0x2710
	s_cselect_b64 s[30:31], -1, 0
	s_and_b64 vcc, exec, s[30:31]
	s_cbranch_vccz .LBB8_2312
; %bb.2311:                             ;   in Loop: Header=BB8_2310 Depth=4
	s_mov_b64 vcc, -1
	s_or_b64 s[94:95], s[94:95], exec
	s_and_saveexec_b64 s[34:35], s[30:31]
	s_cbranch_execz .LBB8_2309
	s_branch .LBB8_2313
.LBB8_2312:                             ;   in Loop: Header=BB8_2310 Depth=4
	s_trap 2
	ds_read_b64 v[3:4], v0
	s_andn2_b64 s[30:31], s[30:31], exec
	s_mov_b32 s57, 0
	s_waitcnt vmcnt(0) lgkmcnt(0)
	flat_load_dword v1, v[3:4] glc
	s_waitcnt vmcnt(0) lgkmcnt(0)
	buffer_wbinvl1_vol
	v_cmp_eq_u32_e32 vcc, 0, v1
	s_and_b64 vcc, vcc, exec
	s_or_b64 s[30:31], s[30:31], vcc
	s_mov_b64 vcc, -1
	s_or_b64 s[94:95], s[94:95], exec
	s_and_saveexec_b64 s[34:35], s[30:31]
	s_cbranch_execz .LBB8_2309
.LBB8_2313:                             ;   in Loop: Header=BB8_2310 Depth=4
	s_sleep 1
	s_trap 2
	ds_read_b64 v[3:4], v0
	s_waitcnt lgkmcnt(0)
	buffer_load_dword v6, off, s[0:3], s33 offset:132 ; 4-byte Folded Reload
	buffer_load_dword v7, off, s[0:3], s33 offset:136 ; 4-byte Folded Reload
	s_andn2_b64 s[94:95], s[94:95], exec
	s_waitcnt vmcnt(0)
	v_cmp_ge_u64_e32 vcc, v[3:4], v[6:7]
	s_orn2_b64 vcc, vcc, exec
	s_branch .LBB8_2309
.LBB8_2314:                             ;   in Loop: Header=BB8_2086 Depth=3
	s_or_b64 exec, exec, s[90:91]
	s_and_saveexec_b64 s[90:91], s[92:93]
	s_xor_b64 s[90:91], exec, s[90:91]
	s_cbranch_execz .LBB8_2316
; %bb.2315:                             ;   in Loop: Header=BB8_2086 Depth=3
	v_mov_b32_e32 v1, 1
	ds_write_b32 v0, v1
	s_trap 2
.LBB8_2316:                             ;   in Loop: Header=BB8_2086 Depth=3
	s_or_b64 exec, exec, s[88:89]
	;;#ASMSTART
	s_wakeup
	;;#ASMEND
.LBB8_2317:                             ;   in Loop: Header=BB8_2086 Depth=3
	s_or_b64 exec, exec, s[40:41]
.LBB8_2318:                             ;   in Loop: Header=BB8_2086 Depth=3
	s_andn2_saveexec_b64 s[28:29], s[28:29]
	s_cbranch_execz .LBB8_2320
; %bb.2319:                             ;   in Loop: Header=BB8_2086 Depth=3
	;;#ASMSTART
	s_waitcnt lgkmcnt(0) vmcnt(0)
	;;#ASMEND
	s_waitcnt vmcnt(0) lgkmcnt(0)
	s_barrier
.LBB8_2320:                             ;   in Loop: Header=BB8_2086 Depth=3
	s_or_b64 exec, exec, s[28:29]
	v_and_b32_e32 v1, 16, v56
.LBB8_2321:                             ;   in Loop: Header=BB8_2086 Depth=3
	s_or_b64 exec, exec, s[26:27]
	v_cmp_ne_u32_e32 vcc, 0, v1
	s_xor_b64 s[26:27], s[12:13], -1
	s_and_b64 s[28:29], vcc, s[26:27]
	s_and_saveexec_b64 s[26:27], s[28:29]
	s_cbranch_execz .LBB8_2323
; %bb.2322:                             ;   in Loop: Header=BB8_2086 Depth=3
	buffer_load_dword v3, off, s[0:3], s33 offset:220 ; 4-byte Folded Reload
	buffer_load_dword v4, off, s[0:3], s33 offset:224 ; 4-byte Folded Reload
	v_mov_b32_e32 v1, 1
	s_waitcnt vmcnt(0)
	flat_store_dword v[3:4], v1
.LBB8_2323:                             ;   in Loop: Header=BB8_2086 Depth=3
	s_or_b64 exec, exec, s[26:27]
	v_and_b32_e32 v1, 48, v56
	v_cmp_ne_u32_e32 vcc, 0, v1
	s_and_saveexec_b64 s[26:27], vcc
	s_cbranch_execz .LBB8_2085
; %bb.2324:                             ;   in Loop: Header=BB8_2086 Depth=3
	buffer_load_dword v3, off, s[0:3], s33 offset:148 ; 4-byte Folded Reload
	buffer_load_dword v4, off, s[0:3], s33 offset:152 ; 4-byte Folded Reload
	s_waitcnt vmcnt(0)
	v_add_co_u32_e32 v3, vcc, 2, v3
	v_addc_co_u32_e32 v4, vcc, 0, v4, vcc
	buffer_store_dword v3, off, s[0:3], s33 offset:148 ; 4-byte Folded Spill
	s_nop 0
	buffer_store_dword v4, off, s[0:3], s33 offset:152 ; 4-byte Folded Spill
	flat_store_dwordx2 v[40:41], v[3:4]
	s_branch .LBB8_2085
.LBB8_2325:                             ;   in Loop: Header=BB8_2083 Depth=2
	s_or_b64 exec, exec, s[42:43]
	v_cmp_gt_i32_e32 vcc, 2, v1
	s_and_saveexec_b64 s[28:29], vcc
	s_cbranch_execz .LBB8_2401
.LBB8_2326:                             ;   in Loop: Header=BB8_2083 Depth=2
	v_cmp_eq_u32_e64 s[42:43], 0, v1
	s_mov_b64 s[40:41], 0
	s_branch .LBB8_2328
.LBB8_2327:                             ;   in Loop: Header=BB8_2328 Depth=3
	s_or_b64 exec, exec, s[26:27]
	v_add_u32_e32 v28, v0, v28
	s_mov_b64 s[42:43], 0
	s_andn2_b64 exec, exec, s[40:41]
	s_cbranch_execz .LBB8_2402
.LBB8_2328:                             ;   Parent Loop BB8_47 Depth=1
                                        ;     Parent Loop BB8_2083 Depth=2
                                        ; =>    This Loop Header: Depth=3
                                        ;         Child Loop BB8_2334 Depth 4
                                        ;         Child Loop BB8_2362 Depth 4
	;; [unrolled: 1-line block ×3, first 2 shown]
	v_sub_u32_e32 v1, v5, v28
	v_min_i32_e32 v0, v0, v1
	v_and_b32_e32 v1, 12, v56
	v_cmp_ne_u32_e32 vcc, 0, v1
	s_and_saveexec_b64 s[44:45], vcc
	s_cbranch_execz .LBB8_2354
; %bb.2329:                             ;   in Loop: Header=BB8_2328 Depth=3
	buffer_load_dword v6, off, s[0:3], s33 offset:148 ; 4-byte Folded Reload
	buffer_load_dword v7, off, s[0:3], s33 offset:152 ; 4-byte Folded Reload
	s_waitcnt vmcnt(0)
	v_and_b32_e32 v12, 8, v56
	s_waitcnt lgkmcnt(0)
	v_add_co_u32_e32 v3, vcc, v46, v12
	v_addc_co_u32_e32 v4, vcc, 0, v47, vcc
	v_add_co_u32_e32 v6, vcc, 2, v6
	v_addc_co_u32_e32 v7, vcc, 0, v7, vcc
	v_cmp_lt_u64_e32 vcc, v[3:4], v[6:7]
	s_and_saveexec_b64 s[78:79], vcc
	s_cbranch_execz .LBB8_2341
; %bb.2330:                             ;   in Loop: Header=BB8_2328 Depth=3
	v_and_b32_e32 v1, 64, v56
	s_mov_b32 s47, 0
	v_cmp_eq_u32_e32 vcc, 0, v1
	s_mov_b64 s[88:89], 0
                                        ; implicit-def: $sgpr90_sgpr91
                                        ; implicit-def: $sgpr92_sgpr93
                                        ; implicit-def: $sgpr94_sgpr95
	s_branch .LBB8_2334
.LBB8_2331:                             ;   in Loop: Header=BB8_2334 Depth=4
	s_waitcnt vmcnt(0) lgkmcnt(0)
	v_add_co_u32_e64 v3, s[26:27], v46, v12
	v_addc_co_u32_e64 v4, s[26:27], 0, v47, s[26:27]
	v_cmp_ge_u64_e64 s[26:27], v[3:4], v[6:7]
	s_or_b64 s[36:37], s[36:37], exec
	s_orn2_b64 s[34:35], s[26:27], exec
.LBB8_2332:                             ;   in Loop: Header=BB8_2334 Depth=4
	s_or_b64 exec, exec, s[48:49]
	s_andn2_b64 s[26:27], s[94:95], exec
	s_and_b64 s[94:95], s[36:37], exec
	s_or_b64 s[94:95], s[26:27], s[94:95]
	s_andn2_b64 s[26:27], s[92:93], exec
	s_and_b64 s[92:93], s[34:35], exec
	s_or_b64 s[92:93], s[26:27], s[92:93]
.LBB8_2333:                             ;   in Loop: Header=BB8_2334 Depth=4
	s_or_b64 exec, exec, s[30:31]
	s_and_b64 s[26:27], exec, s[92:93]
	s_or_b64 s[88:89], s[26:27], s[88:89]
	s_andn2_b64 s[26:27], s[90:91], exec
	s_and_b64 s[90:91], s[94:95], exec
	s_or_b64 s[90:91], s[26:27], s[90:91]
	s_andn2_b64 exec, exec, s[88:89]
	s_cbranch_execz .LBB8_2338
.LBB8_2334:                             ;   Parent Loop BB8_47 Depth=1
                                        ;     Parent Loop BB8_2083 Depth=2
                                        ;       Parent Loop BB8_2328 Depth=3
                                        ; =>      This Inner Loop Header: Depth=4
	s_sleep 1
	s_waitcnt vmcnt(0) lgkmcnt(0)
	flat_load_dwordx2 v[46:47], v[40:41] glc
	s_or_b64 s[94:95], s[94:95], exec
	s_or_b64 s[92:93], s[92:93], exec
                                        ; implicit-def: $vgpr1
	s_and_saveexec_b64 s[30:31], vcc
	s_cbranch_execz .LBB8_2333
; %bb.2335:                             ;   in Loop: Header=BB8_2334 Depth=4
	s_cmpk_lt_i32 s47, 0x270f
	s_cselect_b64 s[38:39], -1, 0
	s_cmpk_gt_i32 s47, 0x270e
	s_mov_b64 s[34:35], -1
	s_cbranch_scc0 .LBB8_2337
; %bb.2336:                             ;   in Loop: Header=BB8_2334 Depth=4
	s_trap 2
	ds_read_b64 v[3:4], v0
	s_andn2_b64 s[38:39], s[38:39], exec
	s_mov_b32 s47, 0
	s_mov_b64 s[36:37], 0
	s_waitcnt vmcnt(0) lgkmcnt(0)
	flat_load_dword v1, v[3:4] glc
	s_waitcnt vmcnt(0) lgkmcnt(0)
	buffer_wbinvl1_vol
	v_cmp_eq_u32_e64 s[26:27], 0, v1
	s_and_b64 s[26:27], s[26:27], exec
	s_or_b64 s[38:39], s[38:39], s[26:27]
	s_and_saveexec_b64 s[48:49], s[38:39]
	s_cbranch_execz .LBB8_2332
	s_branch .LBB8_2331
.LBB8_2337:                             ;   in Loop: Header=BB8_2334 Depth=4
	s_add_i32 s47, s47, 1
	s_mov_b64 s[36:37], -1
                                        ; implicit-def: $vgpr1
	s_and_saveexec_b64 s[48:49], s[38:39]
	s_cbranch_execz .LBB8_2332
	s_branch .LBB8_2331
.LBB8_2338:                             ;   in Loop: Header=BB8_2328 Depth=3
	s_or_b64 exec, exec, s[88:89]
	s_xor_b64 s[26:27], s[90:91], -1
	s_and_saveexec_b64 s[88:89], s[26:27]
	s_xor_b64 s[26:27], exec, s[88:89]
	s_cbranch_execz .LBB8_2340
; %bb.2339:                             ;   in Loop: Header=BB8_2328 Depth=3
	v_or_b32_e32 v56, 64, v56
	s_waitcnt lgkmcnt(0)
	ds_write_b32 v0, v1
	s_trap 2
.LBB8_2340:                             ;   in Loop: Header=BB8_2328 Depth=3
	s_or_b64 exec, exec, s[26:27]
.LBB8_2341:                             ;   in Loop: Header=BB8_2328 Depth=3
	s_or_b64 exec, exec, s[78:79]
	v_and_b32_e32 v1, 0x108, v56
	v_cmp_ne_u32_e32 vcc, s87, v1
	;;#ASMSTART
	s_wakeup
	;;#ASMEND
                                        ; implicit-def: $vgpr8_vgpr9
	s_and_saveexec_b64 s[26:27], vcc
	s_xor_b64 s[26:27], exec, s[26:27]
	s_cbranch_execz .LBB8_2343
; %bb.2342:                             ;   in Loop: Header=BB8_2328 Depth=3
	buffer_load_dword v3, off, s[0:3], s33 offset:148 ; 4-byte Folded Reload
	buffer_load_dword v4, off, s[0:3], s33 offset:152 ; 4-byte Folded Reload
	v_mov_b32_e32 v9, v2
	s_waitcnt vmcnt(0)
	v_and_b32_e32 v8, 7, v3
                                        ; implicit-def: $vgpr3_vgpr4
                                        ; kill: killed $vgpr3_vgpr4
.LBB8_2343:                             ;   in Loop: Header=BB8_2328 Depth=3
	s_andn2_saveexec_b64 s[26:27], s[26:27]
	s_cbranch_execz .LBB8_2345
; %bb.2344:                             ;   in Loop: Header=BB8_2328 Depth=3
	buffer_load_dword v3, off, s[0:3], s33 offset:148 ; 4-byte Folded Reload
	buffer_load_dword v4, off, s[0:3], s33 offset:152 ; 4-byte Folded Reload
	;; [unrolled: 1-line block ×6, first 2 shown]
	v_ashrrev_i32_e32 v1, 31, v0
	v_lshlrev_b64 v[10:11], 1, v[0:1]
	v_mov_b32_e32 v9, v2
	s_waitcnt vmcnt(0)
	v_and_b32_e32 v8, 7, v3
	v_mad_u64_u32 v[3:4], s[78:79], v8, 24, v[13:14]
	flat_store_dwordx2 v[3:4], v[10:11] offset:8
.LBB8_2345:                             ;   in Loop: Header=BB8_2328 Depth=3
	s_or_b64 exec, exec, s[26:27]
	v_and_b32_e32 v1, 0x100, v56
	v_cmp_ne_u32_e32 vcc, 0, v1
	s_mov_b64 s[26:27], -1
                                        ; implicit-def: $vgpr3_vgpr4
	s_and_saveexec_b64 s[78:79], vcc
	s_cbranch_execz .LBB8_2349
; %bb.2346:                             ;   in Loop: Header=BB8_2328 Depth=3
	buffer_load_dword v13, off, s[0:3], s33 offset:204 ; 4-byte Folded Reload
	buffer_load_dword v14, off, s[0:3], s33 offset:208 ; 4-byte Folded Reload
	;; [unrolled: 1-line block ×4, first 2 shown]
	s_waitcnt vmcnt(0)
	v_mad_u64_u32 v[10:11], s[26:27], v8, 24, v[13:14]
	v_mov_b32_e32 v1, v11
	v_mad_u64_u32 v[3:4], s[26:27], v9, 24, v[1:2]
	v_mov_b32_e32 v11, v3
	flat_load_dword v1, v[10:11]
                                        ; implicit-def: $vgpr3_vgpr4
	s_waitcnt vmcnt(0) lgkmcnt(0)
	v_cmp_ne_u32_e32 vcc, 1, v1
	v_cmp_eq_u32_e64 s[26:27], 1, v1
	s_and_saveexec_b64 s[88:89], s[26:27]
	s_cbranch_execz .LBB8_2348
; %bb.2347:                             ;   in Loop: Header=BB8_2328 Depth=3
	flat_load_dword v3, v[10:11] offset:4 glc
	s_waitcnt vmcnt(0) lgkmcnt(0)
	v_ashrrev_i32_e32 v4, 31, v3
	v_lshrrev_b64 v[3:4], 1, v[3:4]
.LBB8_2348:                             ;   in Loop: Header=BB8_2328 Depth=3
	s_or_b64 exec, exec, s[88:89]
	s_orn2_b64 s[26:27], vcc, exec
.LBB8_2349:                             ;   in Loop: Header=BB8_2328 Depth=3
	s_or_b64 exec, exec, s[78:79]
	s_and_saveexec_b64 s[78:79], s[26:27]
	s_cbranch_execz .LBB8_2351
; %bb.2350:                             ;   in Loop: Header=BB8_2328 Depth=3
	buffer_load_dword v3, off, s[0:3], s33 offset:228 ; 4-byte Folded Reload
	buffer_load_dword v4, off, s[0:3], s33 offset:232 ; 4-byte Folded Reload
	s_waitcnt vmcnt(0)
	v_mul_lo_u32 v1, v9, v3
	v_mul_lo_u32 v9, v8, v4
	v_mad_u64_u32 v[3:4], s[26:27], v8, v3, 0
	v_add3_u32 v4, v4, v9, v1
.LBB8_2351:                             ;   in Loop: Header=BB8_2328 Depth=3
	s_or_b64 exec, exec, s[78:79]
	v_cmp_eq_u32_e32 vcc, 0, v12
	v_mov_b32_e32 v1, 0xd0
	v_mov_b32_e32 v8, 0x88
	v_cndmask_b32_e32 v1, v1, v8, vcc
	buffer_load_dword v8, off, s[0:3], s33 offset:196 ; 4-byte Folded Reload
	buffer_load_dword v9, off, s[0:3], s33 offset:200 ; 4-byte Folded Reload
	v_lshlrev_b64 v[3:4], 1, v[3:4]
	v_add_u32_e32 v1, v0, v1
	s_waitcnt vmcnt(0)
	v_add_co_u32_e32 v3, vcc, v8, v3
	v_addc_co_u32_e32 v4, vcc, v9, v4, vcc
	ds_write_b64 v1, v[3:4] offset:584
	v_and_b32_e32 v1, 0x2000, v56
	v_cmp_ne_u32_e32 vcc, 0, v1
	s_and_saveexec_b64 s[26:27], vcc
	s_cbranch_execz .LBB8_2353
; %bb.2352:                             ;   in Loop: Header=BB8_2328 Depth=3
	ds_read_b64 v[3:4], v0 offset:872
	s_waitcnt lgkmcnt(0)
	v_add_co_u32_e32 v3, vcc, 1, v3
	v_addc_co_u32_e32 v4, vcc, 0, v4, vcc
	ds_write_b64 v0, v[3:4] offset:872
.LBB8_2353:                             ;   in Loop: Header=BB8_2328 Depth=3
	s_or_b64 exec, exec, s[26:27]
	buffer_store_dword v6, off, s[0:3], s33 offset:148 ; 4-byte Folded Spill
	s_nop 0
	buffer_store_dword v7, off, s[0:3], s33 offset:152 ; 4-byte Folded Spill
.LBB8_2354:                             ;   in Loop: Header=BB8_2328 Depth=3
	s_or_b64 exec, exec, s[44:45]
	s_xor_b64 s[26:27], s[42:43], -1
	s_and_b64 s[26:27], exec, s[26:27]
	s_or_b64 s[40:41], s[26:27], s[40:41]
	s_and_saveexec_b64 s[26:27], s[10:11]
	s_cbranch_execz .LBB8_2373
; %bb.2355:                             ;   in Loop: Header=BB8_2328 Depth=3
	s_and_saveexec_b64 s[42:43], s[58:59]
	s_xor_b64 s[42:43], exec, s[42:43]
	s_cbranch_execz .LBB8_2370
; %bb.2356:                             ;   in Loop: Header=BB8_2328 Depth=3
	s_and_saveexec_b64 s[44:45], s[16:17]
	s_cbranch_execz .LBB8_2369
; %bb.2357:                             ;   in Loop: Header=BB8_2328 Depth=3
	s_mov_b64 s[88:89], exec
	v_mbcnt_lo_u32_b32 v1, s88, 0
	v_mbcnt_hi_u32_b32 v1, s89, v1
	v_cmp_eq_u32_e32 vcc, 0, v1
	s_waitcnt vmcnt(0) lgkmcnt(0)
	buffer_wbinvl1_vol
	s_and_saveexec_b64 s[78:79], vcc
	s_cbranch_execz .LBB8_2359
; %bb.2358:                             ;   in Loop: Header=BB8_2328 Depth=3
	s_bcnt1_i32_b64 s47, s[88:89]
	v_mov_b32_e32 v3, s47
	v_mov_b32_e32 v4, v2
	ds_add_u64 v0, v[3:4]
	s_trap 2
.LBB8_2359:                             ;   in Loop: Header=BB8_2328 Depth=3
	s_or_b64 exec, exec, s[78:79]
	s_trap 2
	ds_read_b64 v[3:4], v0
	s_waitcnt lgkmcnt(0)
	buffer_load_dword v6, off, s[0:3], s33 offset:132 ; 4-byte Folded Reload
	buffer_load_dword v7, off, s[0:3], s33 offset:136 ; 4-byte Folded Reload
	s_waitcnt vmcnt(1)
	v_add_co_u32_e32 v6, vcc, v6, v52
	s_waitcnt vmcnt(0)
	v_addc_co_u32_e32 v7, vcc, 0, v7, vcc
	buffer_store_dword v6, off, s[0:3], s33 offset:132 ; 4-byte Folded Spill
	s_nop 0
	buffer_store_dword v7, off, s[0:3], s33 offset:136 ; 4-byte Folded Spill
	v_cmp_lt_u64_e32 vcc, v[3:4], v[6:7]
	s_and_saveexec_b64 s[78:79], vcc
	s_cbranch_execz .LBB8_2368
; %bb.2360:                             ;   in Loop: Header=BB8_2328 Depth=3
	s_mov_b32 s47, 0
	s_mov_b64 s[88:89], 0
                                        ; implicit-def: $sgpr90_sgpr91
                                        ; implicit-def: $sgpr92_sgpr93
	s_branch .LBB8_2362
.LBB8_2361:                             ;   in Loop: Header=BB8_2362 Depth=4
	s_or_b64 exec, exec, s[30:31]
	s_and_b64 s[94:95], exec, vcc
	s_or_b64 s[88:89], s[94:95], s[88:89]
	s_andn2_b64 s[90:91], s[90:91], exec
	s_and_b64 s[94:95], s[92:93], exec
	s_or_b64 s[90:91], s[90:91], s[94:95]
	s_andn2_b64 exec, exec, s[88:89]
	s_cbranch_execz .LBB8_2366
.LBB8_2362:                             ;   Parent Loop BB8_47 Depth=1
                                        ;     Parent Loop BB8_2083 Depth=2
                                        ;       Parent Loop BB8_2328 Depth=3
                                        ; =>      This Inner Loop Header: Depth=4
	s_add_i32 s47, s47, 1
	s_cmpk_lg_i32 s47, 0x2710
	s_cselect_b64 s[94:95], -1, 0
	s_and_b64 vcc, exec, s[94:95]
	s_cbranch_vccz .LBB8_2364
; %bb.2363:                             ;   in Loop: Header=BB8_2362 Depth=4
	s_mov_b64 vcc, -1
	s_or_b64 s[92:93], s[92:93], exec
	s_and_saveexec_b64 s[30:31], s[94:95]
	s_cbranch_execz .LBB8_2361
	s_branch .LBB8_2365
.LBB8_2364:                             ;   in Loop: Header=BB8_2362 Depth=4
	s_trap 2
	ds_read_b64 v[3:4], v0
	s_andn2_b64 s[94:95], s[94:95], exec
	s_mov_b32 s47, 0
	s_waitcnt vmcnt(0) lgkmcnt(0)
	flat_load_dword v1, v[3:4] glc
	s_waitcnt vmcnt(0) lgkmcnt(0)
	buffer_wbinvl1_vol
	v_cmp_eq_u32_e32 vcc, 0, v1
	s_and_b64 vcc, vcc, exec
	s_or_b64 s[94:95], s[94:95], vcc
	s_mov_b64 vcc, -1
	s_or_b64 s[92:93], s[92:93], exec
	s_and_saveexec_b64 s[30:31], s[94:95]
	s_cbranch_execz .LBB8_2361
.LBB8_2365:                             ;   in Loop: Header=BB8_2362 Depth=4
	s_sleep 1
	s_trap 2
	ds_read_b64 v[3:4], v0
	s_waitcnt lgkmcnt(0)
	buffer_load_dword v6, off, s[0:3], s33 offset:132 ; 4-byte Folded Reload
	buffer_load_dword v7, off, s[0:3], s33 offset:136 ; 4-byte Folded Reload
	s_andn2_b64 s[92:93], s[92:93], exec
	s_waitcnt vmcnt(0)
	v_cmp_ge_u64_e32 vcc, v[3:4], v[6:7]
	s_orn2_b64 vcc, vcc, exec
	s_branch .LBB8_2361
.LBB8_2366:                             ;   in Loop: Header=BB8_2328 Depth=3
	s_or_b64 exec, exec, s[88:89]
	s_and_saveexec_b64 s[88:89], s[90:91]
	s_xor_b64 s[88:89], exec, s[88:89]
	s_cbranch_execz .LBB8_2368
; %bb.2367:                             ;   in Loop: Header=BB8_2328 Depth=3
	v_mov_b32_e32 v1, 1
	ds_write_b32 v0, v1
	s_trap 2
.LBB8_2368:                             ;   in Loop: Header=BB8_2328 Depth=3
	s_or_b64 exec, exec, s[78:79]
	;;#ASMSTART
	s_wakeup
	;;#ASMEND
.LBB8_2369:                             ;   in Loop: Header=BB8_2328 Depth=3
	s_or_b64 exec, exec, s[44:45]
.LBB8_2370:                             ;   in Loop: Header=BB8_2328 Depth=3
	s_andn2_saveexec_b64 s[42:43], s[42:43]
	s_cbranch_execz .LBB8_2372
; %bb.2371:                             ;   in Loop: Header=BB8_2328 Depth=3
	s_waitcnt vmcnt(0) lgkmcnt(0)
	buffer_wbinvl1_vol
	s_barrier
.LBB8_2372:                             ;   in Loop: Header=BB8_2328 Depth=3
	s_or_b64 exec, exec, s[42:43]
.LBB8_2373:                             ;   in Loop: Header=BB8_2328 Depth=3
	s_or_b64 exec, exec, s[26:27]
                                        ; implicit-def: $vgpr1
	s_and_saveexec_b64 s[26:27], s[24:25]
	s_xor_b64 s[26:27], exec, s[26:27]
	s_cbranch_execz .LBB8_2377
; %bb.2374:                             ;   in Loop: Header=BB8_2328 Depth=3
	s_trap 2
	ds_read_b32 v1, v0
	v_cmp_lt_i32_e32 vcc, 0, v0
	v_and_b32_e32 v3, 16, v56
	s_waitcnt lgkmcnt(0)
	v_readfirstlane_b32 s42, v1
	s_cmp_eq_u32 s42, 0
	s_cselect_b64 s[42:43], -1, 0
	s_and_b64 s[42:43], vcc, s[42:43]
	v_cmp_ne_u32_e32 vcc, 0, v3
	v_and_b32_e32 v1, 16, v56
	s_and_b64 s[44:45], vcc, s[42:43]
	s_and_saveexec_b64 s[42:43], s[44:45]
	s_cbranch_execz .LBB8_2376
; %bb.2375:                             ;   in Loop: Header=BB8_2328 Depth=3
	v_mov_b32_e32 v1, 1
	s_waitcnt vmcnt(0)
	buffer_wbinvl1_vol
.LBB8_2376:                             ;   in Loop: Header=BB8_2328 Depth=3
	s_or_b64 exec, exec, s[42:43]
	s_andn2_saveexec_b64 s[26:27], s[26:27]
	s_cbranch_execz .LBB8_2396
	s_branch .LBB8_2378
.LBB8_2377:                             ;   in Loop: Header=BB8_2328 Depth=3
	s_andn2_saveexec_b64 s[26:27], s[26:27]
	s_cbranch_execz .LBB8_2396
.LBB8_2378:                             ;   in Loop: Header=BB8_2328 Depth=3
	s_and_saveexec_b64 s[42:43], s[58:59]
	s_xor_b64 s[42:43], exec, s[42:43]
	s_cbranch_execz .LBB8_2393
; %bb.2379:                             ;   in Loop: Header=BB8_2328 Depth=3
	s_and_saveexec_b64 s[44:45], s[16:17]
	s_cbranch_execz .LBB8_2392
; %bb.2380:                             ;   in Loop: Header=BB8_2328 Depth=3
	s_mov_b64 s[88:89], exec
	v_mbcnt_lo_u32_b32 v1, s88, 0
	v_mbcnt_hi_u32_b32 v1, s89, v1
	v_cmp_eq_u32_e32 vcc, 0, v1
	;;#ASMSTART
	s_waitcnt lgkmcnt(0) vmcnt(0)
	;;#ASMEND
	s_and_saveexec_b64 s[78:79], vcc
	s_cbranch_execz .LBB8_2382
; %bb.2381:                             ;   in Loop: Header=BB8_2328 Depth=3
	s_bcnt1_i32_b64 s47, s[88:89]
	v_mov_b32_e32 v3, s47
	v_mov_b32_e32 v4, v2
	s_waitcnt lgkmcnt(0)
	ds_add_u64 v0, v[3:4]
	s_trap 2
.LBB8_2382:                             ;   in Loop: Header=BB8_2328 Depth=3
	s_or_b64 exec, exec, s[78:79]
	s_trap 2
	ds_read_b64 v[3:4], v0
	s_waitcnt lgkmcnt(0)
	buffer_load_dword v6, off, s[0:3], s33 offset:132 ; 4-byte Folded Reload
	buffer_load_dword v7, off, s[0:3], s33 offset:136 ; 4-byte Folded Reload
	s_waitcnt vmcnt(0)
	v_add_co_u32_e32 v6, vcc, v6, v52
	v_addc_co_u32_e32 v7, vcc, 0, v7, vcc
	buffer_store_dword v6, off, s[0:3], s33 offset:132 ; 4-byte Folded Spill
	s_nop 0
	buffer_store_dword v7, off, s[0:3], s33 offset:136 ; 4-byte Folded Spill
	v_cmp_lt_u64_e32 vcc, v[3:4], v[6:7]
	s_and_saveexec_b64 s[78:79], vcc
	s_cbranch_execz .LBB8_2391
; %bb.2383:                             ;   in Loop: Header=BB8_2328 Depth=3
	s_mov_b32 s47, 0
	s_mov_b64 s[88:89], 0
                                        ; implicit-def: $sgpr90_sgpr91
                                        ; implicit-def: $sgpr92_sgpr93
	s_branch .LBB8_2385
.LBB8_2384:                             ;   in Loop: Header=BB8_2385 Depth=4
	s_or_b64 exec, exec, s[30:31]
	s_and_b64 s[94:95], exec, vcc
	s_or_b64 s[88:89], s[94:95], s[88:89]
	s_andn2_b64 s[90:91], s[90:91], exec
	s_and_b64 s[94:95], s[92:93], exec
	s_or_b64 s[90:91], s[90:91], s[94:95]
	s_andn2_b64 exec, exec, s[88:89]
	s_cbranch_execz .LBB8_2389
.LBB8_2385:                             ;   Parent Loop BB8_47 Depth=1
                                        ;     Parent Loop BB8_2083 Depth=2
                                        ;       Parent Loop BB8_2328 Depth=3
                                        ; =>      This Inner Loop Header: Depth=4
	s_add_i32 s47, s47, 1
	s_cmpk_lg_i32 s47, 0x2710
	s_cselect_b64 s[94:95], -1, 0
	s_and_b64 vcc, exec, s[94:95]
	s_cbranch_vccz .LBB8_2387
; %bb.2386:                             ;   in Loop: Header=BB8_2385 Depth=4
	s_mov_b64 vcc, -1
	s_or_b64 s[92:93], s[92:93], exec
	s_and_saveexec_b64 s[30:31], s[94:95]
	s_cbranch_execz .LBB8_2384
	s_branch .LBB8_2388
.LBB8_2387:                             ;   in Loop: Header=BB8_2385 Depth=4
	s_trap 2
	ds_read_b64 v[3:4], v0
	s_andn2_b64 s[94:95], s[94:95], exec
	s_mov_b32 s47, 0
	s_waitcnt vmcnt(0) lgkmcnt(0)
	flat_load_dword v1, v[3:4] glc
	s_waitcnt vmcnt(0) lgkmcnt(0)
	buffer_wbinvl1_vol
	v_cmp_eq_u32_e32 vcc, 0, v1
	s_and_b64 vcc, vcc, exec
	s_or_b64 s[94:95], s[94:95], vcc
	s_mov_b64 vcc, -1
	s_or_b64 s[92:93], s[92:93], exec
	s_and_saveexec_b64 s[30:31], s[94:95]
	s_cbranch_execz .LBB8_2384
.LBB8_2388:                             ;   in Loop: Header=BB8_2385 Depth=4
	s_sleep 1
	s_trap 2
	ds_read_b64 v[3:4], v0
	s_waitcnt lgkmcnt(0)
	buffer_load_dword v6, off, s[0:3], s33 offset:132 ; 4-byte Folded Reload
	buffer_load_dword v7, off, s[0:3], s33 offset:136 ; 4-byte Folded Reload
	s_andn2_b64 s[92:93], s[92:93], exec
	s_waitcnt vmcnt(0)
	v_cmp_ge_u64_e32 vcc, v[3:4], v[6:7]
	s_orn2_b64 vcc, vcc, exec
	s_branch .LBB8_2384
.LBB8_2389:                             ;   in Loop: Header=BB8_2328 Depth=3
	s_or_b64 exec, exec, s[88:89]
	s_and_saveexec_b64 s[88:89], s[90:91]
	s_xor_b64 s[88:89], exec, s[88:89]
	s_cbranch_execz .LBB8_2391
; %bb.2390:                             ;   in Loop: Header=BB8_2328 Depth=3
	v_mov_b32_e32 v1, 1
	ds_write_b32 v0, v1
	s_trap 2
.LBB8_2391:                             ;   in Loop: Header=BB8_2328 Depth=3
	s_or_b64 exec, exec, s[78:79]
	;;#ASMSTART
	s_wakeup
	;;#ASMEND
.LBB8_2392:                             ;   in Loop: Header=BB8_2328 Depth=3
	s_or_b64 exec, exec, s[44:45]
.LBB8_2393:                             ;   in Loop: Header=BB8_2328 Depth=3
	s_andn2_saveexec_b64 s[42:43], s[42:43]
	s_cbranch_execz .LBB8_2395
; %bb.2394:                             ;   in Loop: Header=BB8_2328 Depth=3
	;;#ASMSTART
	s_waitcnt lgkmcnt(0) vmcnt(0)
	;;#ASMEND
	s_waitcnt vmcnt(0) lgkmcnt(0)
	s_barrier
.LBB8_2395:                             ;   in Loop: Header=BB8_2328 Depth=3
	s_or_b64 exec, exec, s[42:43]
	v_and_b32_e32 v1, 16, v56
.LBB8_2396:                             ;   in Loop: Header=BB8_2328 Depth=3
	s_or_b64 exec, exec, s[26:27]
	v_cmp_ne_u32_e32 vcc, 0, v1
	s_xor_b64 s[26:27], s[12:13], -1
	s_and_b64 s[42:43], vcc, s[26:27]
	s_and_saveexec_b64 s[26:27], s[42:43]
	s_cbranch_execz .LBB8_2398
; %bb.2397:                             ;   in Loop: Header=BB8_2328 Depth=3
	buffer_load_dword v3, off, s[0:3], s33 offset:220 ; 4-byte Folded Reload
	buffer_load_dword v4, off, s[0:3], s33 offset:224 ; 4-byte Folded Reload
	v_mov_b32_e32 v1, 1
	s_waitcnt vmcnt(0)
	flat_store_dword v[3:4], v1
.LBB8_2398:                             ;   in Loop: Header=BB8_2328 Depth=3
	s_or_b64 exec, exec, s[26:27]
	v_and_b32_e32 v1, 48, v56
	v_cmp_ne_u32_e32 vcc, 0, v1
	s_and_saveexec_b64 s[26:27], vcc
	s_cbranch_execz .LBB8_2327
; %bb.2399:                             ;   in Loop: Header=BB8_2328 Depth=3
	buffer_load_dword v3, off, s[0:3], s33 offset:148 ; 4-byte Folded Reload
	buffer_load_dword v4, off, s[0:3], s33 offset:152 ; 4-byte Folded Reload
	s_waitcnt vmcnt(0)
	v_add_co_u32_e32 v3, vcc, 2, v3
	v_addc_co_u32_e32 v4, vcc, 0, v4, vcc
	buffer_store_dword v3, off, s[0:3], s33 offset:148 ; 4-byte Folded Spill
	s_nop 0
	buffer_store_dword v4, off, s[0:3], s33 offset:152 ; 4-byte Folded Spill
	flat_store_dwordx2 v[40:41], v[3:4]
	s_branch .LBB8_2327
.LBB8_2400:                             ;   in Loop: Header=BB8_2083 Depth=2
	s_or_b64 exec, exec, s[44:45]
	s_or_b64 exec, exec, s[42:43]
	v_cmp_gt_i32_e32 vcc, 2, v1
	s_and_saveexec_b64 s[28:29], vcc
	s_cbranch_execnz .LBB8_2326
.LBB8_2401:                             ;   in Loop: Header=BB8_2083 Depth=2
	s_or_b64 exec, exec, s[28:29]
	s_add_i32 s26, s46, 1
	s_cmp_eq_u32 s46, s86
	s_cbranch_scc0 .LBB8_2403
	s_branch .LBB8_2404
.LBB8_2402:                             ;   in Loop: Header=BB8_2083 Depth=2
	s_or_b64 exec, exec, s[40:41]
	s_or_b64 exec, exec, s[28:29]
	s_add_i32 s26, s46, 1
	s_cmp_eq_u32 s46, s86
	s_cbranch_scc1 .LBB8_2404
.LBB8_2403:                             ;   in Loop: Header=BB8_2083 Depth=2
	s_mov_b32 s46, s26
	s_branch .LBB8_2083
.LBB8_2404:                             ;   in Loop: Header=BB8_47 Depth=1
	buffer_load_dword v3, off, s[0:3], s33 offset:328 ; 4-byte Folded Reload
	buffer_load_dword v4, off, s[0:3], s33 offset:332 ; 4-byte Folded Reload
	s_waitcnt vmcnt(0)
	v_mul_lo_u32 v1, v3, s85
	v_mul_lo_u32 v0, v4, s84
	v_mad_u64_u32 v[6:7], s[26:27], v3, s84, 0
	v_add3_u32 v7, v7, v1, v0
	buffer_load_dword v0, off, s[0:3], s33 offset:320 ; 4-byte Folded Reload
	buffer_load_dword v1, off, s[0:3], s33 offset:324 ; 4-byte Folded Reload
	s_waitcnt vmcnt(0)
	v_sub_co_u32_e32 v0, vcc, v0, v6
	v_subb_co_u32_e32 v1, vcc, v1, v7, vcc
	v_cmp_lt_i64_e32 vcc, v[3:4], v[0:1]
	v_mov_b32_e32 v1, 0
	v_cndmask_b32_e32 v0, v0, v3, vcc
	v_max_i32_e32 v30, 0, v0
	v_add_u32_e32 v3, 31, v30
	v_lshrrev_b32_e32 v3, 1, v3
	v_and_b32_e32 v3, 0x3ffffff0, v3
	v_cmp_lt_i32_e32 vcc, 0, v0
	v_max_i32_e32 v5, s69, v3
	s_and_b64 s[26:27], s[74:75], vcc
	v_mov_b32_e32 v0, 0
	s_and_saveexec_b64 s[28:29], s[26:27]
	s_cbranch_execz .LBB8_2573
; %bb.2405:                             ;   in Loop: Header=BB8_47 Depth=1
	buffer_load_dword v0, off, s[0:3], s33 offset:256 ; 4-byte Folded Reload
	buffer_load_dword v1, off, s[0:3], s33 offset:260 ; 4-byte Folded Reload
	s_mov_b32 s46, 1
	s_mov_b64 s[42:43], -1
	s_mov_b64 s[40:41], 0
	s_waitcnt vmcnt(0)
	v_add_co_u32_e32 v3, vcc, v6, v0
	v_addc_co_u32_e32 v4, vcc, v7, v1, vcc
	v_lshlrev_b64 v[36:37], 1, v[3:4]
	v_mov_b32_e32 v0, 0
	buffer_store_dword v36, off, s[0:3], s33 offset:244 ; 4-byte Folded Spill
	s_nop 0
	buffer_store_dword v37, off, s[0:3], s33 offset:248 ; 4-byte Folded Spill
	s_branch .LBB8_2407
.LBB8_2406:                             ;   in Loop: Header=BB8_2407 Depth=2
	s_or_b64 exec, exec, s[26:27]
	v_add_u32_e32 v0, v5, v0
	v_cmp_ge_i32_e32 vcc, v0, v30
	s_xor_b64 s[26:27], s[42:43], -1
	s_or_b64 s[26:27], s[26:27], vcc
	s_and_b64 s[26:27], exec, s[26:27]
	s_or_b64 s[40:41], s[26:27], s[40:41]
	s_mov_b64 s[42:43], 0
	v_mov_b32_e32 v1, s46
	s_mov_b32 s46, 2
	s_andn2_b64 exec, exec, s[40:41]
	s_cbranch_execz .LBB8_2572
.LBB8_2407:                             ;   Parent Loop BB8_47 Depth=1
                                        ; =>  This Loop Header: Depth=2
                                        ;       Child Loop BB8_2415 Depth 3
                                        ;       Child Loop BB8_2439 Depth 3
	;; [unrolled: 1-line block ×9, first 2 shown]
	s_and_saveexec_b64 s[26:27], s[4:5]
	s_cbranch_execz .LBB8_2409
; %bb.2408:                             ;   in Loop: Header=BB8_2407 Depth=2
	s_trap 2
	s_waitcnt vmcnt(0)
	ds_read_b128 v[6:9], v0
	v_ashrrev_i32_e32 v1, 31, v0
	v_lshlrev_b64 v[3:4], 1, v[0:1]
	s_waitcnt lgkmcnt(0)
	v_add_co_u32_e32 v6, vcc, v6, v36
	v_addc_co_u32_e32 v7, vcc, v7, v37, vcc
	v_add_co_u32_e32 v6, vcc, v6, v3
	v_addc_co_u32_e32 v7, vcc, v7, v4, vcc
	v_add_co_u32_e32 v1, vcc, v8, v36
	ds_write_b64 v0, v[6:7]
	v_addc_co_u32_e32 v6, vcc, v9, v37, vcc
	v_add_co_u32_e32 v1, vcc, v1, v3
	v_addc_co_u32_e32 v3, vcc, v6, v4, vcc
	v_cmp_ne_u64_e32 vcc, 0, v[8:9]
	v_cndmask_b32_e32 v4, 0, v3, vcc
	v_cndmask_b32_e32 v3, 0, v1, vcc
	ds_write_b64 v0, v[3:4]
.LBB8_2409:                             ;   in Loop: Header=BB8_2407 Depth=2
	s_or_b64 exec, exec, s[26:27]
	v_and_b32_e32 v1, 4, v56
	v_cmp_ne_u32_e32 vcc, 0, v1
	s_and_saveexec_b64 s[44:45], vcc
	s_cbranch_execz .LBB8_2431
; %bb.2410:                             ;   in Loop: Header=BB8_2407 Depth=2
	buffer_load_dword v3, off, s[0:3], s33 offset:148 ; 4-byte Folded Reload
	buffer_load_dword v4, off, s[0:3], s33 offset:152 ; 4-byte Folded Reload
	s_waitcnt vmcnt(0)
	v_add_co_u32_e32 v8, vcc, 2, v3
	v_addc_co_u32_e32 v9, vcc, 0, v4, vcc
	s_waitcnt lgkmcnt(0)
	v_cmp_lt_u64_e32 vcc, v[46:47], v[8:9]
	s_and_saveexec_b64 s[78:79], vcc
	s_cbranch_execz .LBB8_2422
; %bb.2411:                             ;   in Loop: Header=BB8_2407 Depth=2
	v_and_b32_e32 v1, 64, v56
	s_mov_b32 s47, 0
	v_cmp_eq_u32_e32 vcc, 0, v1
	s_mov_b64 s[88:89], 0
                                        ; implicit-def: $sgpr90_sgpr91
                                        ; implicit-def: $sgpr92_sgpr93
                                        ; implicit-def: $sgpr94_sgpr95
	s_branch .LBB8_2415
.LBB8_2412:                             ;   in Loop: Header=BB8_2415 Depth=3
	s_waitcnt vmcnt(0) lgkmcnt(0)
	v_cmp_ge_u64_e64 s[26:27], v[46:47], v[8:9]
	s_or_b64 s[36:37], s[36:37], exec
	s_orn2_b64 s[34:35], s[26:27], exec
.LBB8_2413:                             ;   in Loop: Header=BB8_2415 Depth=3
	s_or_b64 exec, exec, s[48:49]
	s_andn2_b64 s[26:27], s[94:95], exec
	s_and_b64 s[94:95], s[36:37], exec
	s_or_b64 s[94:95], s[26:27], s[94:95]
	s_andn2_b64 s[26:27], s[92:93], exec
	s_and_b64 s[92:93], s[34:35], exec
	s_or_b64 s[92:93], s[26:27], s[92:93]
.LBB8_2414:                             ;   in Loop: Header=BB8_2415 Depth=3
	s_or_b64 exec, exec, s[30:31]
	s_and_b64 s[26:27], exec, s[92:93]
	s_or_b64 s[88:89], s[26:27], s[88:89]
	s_andn2_b64 s[26:27], s[90:91], exec
	s_and_b64 s[90:91], s[94:95], exec
	s_or_b64 s[90:91], s[26:27], s[90:91]
	s_andn2_b64 exec, exec, s[88:89]
	s_cbranch_execz .LBB8_2419
.LBB8_2415:                             ;   Parent Loop BB8_47 Depth=1
                                        ;     Parent Loop BB8_2407 Depth=2
                                        ; =>    This Inner Loop Header: Depth=3
	s_sleep 1
	s_waitcnt vmcnt(0) lgkmcnt(0)
	flat_load_dwordx2 v[46:47], v[40:41] glc
	s_or_b64 s[94:95], s[94:95], exec
	s_or_b64 s[92:93], s[92:93], exec
                                        ; implicit-def: $vgpr1
	s_and_saveexec_b64 s[30:31], vcc
	s_cbranch_execz .LBB8_2414
; %bb.2416:                             ;   in Loop: Header=BB8_2415 Depth=3
	s_cmpk_lt_i32 s47, 0x270f
	s_cselect_b64 s[38:39], -1, 0
	s_cmpk_gt_i32 s47, 0x270e
	s_mov_b64 s[34:35], -1
	s_cbranch_scc0 .LBB8_2418
; %bb.2417:                             ;   in Loop: Header=BB8_2415 Depth=3
	s_trap 2
	ds_read_b64 v[3:4], v0
	s_andn2_b64 s[38:39], s[38:39], exec
	s_mov_b32 s47, 0
	s_mov_b64 s[36:37], 0
	s_waitcnt vmcnt(0) lgkmcnt(0)
	flat_load_dword v1, v[3:4] glc
	s_waitcnt vmcnt(0) lgkmcnt(0)
	buffer_wbinvl1_vol
	v_cmp_eq_u32_e64 s[26:27], 0, v1
	s_and_b64 s[26:27], s[26:27], exec
	s_or_b64 s[38:39], s[38:39], s[26:27]
	s_and_saveexec_b64 s[48:49], s[38:39]
	s_cbranch_execz .LBB8_2413
	s_branch .LBB8_2412
.LBB8_2418:                             ;   in Loop: Header=BB8_2415 Depth=3
	s_add_i32 s47, s47, 1
	s_mov_b64 s[36:37], -1
                                        ; implicit-def: $vgpr1
	s_and_saveexec_b64 s[48:49], s[38:39]
	s_cbranch_execz .LBB8_2413
	s_branch .LBB8_2412
.LBB8_2419:                             ;   in Loop: Header=BB8_2407 Depth=2
	s_or_b64 exec, exec, s[88:89]
	s_xor_b64 s[26:27], s[90:91], -1
	s_and_saveexec_b64 s[88:89], s[26:27]
	s_xor_b64 s[26:27], exec, s[88:89]
	s_cbranch_execz .LBB8_2421
; %bb.2420:                             ;   in Loop: Header=BB8_2407 Depth=2
	v_or_b32_e32 v56, 64, v56
	s_waitcnt lgkmcnt(0)
	ds_write_b32 v0, v1
	s_trap 2
.LBB8_2421:                             ;   in Loop: Header=BB8_2407 Depth=2
	s_or_b64 exec, exec, s[26:27]
.LBB8_2422:                             ;   in Loop: Header=BB8_2407 Depth=2
	s_or_b64 exec, exec, s[78:79]
	;;#ASMSTART
	s_wakeup
	;;#ASMEND
	buffer_load_dword v3, off, s[0:3], s33 offset:148 ; 4-byte Folded Reload
	buffer_load_dword v4, off, s[0:3], s33 offset:152 ; 4-byte Folded Reload
	v_and_b32_e32 v1, 0x100, v56
	v_cmp_ne_u32_e32 vcc, 0, v1
	s_mov_b64 s[26:27], -1
	s_waitcnt vmcnt(0)
	v_and_b32_e32 v1, 7, v3
                                        ; implicit-def: $vgpr3_vgpr4
	s_and_saveexec_b64 s[78:79], vcc
	s_cbranch_execz .LBB8_2426
; %bb.2423:                             ;   in Loop: Header=BB8_2407 Depth=2
	buffer_load_dword v10, off, s[0:3], s33 offset:204 ; 4-byte Folded Reload
	buffer_load_dword v11, off, s[0:3], s33 offset:208 ; 4-byte Folded Reload
	;; [unrolled: 1-line block ×4, first 2 shown]
	s_waitcnt vmcnt(0)
	v_mad_u64_u32 v[10:11], s[26:27], v1, 24, v[10:11]
	flat_load_dword v3, v[10:11]
	s_waitcnt vmcnt(0) lgkmcnt(0)
	v_cmp_ne_u32_e32 vcc, 1, v3
	v_cmp_eq_u32_e64 s[26:27], 1, v3
                                        ; implicit-def: $vgpr3_vgpr4
	s_and_saveexec_b64 s[88:89], s[26:27]
	s_cbranch_execz .LBB8_2425
; %bb.2424:                             ;   in Loop: Header=BB8_2407 Depth=2
	flat_load_dword v3, v[10:11] offset:4 glc
	s_waitcnt vmcnt(0) lgkmcnt(0)
	v_ashrrev_i32_e32 v4, 31, v3
	v_lshrrev_b64 v[3:4], 1, v[3:4]
.LBB8_2425:                             ;   in Loop: Header=BB8_2407 Depth=2
	s_or_b64 exec, exec, s[88:89]
	s_orn2_b64 s[26:27], vcc, exec
.LBB8_2426:                             ;   in Loop: Header=BB8_2407 Depth=2
	s_or_b64 exec, exec, s[78:79]
	s_and_saveexec_b64 s[78:79], s[26:27]
	s_cbranch_execz .LBB8_2428
; %bb.2427:                             ;   in Loop: Header=BB8_2407 Depth=2
	buffer_load_dword v3, off, s[0:3], s33 offset:228 ; 4-byte Folded Reload
	s_waitcnt vmcnt(0)
	v_mad_i64_i32 v[3:4], s[26:27], v1, v3, 0
.LBB8_2428:                             ;   in Loop: Header=BB8_2407 Depth=2
	s_or_b64 exec, exec, s[78:79]
	buffer_load_dword v6, off, s[0:3], s33 offset:196 ; 4-byte Folded Reload
	buffer_load_dword v7, off, s[0:3], s33 offset:200 ; 4-byte Folded Reload
	v_lshlrev_b64 v[3:4], 1, v[3:4]
	v_and_b32_e32 v1, 0x2000, v56
	s_waitcnt vmcnt(0)
	v_add_co_u32_e32 v3, vcc, v6, v3
	v_addc_co_u32_e32 v4, vcc, v7, v4, vcc
	v_cmp_ne_u32_e32 vcc, 0, v1
	ds_write_b64 v0, v[3:4] offset:720
	s_and_saveexec_b64 s[26:27], vcc
	s_cbranch_execz .LBB8_2430
; %bb.2429:                             ;   in Loop: Header=BB8_2407 Depth=2
	ds_read_b64 v[3:4], v0 offset:872
	s_waitcnt lgkmcnt(0)
	v_add_co_u32_e32 v3, vcc, 1, v3
	v_addc_co_u32_e32 v4, vcc, 0, v4, vcc
	ds_write_b64 v0, v[3:4] offset:872
.LBB8_2430:                             ;   in Loop: Header=BB8_2407 Depth=2
	s_or_b64 exec, exec, s[26:27]
	buffer_store_dword v8, off, s[0:3], s33 offset:148 ; 4-byte Folded Spill
	s_nop 0
	buffer_store_dword v9, off, s[0:3], s33 offset:152 ; 4-byte Folded Spill
.LBB8_2431:                             ;   in Loop: Header=BB8_2407 Depth=2
	s_or_b64 exec, exec, s[44:45]
	s_and_saveexec_b64 s[26:27], s[10:11]
	s_cbranch_execz .LBB8_2450
; %bb.2432:                             ;   in Loop: Header=BB8_2407 Depth=2
	s_and_saveexec_b64 s[44:45], s[58:59]
	s_xor_b64 s[44:45], exec, s[44:45]
	s_cbranch_execz .LBB8_2447
; %bb.2433:                             ;   in Loop: Header=BB8_2407 Depth=2
	s_and_saveexec_b64 s[78:79], s[16:17]
	s_cbranch_execz .LBB8_2446
; %bb.2434:                             ;   in Loop: Header=BB8_2407 Depth=2
	s_mov_b64 s[90:91], exec
	v_mbcnt_lo_u32_b32 v1, s90, 0
	v_mbcnt_hi_u32_b32 v1, s91, v1
	v_cmp_eq_u32_e32 vcc, 0, v1
	s_waitcnt vmcnt(0) lgkmcnt(0)
	buffer_wbinvl1_vol
	s_and_saveexec_b64 s[88:89], vcc
	s_cbranch_execz .LBB8_2436
; %bb.2435:                             ;   in Loop: Header=BB8_2407 Depth=2
	s_bcnt1_i32_b64 s47, s[90:91]
	v_mov_b32_e32 v3, s47
	v_mov_b32_e32 v4, v2
	ds_add_u64 v0, v[3:4]
	s_trap 2
.LBB8_2436:                             ;   in Loop: Header=BB8_2407 Depth=2
	s_or_b64 exec, exec, s[88:89]
	s_trap 2
	ds_read_b64 v[3:4], v0
	s_waitcnt lgkmcnt(0)
	buffer_load_dword v6, off, s[0:3], s33 offset:132 ; 4-byte Folded Reload
	buffer_load_dword v7, off, s[0:3], s33 offset:136 ; 4-byte Folded Reload
	s_waitcnt vmcnt(1)
	v_add_co_u32_e32 v6, vcc, v6, v52
	s_waitcnt vmcnt(0)
	v_addc_co_u32_e32 v7, vcc, 0, v7, vcc
	buffer_store_dword v6, off, s[0:3], s33 offset:132 ; 4-byte Folded Spill
	s_nop 0
	buffer_store_dword v7, off, s[0:3], s33 offset:136 ; 4-byte Folded Spill
	v_cmp_lt_u64_e32 vcc, v[3:4], v[6:7]
	s_and_saveexec_b64 s[88:89], vcc
	s_cbranch_execz .LBB8_2445
; %bb.2437:                             ;   in Loop: Header=BB8_2407 Depth=2
	s_mov_b32 s47, 0
	s_mov_b64 s[90:91], 0
                                        ; implicit-def: $sgpr92_sgpr93
                                        ; implicit-def: $sgpr94_sgpr95
	s_branch .LBB8_2439
.LBB8_2438:                             ;   in Loop: Header=BB8_2439 Depth=3
	s_or_b64 exec, exec, s[34:35]
	s_and_b64 vcc, exec, vcc
	s_or_b64 s[90:91], vcc, s[90:91]
	s_andn2_b64 s[92:93], s[92:93], exec
	s_and_b64 vcc, s[94:95], exec
	s_or_b64 s[92:93], s[92:93], vcc
	s_andn2_b64 exec, exec, s[90:91]
	s_cbranch_execz .LBB8_2443
.LBB8_2439:                             ;   Parent Loop BB8_47 Depth=1
                                        ;     Parent Loop BB8_2407 Depth=2
                                        ; =>    This Inner Loop Header: Depth=3
	s_add_i32 s47, s47, 1
	s_cmpk_lg_i32 s47, 0x2710
	s_cselect_b64 s[30:31], -1, 0
	s_and_b64 vcc, exec, s[30:31]
	s_cbranch_vccz .LBB8_2441
; %bb.2440:                             ;   in Loop: Header=BB8_2439 Depth=3
	s_mov_b64 vcc, -1
	s_or_b64 s[94:95], s[94:95], exec
	s_and_saveexec_b64 s[34:35], s[30:31]
	s_cbranch_execz .LBB8_2438
	s_branch .LBB8_2442
.LBB8_2441:                             ;   in Loop: Header=BB8_2439 Depth=3
	s_trap 2
	ds_read_b64 v[3:4], v0
	s_andn2_b64 s[30:31], s[30:31], exec
	s_mov_b32 s47, 0
	s_waitcnt vmcnt(0) lgkmcnt(0)
	flat_load_dword v1, v[3:4] glc
	s_waitcnt vmcnt(0) lgkmcnt(0)
	buffer_wbinvl1_vol
	v_cmp_eq_u32_e32 vcc, 0, v1
	s_and_b64 vcc, vcc, exec
	s_or_b64 s[30:31], s[30:31], vcc
	s_mov_b64 vcc, -1
	s_or_b64 s[94:95], s[94:95], exec
	s_and_saveexec_b64 s[34:35], s[30:31]
	s_cbranch_execz .LBB8_2438
.LBB8_2442:                             ;   in Loop: Header=BB8_2439 Depth=3
	s_sleep 1
	s_trap 2
	ds_read_b64 v[3:4], v0
	s_waitcnt lgkmcnt(0)
	buffer_load_dword v6, off, s[0:3], s33 offset:132 ; 4-byte Folded Reload
	buffer_load_dword v7, off, s[0:3], s33 offset:136 ; 4-byte Folded Reload
	s_andn2_b64 s[94:95], s[94:95], exec
	s_waitcnt vmcnt(0)
	v_cmp_ge_u64_e32 vcc, v[3:4], v[6:7]
	s_orn2_b64 vcc, vcc, exec
	s_branch .LBB8_2438
.LBB8_2443:                             ;   in Loop: Header=BB8_2407 Depth=2
	s_or_b64 exec, exec, s[90:91]
	s_and_saveexec_b64 s[90:91], s[92:93]
	s_xor_b64 s[90:91], exec, s[90:91]
	s_cbranch_execz .LBB8_2445
; %bb.2444:                             ;   in Loop: Header=BB8_2407 Depth=2
	v_mov_b32_e32 v1, 1
	ds_write_b32 v0, v1
	s_trap 2
.LBB8_2445:                             ;   in Loop: Header=BB8_2407 Depth=2
	s_or_b64 exec, exec, s[88:89]
	;;#ASMSTART
	s_wakeup
	;;#ASMEND
.LBB8_2446:                             ;   in Loop: Header=BB8_2407 Depth=2
	s_or_b64 exec, exec, s[78:79]
.LBB8_2447:                             ;   in Loop: Header=BB8_2407 Depth=2
	s_andn2_saveexec_b64 s[44:45], s[44:45]
	s_cbranch_execz .LBB8_2449
; %bb.2448:                             ;   in Loop: Header=BB8_2407 Depth=2
	s_waitcnt vmcnt(0) lgkmcnt(0)
	buffer_wbinvl1_vol
	s_barrier
.LBB8_2449:                             ;   in Loop: Header=BB8_2407 Depth=2
	s_or_b64 exec, exec, s[44:45]
.LBB8_2450:                             ;   in Loop: Header=BB8_2407 Depth=2
	s_or_b64 exec, exec, s[26:27]
	s_trap 2
	ds_read_b32 v1, v0
	v_and_b32_e32 v3, 0x4000, v56
	v_cmp_ne_u32_e32 vcc, 0, v3
	s_xor_b64 s[26:27], s[6:7], -1
	s_and_b64 s[44:45], s[26:27], vcc
	s_and_saveexec_b64 s[26:27], s[44:45]
	s_cbranch_execz .LBB8_2469
; %bb.2451:                             ;   in Loop: Header=BB8_2407 Depth=2
	s_and_saveexec_b64 s[44:45], s[58:59]
	s_xor_b64 s[44:45], exec, s[44:45]
	s_cbranch_execz .LBB8_2466
; %bb.2452:                             ;   in Loop: Header=BB8_2407 Depth=2
	s_and_saveexec_b64 s[78:79], s[16:17]
	s_cbranch_execz .LBB8_2465
; %bb.2453:                             ;   in Loop: Header=BB8_2407 Depth=2
	s_mov_b64 s[90:91], exec
	v_mbcnt_lo_u32_b32 v3, s90, 0
	v_mbcnt_hi_u32_b32 v3, s91, v3
	v_cmp_eq_u32_e32 vcc, 0, v3
	s_waitcnt vmcnt(0) lgkmcnt(0)
	buffer_wbinvl1_vol
	s_and_saveexec_b64 s[88:89], vcc
	s_cbranch_execz .LBB8_2455
; %bb.2454:                             ;   in Loop: Header=BB8_2407 Depth=2
	s_bcnt1_i32_b64 s47, s[90:91]
	v_mov_b32_e32 v3, s47
	v_mov_b32_e32 v4, v2
	ds_add_u64 v0, v[3:4]
	s_trap 2
.LBB8_2455:                             ;   in Loop: Header=BB8_2407 Depth=2
	s_or_b64 exec, exec, s[88:89]
	s_trap 2
	ds_read_b64 v[3:4], v0
	s_waitcnt lgkmcnt(0)
	buffer_load_dword v6, off, s[0:3], s33 offset:132 ; 4-byte Folded Reload
	buffer_load_dword v7, off, s[0:3], s33 offset:136 ; 4-byte Folded Reload
	s_waitcnt vmcnt(1)
	v_add_co_u32_e32 v6, vcc, v6, v52
	s_waitcnt vmcnt(0)
	v_addc_co_u32_e32 v7, vcc, 0, v7, vcc
	buffer_store_dword v6, off, s[0:3], s33 offset:132 ; 4-byte Folded Spill
	s_nop 0
	buffer_store_dword v7, off, s[0:3], s33 offset:136 ; 4-byte Folded Spill
	v_cmp_lt_u64_e32 vcc, v[3:4], v[6:7]
	s_and_saveexec_b64 s[88:89], vcc
	s_cbranch_execz .LBB8_2464
; %bb.2456:                             ;   in Loop: Header=BB8_2407 Depth=2
	s_mov_b32 s47, 0
	s_mov_b64 s[90:91], 0
                                        ; implicit-def: $sgpr92_sgpr93
                                        ; implicit-def: $sgpr94_sgpr95
	s_branch .LBB8_2458
.LBB8_2457:                             ;   in Loop: Header=BB8_2458 Depth=3
	s_or_b64 exec, exec, s[34:35]
	s_and_b64 vcc, exec, vcc
	s_or_b64 s[90:91], vcc, s[90:91]
	s_andn2_b64 s[92:93], s[92:93], exec
	s_and_b64 vcc, s[94:95], exec
	s_or_b64 s[92:93], s[92:93], vcc
	s_andn2_b64 exec, exec, s[90:91]
	s_cbranch_execz .LBB8_2462
.LBB8_2458:                             ;   Parent Loop BB8_47 Depth=1
                                        ;     Parent Loop BB8_2407 Depth=2
                                        ; =>    This Inner Loop Header: Depth=3
	s_add_i32 s47, s47, 1
	s_cmpk_lg_i32 s47, 0x2710
	s_cselect_b64 s[30:31], -1, 0
	s_and_b64 vcc, exec, s[30:31]
	s_cbranch_vccz .LBB8_2460
; %bb.2459:                             ;   in Loop: Header=BB8_2458 Depth=3
	s_mov_b64 vcc, -1
	s_or_b64 s[94:95], s[94:95], exec
	s_and_saveexec_b64 s[34:35], s[30:31]
	s_cbranch_execz .LBB8_2457
	s_branch .LBB8_2461
.LBB8_2460:                             ;   in Loop: Header=BB8_2458 Depth=3
	s_trap 2
	ds_read_b64 v[3:4], v0
	s_andn2_b64 s[30:31], s[30:31], exec
	s_mov_b32 s47, 0
	s_waitcnt vmcnt(0) lgkmcnt(0)
	flat_load_dword v3, v[3:4] glc
	s_waitcnt vmcnt(0) lgkmcnt(0)
	buffer_wbinvl1_vol
	v_cmp_eq_u32_e32 vcc, 0, v3
	s_and_b64 vcc, vcc, exec
	s_or_b64 s[30:31], s[30:31], vcc
	s_mov_b64 vcc, -1
	s_or_b64 s[94:95], s[94:95], exec
	s_and_saveexec_b64 s[34:35], s[30:31]
	s_cbranch_execz .LBB8_2457
.LBB8_2461:                             ;   in Loop: Header=BB8_2458 Depth=3
	s_sleep 1
	s_trap 2
	ds_read_b64 v[3:4], v0
	s_waitcnt lgkmcnt(0)
	buffer_load_dword v6, off, s[0:3], s33 offset:132 ; 4-byte Folded Reload
	buffer_load_dword v7, off, s[0:3], s33 offset:136 ; 4-byte Folded Reload
	s_andn2_b64 s[94:95], s[94:95], exec
	s_waitcnt vmcnt(0)
	v_cmp_ge_u64_e32 vcc, v[3:4], v[6:7]
	s_orn2_b64 vcc, vcc, exec
	s_branch .LBB8_2457
.LBB8_2462:                             ;   in Loop: Header=BB8_2407 Depth=2
	s_or_b64 exec, exec, s[90:91]
	s_and_saveexec_b64 s[90:91], s[92:93]
	s_xor_b64 s[90:91], exec, s[90:91]
	s_cbranch_execz .LBB8_2464
; %bb.2463:                             ;   in Loop: Header=BB8_2407 Depth=2
	v_mov_b32_e32 v3, 1
	ds_write_b32 v0, v3
	s_trap 2
.LBB8_2464:                             ;   in Loop: Header=BB8_2407 Depth=2
	s_or_b64 exec, exec, s[88:89]
	;;#ASMSTART
	s_wakeup
	;;#ASMEND
.LBB8_2465:                             ;   in Loop: Header=BB8_2407 Depth=2
	s_or_b64 exec, exec, s[78:79]
.LBB8_2466:                             ;   in Loop: Header=BB8_2407 Depth=2
	s_andn2_saveexec_b64 s[44:45], s[44:45]
	s_cbranch_execz .LBB8_2468
; %bb.2467:                             ;   in Loop: Header=BB8_2407 Depth=2
	s_waitcnt vmcnt(0) lgkmcnt(0)
	buffer_wbinvl1_vol
	s_barrier
.LBB8_2468:                             ;   in Loop: Header=BB8_2407 Depth=2
	s_or_b64 exec, exec, s[44:45]
.LBB8_2469:                             ;   in Loop: Header=BB8_2407 Depth=2
	s_or_b64 exec, exec, s[26:27]
	s_trap 2
	ds_read_b64 v[28:29], v0
	v_sub_u32_e32 v3, v30, v0
	v_min_i32_e32 v5, v5, v3
	s_waitcnt lgkmcnt(0)
	v_cmp_eq_u64_e32 vcc, 0, v[28:29]
	s_cbranch_vccnz .LBB8_2477
; %bb.2470:                             ;   in Loop: Header=BB8_2407 Depth=2
	s_trap 2
	ds_read_b64 v[44:45], v0
	s_waitcnt lgkmcnt(0)
	v_cmp_eq_u64_e32 vcc, 0, v[44:45]
	s_cbranch_vccnz .LBB8_2477
; %bb.2471:                             ;   in Loop: Header=BB8_2407 Depth=2
	s_mov_b64 s[44:45], -1
	s_and_saveexec_b64 s[26:27], s[20:21]
	s_cbranch_execz .LBB8_2473
; %bb.2472:                             ;   in Loop: Header=BB8_2407 Depth=2
	ds_read_b32 v3, v0 offset:720
	s_waitcnt lgkmcnt(0)
	v_and_b32_e32 v3, 15, v3
	v_cmp_eq_u32_e32 vcc, 0, v3
	s_orn2_b64 s[44:45], vcc, exec
.LBB8_2473:                             ;   in Loop: Header=BB8_2407 Depth=2
	s_or_b64 exec, exec, s[26:27]
	s_and_saveexec_b64 s[26:27], s[18:19]
	s_cbranch_execz .LBB8_2475
; %bb.2474:                             ;   in Loop: Header=BB8_2407 Depth=2
	ds_read_b32 v3, v0 offset:784
	s_waitcnt lgkmcnt(0)
	v_and_b32_e32 v3, 15, v3
	v_cmp_eq_u32_e32 vcc, 0, v3
	s_and_b64 s[78:79], s[44:45], vcc
	s_andn2_b64 s[44:45], s[44:45], exec
	s_and_b64 s[78:79], s[78:79], exec
	s_or_b64 s[44:45], s[44:45], s[78:79]
.LBB8_2475:                             ;   in Loop: Header=BB8_2407 Depth=2
	s_or_b64 exec, exec, s[26:27]
	s_xor_b64 s[44:45], s[44:45], -1
	v_cmp_eq_u32_e64 s[26:27], 0, v1
	v_cndmask_b32_e64 v1, 0, 1, s[44:45]
	s_mov_b64 s[78:79], -1
	v_cmp_ne_u32_e32 vcc, 0, v1
	s_cbranch_vccz .LBB8_2482
; %bb.2476:                             ;   in Loop: Header=BB8_2407 Depth=2
	s_mov_b64 s[78:79], 0
	s_mov_b64 s[44:45], -1
	s_branch .LBB8_2483
.LBB8_2477:                             ;   in Loop: Header=BB8_2407 Depth=2
	s_mov_b64 s[26:27], 0
	s_and_saveexec_b64 s[44:45], s[10:11]
	s_cbranch_execnz .LBB8_2533
.LBB8_2478:                             ;   in Loop: Header=BB8_2407 Depth=2
	s_or_b64 exec, exec, s[44:45]
	s_and_saveexec_b64 s[44:45], s[24:25]
	s_xor_b64 s[44:45], exec, s[44:45]
	s_cbranch_execz .LBB8_2551
.LBB8_2479:                             ;   in Loop: Header=BB8_2407 Depth=2
	v_and_b32_e32 v1, 16, v56
	v_cmp_ne_u32_e32 vcc, 0, v1
	s_and_b64 s[78:79], vcc, s[26:27]
	s_and_saveexec_b64 s[26:27], s[78:79]
	s_cbranch_execz .LBB8_2481
; %bb.2480:                             ;   in Loop: Header=BB8_2407 Depth=2
	s_waitcnt vmcnt(0) lgkmcnt(0)
	buffer_wbinvl1_vol
.LBB8_2481:                             ;   in Loop: Header=BB8_2407 Depth=2
	s_or_b64 exec, exec, s[26:27]
	s_andn2_saveexec_b64 s[26:27], s[44:45]
	s_cbranch_execz .LBB8_2570
	s_branch .LBB8_2552
.LBB8_2482:                             ;   in Loop: Header=BB8_2407 Depth=2
	s_mov_b64 s[44:45], 0
.LBB8_2483:                             ;   in Loop: Header=BB8_2407 Depth=2
	v_cndmask_b32_e64 v1, 0, v5, s[26:27]
	v_lshlrev_b32_e32 v3, 1, v1
	s_andn2_b64 vcc, exec, s[78:79]
	v_mov_b32_e32 v4, 0
	s_cbranch_vccnz .LBB8_2491
; %bb.2484:                             ;   in Loop: Header=BB8_2407 Depth=2
	buffer_load_dword v6, off, s[0:3], s33 offset:272 ; 4-byte Folded Reload
	v_ashrrev_i32_e32 v4, 31, v3
	v_lshrrev_b32_e32 v4, 20, v4
	v_add_u32_e32 v4, v3, v4
	v_ashrrev_i32_e32 v4, 12, v4
	s_mov_b64 s[78:79], 0
                                        ; implicit-def: $vgpr8_vgpr9
                                        ; implicit-def: $vgpr12_vgpr13
                                        ; implicit-def: $vgpr16_vgpr17
                                        ; implicit-def: $vgpr20_vgpr21
	s_waitcnt vmcnt(0)
	v_sub_u32_e32 v60, v4, v6
	buffer_load_dword v6, off, s[0:3], s33 offset:316 ; 4-byte Folded Reload
	s_waitcnt vmcnt(0)
	v_add_co_u32_e32 v42, vcc, v44, v6
	v_addc_co_u32_e32 v43, vcc, 0, v45, vcc
	v_cmp_lt_i32_e32 vcc, 0, v60
	s_and_saveexec_b64 s[26:27], vcc
	s_cbranch_execz .LBB8_2493
; %bb.2485:                             ;   in Loop: Header=BB8_2407 Depth=2
	buffer_load_dword v6, off, s[0:3], s33 offset:316 ; 4-byte Folded Reload
	s_mov_b64 s[90:91], 0
                                        ; implicit-def: $sgpr88_sgpr89
                                        ; implicit-def: $vgpr8_vgpr9
                                        ; implicit-def: $vgpr12_vgpr13
                                        ; implicit-def: $vgpr16_vgpr17
                                        ; implicit-def: $vgpr20_vgpr21
	s_waitcnt vmcnt(0)
	v_add_co_u32_e32 v58, vcc, v28, v6
	v_addc_co_u32_e32 v59, vcc, 0, v29, vcc
	s_branch .LBB8_2487
.LBB8_2486:                             ;   in Loop: Header=BB8_2487 Depth=3
	s_or_b64 exec, exec, s[92:93]
	global_store_dwordx4 v[42:43], v[24:27], off glc slc
	global_store_dwordx4 v[42:43], v[32:35], off offset:1024 glc slc
	global_store_dwordx4 v[42:43], v[36:39], off offset:2048 glc slc
	;; [unrolled: 1-line block ×3, first 2 shown]
	s_waitcnt vmcnt(5)
	v_add_co_u32_e32 v24, vcc, v42, v60
	s_waitcnt vmcnt(4)
	v_addc_co_u32_e32 v25, vcc, v43, v61, vcc
	v_add_co_u32_e32 v42, vcc, s54, v24
	v_addc_co_u32_e32 v43, vcc, 0, v25, vcc
	v_add_co_u32_e32 v58, vcc, v58, v60
	v_addc_co_u32_e32 v59, vcc, v59, v61, vcc
	v_sub_u32_e32 v60, v6, v7
	v_cmp_gt_i32_e32 vcc, 1, v60
	s_or_b64 s[78:79], vcc, s[78:79]
	s_andn2_b64 s[88:89], s[88:89], exec
	s_and_b64 s[92:93], s[90:91], exec
	s_or_b64 s[88:89], s[88:89], s[92:93]
	s_andn2_b64 exec, exec, s[78:79]
	s_cbranch_execz .LBB8_2492
.LBB8_2487:                             ;   Parent Loop BB8_47 Depth=1
                                        ;     Parent Loop BB8_2407 Depth=2
                                        ; =>    This Inner Loop Header: Depth=3
	global_load_dwordx4 v[24:27], v[58:59], off glc slc
	global_load_dwordx4 v[32:35], v[58:59], off offset:1024 glc slc
	global_load_dwordx4 v[36:39], v[58:59], off offset:2048 glc slc
	;; [unrolled: 1-line block ×3, first 2 shown]
	s_and_saveexec_b64 s[92:93], s[90:91]
	s_cbranch_execz .LBB8_2489
; %bb.2488:                             ;   in Loop: Header=BB8_2487 Depth=3
	global_store_dwordx4 v[42:43], v[8:11], off glc slc
	global_store_dwordx4 v[42:43], v[12:15], off offset:1024 glc slc
	global_store_dwordx4 v[42:43], v[16:19], off offset:2048 glc slc
	;; [unrolled: 1-line block ×3, first 2 shown]
	buffer_load_dword v6, off, s[0:3], s33 offset:188 ; 4-byte Folded Reload
	s_waitcnt vmcnt(0)
	v_add_co_u32_e32 v42, vcc, v42, v6
	buffer_load_dword v6, off, s[0:3], s33 offset:192 ; 4-byte Folded Reload
	s_waitcnt vmcnt(0)
	v_addc_co_u32_e32 v43, vcc, v43, v6, vcc
.LBB8_2489:                             ;   in Loop: Header=BB8_2487 Depth=3
	s_or_b64 exec, exec, s[92:93]
	buffer_load_dword v6, off, s[0:3], s33 offset:188 ; 4-byte Folded Reload
	v_mov_b32_e32 v7, 0
	s_waitcnt vmcnt(0)
	v_add_co_u32_e32 v58, vcc, v58, v6
	buffer_load_dword v6, off, s[0:3], s33 offset:192 ; 4-byte Folded Reload
	s_waitcnt vmcnt(0)
	v_addc_co_u32_e32 v59, vcc, v59, v6, vcc
	v_sub_u32_e32 v6, v60, v52
	v_mov_b32_e32 v60, 0
	v_mov_b32_e32 v61, 0
	v_cmp_lt_i32_e64 s[90:91], 0, v6
	s_and_saveexec_b64 s[92:93], s[90:91]
	s_cbranch_execz .LBB8_2486
; %bb.2490:                             ;   in Loop: Header=BB8_2487 Depth=3
	global_load_dwordx4 v[8:11], v[58:59], off glc slc
	global_load_dwordx4 v[12:15], v[58:59], off offset:1024 glc slc
	global_load_dwordx4 v[16:19], v[58:59], off offset:2048 glc slc
	;; [unrolled: 1-line block ×3, first 2 shown]
	buffer_load_dword v60, off, s[0:3], s33 offset:236 ; 4-byte Folded Reload
	buffer_load_dword v61, off, s[0:3], s33 offset:240 ; 4-byte Folded Reload
	v_add_co_u32_e32 v58, vcc, 0x1000, v58
	v_addc_co_u32_e32 v59, vcc, 0, v59, vcc
	v_mov_b32_e32 v7, v52
	s_branch .LBB8_2486
.LBB8_2491:                             ;   in Loop: Header=BB8_2407 Depth=2
	buffer_load_dword v6, off, s[0:3], s33 offset:268 ; 4-byte Folded Reload
	buffer_load_dword v14, off, s[0:3], s33 offset:252 ; 4-byte Folded Reload
	s_and_saveexec_b64 s[26:27], s[44:45]
	s_cbranch_execnz .LBB8_2512
	s_branch .LBB8_2532
.LBB8_2492:                             ;   in Loop: Header=BB8_2407 Depth=2
	s_or_b64 exec, exec, s[78:79]
	buffer_load_dword v36, off, s[0:3], s33 offset:244 ; 4-byte Folded Reload
	buffer_load_dword v37, off, s[0:3], s33 offset:248 ; 4-byte Folded Reload
	s_and_b64 s[78:79], s[88:89], exec
.LBB8_2493:                             ;   in Loop: Header=BB8_2407 Depth=2
	s_or_b64 exec, exec, s[26:27]
	s_and_saveexec_b64 s[26:27], s[78:79]
	s_cbranch_execz .LBB8_2495
; %bb.2494:                             ;   in Loop: Header=BB8_2407 Depth=2
	global_store_dwordx4 v[42:43], v[8:11], off glc slc
	global_store_dwordx4 v[42:43], v[12:15], off offset:1024 glc slc
	global_store_dwordx4 v[42:43], v[16:19], off offset:2048 glc slc
	global_store_dwordx4 v[42:43], v[20:23], off offset:3072 glc slc
.LBB8_2495:                             ;   in Loop: Header=BB8_2407 Depth=2
	s_or_b64 exec, exec, s[26:27]
	v_lshlrev_b32_e32 v20, 12, v4
	v_cmp_ne_u32_e32 vcc, v3, v20
                                        ; implicit-def: $vgpr4
                                        ; implicit-def: $vgpr6
                                        ; implicit-def: $vgpr14
	s_and_saveexec_b64 s[78:79], vcc
	s_cbranch_execz .LBB8_2511
; %bb.2496:                             ;   in Loop: Header=BB8_2407 Depth=2
	buffer_load_dword v6, off, s[0:3], s33 offset:252 ; 4-byte Folded Reload
	v_lshlrev_b32_e32 v4, 6, v60
	v_sub_u32_e32 v7, v3, v20
	v_ashrrev_i32_e32 v9, 31, v7
	v_lshrrev_b32_e32 v9, 22, v9
	v_add_u32_e32 v9, v7, v9
	v_and_b32_e32 v22, 0xfffffc00, v9
	v_sub_u32_e32 v24, v7, v22
	v_ashrrev_i32_e32 v10, 10, v9
	v_cmp_lt_i32_e64 s[26:27], 15, v24
	s_mov_b64 s[90:91], 0
	s_waitcnt vmcnt(0)
	v_sub_u32_e32 v4, v6, v4
	v_ashrrev_i32_e32 v6, 31, v4
	v_lshrrev_b32_e32 v6, 26, v6
	v_add_u32_e32 v6, v4, v6
	v_ashrrev_i32_e32 v8, 6, v6
	v_and_b32_e32 v6, 0xffffffc0, v6
	v_sub_u32_e32 v21, v4, v6
	v_lshlrev_b32_e32 v4, 4, v21
	v_lshl_add_u32 v4, v8, 10, v4
	v_add_u32_e32 v6, v4, v20
	v_sub_u32_e32 v4, v7, v4
	v_addc_co_u32_e64 v7, vcc, 0, v10, s[26:27]
	v_sub_u32_e32 v23, v7, v8
	v_ashrrev_i32_e32 v7, 31, v6
	v_add_co_u32_e32 v16, vcc, v6, v44
	v_addc_co_u32_e32 v17, vcc, v7, v45, vcc
	v_cmp_lt_i32_e32 vcc, 15, v4
                                        ; implicit-def: $vgpr8_vgpr9
	s_and_saveexec_b64 s[88:89], vcc
	s_cbranch_execz .LBB8_2506
; %bb.2497:                             ;   in Loop: Header=BB8_2407 Depth=2
	v_add_co_u32_e32 v18, vcc, v6, v28
	v_addc_co_u32_e32 v19, vcc, v7, v29, vcc
	s_mov_b64 s[94:95], 0
                                        ; implicit-def: $sgpr92_sgpr93
                                        ; implicit-def: $vgpr8_vgpr9
	s_branch .LBB8_2499
.LBB8_2498:                             ;   in Loop: Header=BB8_2499 Depth=3
	s_or_b64 exec, exec, s[30:31]
	v_cmp_gt_i32_e32 vcc, 16, v4
	s_or_b64 s[90:91], vcc, s[90:91]
	s_andn2_b64 s[92:93], s[92:93], exec
	s_and_b64 vcc, s[94:95], exec
	s_or_b64 s[92:93], s[92:93], vcc
	s_andn2_b64 exec, exec, s[90:91]
	s_cbranch_execz .LBB8_2505
.LBB8_2499:                             ;   Parent Loop BB8_47 Depth=1
                                        ;     Parent Loop BB8_2407 Depth=2
                                        ; =>    This Inner Loop Header: Depth=3
	global_load_dwordx4 v[12:15], v[18:19], off glc slc
	s_and_saveexec_b64 s[30:31], s[94:95]
	s_cbranch_execz .LBB8_2501
; %bb.2500:                             ;   in Loop: Header=BB8_2499 Depth=3
	buffer_load_dword v6, off, s[0:3], s33 offset:128 ; 4-byte Folded Reload
	s_waitcnt vmcnt(0)
	v_add_co_u32_e32 v6, vcc, v16, v6
	v_addc_co_u32_e32 v7, vcc, v17, v53, vcc
	global_store_dwordx4 v[16:17], v[8:11], off glc slc
	v_mov_b32_e32 v17, v7
	v_mov_b32_e32 v16, v6
.LBB8_2501:                             ;   in Loop: Header=BB8_2499 Depth=3
	s_or_b64 exec, exec, s[30:31]
	buffer_load_dword v6, off, s[0:3], s33 offset:128 ; 4-byte Folded Reload
	s_waitcnt vmcnt(0)
	v_add_co_u32_e32 v18, vcc, v18, v6
	buffer_load_dword v6, off, s[0:3], s33 offset:168 ; 4-byte Folded Reload
	v_addc_co_u32_e32 v19, vcc, v19, v53, vcc
	s_waitcnt vmcnt(0)
	v_sub_u32_e32 v4, v4, v6
	v_cmp_lt_i32_e64 s[94:95], 15, v4
	s_and_saveexec_b64 s[30:31], s[94:95]
	s_cbranch_execz .LBB8_2503
; %bb.2502:                             ;   in Loop: Header=BB8_2499 Depth=3
	global_load_dwordx4 v[8:11], v[18:19], off glc slc
	v_add_co_u32_e32 v18, vcc, 0x400, v18
	v_addc_co_u32_e32 v19, vcc, 0, v19, vcc
.LBB8_2503:                             ;   in Loop: Header=BB8_2499 Depth=3
	s_or_b64 exec, exec, s[30:31]
	global_store_dwordx4 v[16:17], v[12:15], off glc slc
	v_add_co_u32_e32 v16, vcc, 0x400, v16
	v_sub_u32_e32 v23, v23, v52
	v_addc_co_u32_e32 v17, vcc, 0, v17, vcc
	s_and_saveexec_b64 s[30:31], s[94:95]
	s_cbranch_execz .LBB8_2498
; %bb.2504:                             ;   in Loop: Header=BB8_2499 Depth=3
	buffer_load_dword v6, off, s[0:3], s33 offset:168 ; 4-byte Folded Reload
	v_add_co_u32_e32 v18, vcc, v18, v54
	v_addc_co_u32_e32 v19, vcc, v19, v55, vcc
	v_add_co_u32_e32 v16, vcc, v16, v54
	v_sub_u32_e32 v23, v23, v52
	v_addc_co_u32_e32 v17, vcc, v17, v55, vcc
	s_waitcnt vmcnt(0)
	v_sub_u32_e32 v4, v4, v6
	s_branch .LBB8_2498
.LBB8_2505:                             ;   in Loop: Header=BB8_2407 Depth=2
	s_or_b64 exec, exec, s[90:91]
	s_and_b64 s[90:91], s[92:93], exec
.LBB8_2506:                             ;   in Loop: Header=BB8_2407 Depth=2
	s_or_b64 exec, exec, s[88:89]
	s_and_saveexec_b64 s[88:89], s[90:91]
	s_cbranch_execz .LBB8_2508
; %bb.2507:                             ;   in Loop: Header=BB8_2407 Depth=2
	s_waitcnt vmcnt(1)
	global_store_dwordx4 v[16:17], v[8:11], off glc slc
.LBB8_2508:                             ;   in Loop: Header=BB8_2407 Depth=2
	s_or_b64 exec, exec, s[88:89]
	v_and_b32_e32 v7, 14, v3
	v_cndmask_b32_e64 v3, v24, v7, s[26:27]
	v_cmp_ne_u32_e32 vcc, 0, v3
	s_mov_b64 s[90:91], s[44:45]
                                        ; implicit-def: $vgpr4
                                        ; implicit-def: $vgpr6
                                        ; implicit-def: $vgpr14
	s_and_saveexec_b64 s[88:89], vcc
	s_cbranch_execz .LBB8_2510
; %bb.2509:                             ;   in Loop: Header=BB8_2407 Depth=2
	v_cmp_lt_i32_e32 vcc, 0, v23
	v_cndmask_b32_e32 v6, 0, v52, vcc
	v_sub_u32_e32 v6, v6, v23
	v_lshl_add_u32 v6, v6, 6, v21
	v_sub_u32_e32 v4, v24, v7
	v_ashrrev_i32_e32 v7, 31, v6
	v_lshrrev_b32_e32 v7, 26, v7
	v_add_u32_e32 v7, v6, v7
	v_cndmask_b32_e64 v4, 0, v4, s[26:27]
	v_and_b32_e32 v7, 0xffffffc0, v7
	v_add3_u32 v4, v22, v20, v4
	v_sub_u32_e32 v14, v6, v7
	s_or_b64 s[90:91], s[44:45], exec
.LBB8_2510:                             ;   in Loop: Header=BB8_2407 Depth=2
	s_or_b64 exec, exec, s[88:89]
	s_andn2_b64 s[26:27], s[44:45], exec
	s_and_b64 s[44:45], s[90:91], exec
	s_or_b64 s[44:45], s[26:27], s[44:45]
.LBB8_2511:                             ;   in Loop: Header=BB8_2407 Depth=2
	s_or_b64 exec, exec, s[78:79]
	s_and_saveexec_b64 s[26:27], s[44:45]
	s_cbranch_execz .LBB8_2532
.LBB8_2512:                             ;   in Loop: Header=BB8_2407 Depth=2
	s_waitcnt vmcnt(0)
	v_ashrrev_i32_e32 v7, 31, v6
	v_lshrrev_b32_e32 v7, 26, v7
	v_add_u32_e32 v6, v6, v7
	v_ashrrev_i32_e32 v7, 6, v6
	v_lshlrev_b32_e32 v6, 10, v7
	s_waitcnt vmcnt(0)
	v_lshlrev_b32_e32 v8, 1, v14
	v_add3_u32 v6, v4, v8, v6
	v_ashrrev_i32_e32 v8, 31, v3
	v_lshrrev_b32_e32 v8, 22, v8
	v_add_u32_e32 v8, v3, v8
	v_ashrrev_i32_e32 v15, 10, v8
	v_sub_u32_e32 v12, v15, v7
	v_ashrrev_i32_e32 v7, 31, v6
	v_add_co_u32_e32 v8, vcc, v44, v6
	v_addc_co_u32_e32 v9, vcc, v45, v7, vcc
	v_cmp_lt_i32_e32 vcc, 0, v12
	s_mov_b64 s[78:79], 0
                                        ; implicit-def: $vgpr16
                                        ; implicit-def: $vgpr17
                                        ; implicit-def: $vgpr18
                                        ; implicit-def: $vgpr19
                                        ; implicit-def: $vgpr20
                                        ; implicit-def: $vgpr21
                                        ; implicit-def: $vgpr22
                                        ; implicit-def: $vgpr23
	s_and_saveexec_b64 s[44:45], vcc
	s_cbranch_execz .LBB8_2520
; %bb.2513:                             ;   in Loop: Header=BB8_2407 Depth=2
	v_add_co_u32_e32 v10, vcc, v6, v28
	v_addc_co_u32_e32 v11, vcc, v7, v29, vcc
	s_mov_b64 s[90:91], 0
                                        ; implicit-def: $sgpr88_sgpr89
                                        ; implicit-def: $vgpr16
                                        ; implicit-def: $vgpr17
                                        ; implicit-def: $vgpr18
                                        ; implicit-def: $vgpr19
                                        ; implicit-def: $vgpr20
                                        ; implicit-def: $vgpr21
                                        ; implicit-def: $vgpr22
                                        ; implicit-def: $vgpr23
	s_branch .LBB8_2515
.LBB8_2514:                             ;   in Loop: Header=BB8_2515 Depth=3
	s_or_b64 exec, exec, s[92:93]
	s_waitcnt lgkmcnt(0)
	flat_store_short v[8:9], v6 glc slc
	flat_store_short v[8:9], v7 offset:128 glc slc
	flat_store_short v[8:9], v24 offset:256 glc slc
	;; [unrolled: 1-line block ×7, first 2 shown]
	v_add_co_u32_e32 v6, vcc, v8, v12
	v_addc_co_u32_e32 v7, vcc, v9, v13, vcc
	v_add_co_u32_e32 v8, vcc, s55, v6
	v_addc_co_u32_e32 v9, vcc, 0, v7, vcc
	;; [unrolled: 2-line block ×3, first 2 shown]
	v_sub_u32_e32 v12, v34, v35
	v_cmp_gt_i32_e32 vcc, 1, v12
	s_or_b64 s[78:79], vcc, s[78:79]
	s_andn2_b64 s[88:89], s[88:89], exec
	s_and_b64 s[92:93], s[90:91], exec
	s_or_b64 s[88:89], s[88:89], s[92:93]
	s_andn2_b64 exec, exec, s[78:79]
	s_cbranch_execz .LBB8_2519
.LBB8_2515:                             ;   Parent Loop BB8_47 Depth=1
                                        ;     Parent Loop BB8_2407 Depth=2
                                        ; =>    This Inner Loop Header: Depth=3
	flat_load_ushort v6, v[10:11] glc slc
	flat_load_ushort v7, v[10:11] offset:128 glc slc
	flat_load_ushort v24, v[10:11] offset:256 glc slc
	flat_load_ushort v25, v[10:11] offset:384 glc slc
	flat_load_ushort v26, v[10:11] offset:512 glc slc
	flat_load_ushort v27, v[10:11] offset:640 glc slc
	flat_load_ushort v32, v[10:11] offset:768 glc slc
	flat_load_ushort v33, v[10:11] offset:896 glc slc
	s_and_saveexec_b64 s[92:93], s[90:91]
	s_cbranch_execz .LBB8_2517
; %bb.2516:                             ;   in Loop: Header=BB8_2515 Depth=3
	s_waitcnt vmcnt(0)
	flat_store_short v[8:9], v16 glc slc
	flat_store_short v[8:9], v17 offset:128 glc slc
	flat_store_short v[8:9], v18 offset:256 glc slc
	;; [unrolled: 1-line block ×7, first 2 shown]
	buffer_load_dword v13, off, s[0:3], s33 offset:128 ; 4-byte Folded Reload
	s_waitcnt vmcnt(0)
	v_add_co_u32_e32 v8, vcc, v8, v13
	v_addc_co_u32_e32 v9, vcc, v9, v53, vcc
.LBB8_2517:                             ;   in Loop: Header=BB8_2515 Depth=3
	s_or_b64 exec, exec, s[92:93]
	buffer_load_dword v13, off, s[0:3], s33 offset:128 ; 4-byte Folded Reload
	v_sub_u32_e32 v34, v12, v52
	v_mov_b32_e32 v35, 0
	v_cmp_lt_i32_e64 s[90:91], 0, v34
	s_waitcnt vmcnt(0)
	v_add_co_u32_e32 v10, vcc, v10, v13
	v_mov_b32_e32 v12, 0
	v_addc_co_u32_e32 v11, vcc, v11, v53, vcc
	v_mov_b32_e32 v13, 0
	s_and_saveexec_b64 s[92:93], s[90:91]
	s_cbranch_execz .LBB8_2514
; %bb.2518:                             ;   in Loop: Header=BB8_2515 Depth=3
	flat_load_ushort v16, v[10:11] glc slc
	flat_load_ushort v17, v[10:11] offset:128 glc slc
	flat_load_ushort v18, v[10:11] offset:256 glc slc
	;; [unrolled: 1-line block ×7, first 2 shown]
	v_add_co_u32_e32 v10, vcc, 0x400, v10
	v_mov_b32_e32 v12, v54
	v_addc_co_u32_e32 v11, vcc, 0, v11, vcc
	v_mov_b32_e32 v35, v52
	v_mov_b32_e32 v13, v55
	s_branch .LBB8_2514
.LBB8_2519:                             ;   in Loop: Header=BB8_2407 Depth=2
	s_or_b64 exec, exec, s[78:79]
	s_and_b64 s[78:79], s[88:89], exec
.LBB8_2520:                             ;   in Loop: Header=BB8_2407 Depth=2
	s_or_b64 exec, exec, s[44:45]
	s_and_saveexec_b64 s[44:45], s[78:79]
	s_cbranch_execz .LBB8_2522
; %bb.2521:                             ;   in Loop: Header=BB8_2407 Depth=2
	s_waitcnt vmcnt(0)
	flat_store_short v[8:9], v16 glc slc
	flat_store_short v[8:9], v17 offset:128 glc slc
	flat_store_short v[8:9], v18 offset:256 glc slc
	;; [unrolled: 1-line block ×7, first 2 shown]
.LBB8_2522:                             ;   in Loop: Header=BB8_2407 Depth=2
	s_or_b64 exec, exec, s[44:45]
	v_lshlrev_b32_e32 v6, 10, v15
	v_cmp_ne_u32_e32 vcc, v3, v6
	s_and_b64 exec, exec, vcc
	s_cbranch_execz .LBB8_2532
; %bb.2523:                             ;   in Loop: Header=BB8_2407 Depth=2
	v_lshlrev_b32_e32 v7, 6, v12
	v_sub_u32_e32 v7, v14, v7
	v_ashrrev_i32_e32 v8, 31, v7
	v_lshrrev_b32_e32 v8, 26, v8
	v_add_u32_e32 v8, v7, v8
	v_and_b32_e32 v9, 0x7fffffc0, v8
	v_sub_u32_e32 v7, v7, v9
	v_lshlrev_b32_e32 v8, 1, v8
	v_and_b32_e32 v8, 0xffffff80, v8
	v_lshlrev_b32_e32 v7, 1, v7
	v_add3_u32 v7, v8, v7, v6
	v_sub_u32_e32 v6, v3, v7
	v_cmp_lt_i32_e32 vcc, 1, v6
	s_and_b64 exec, exec, vcc
	s_cbranch_execz .LBB8_2532
; %bb.2524:                             ;   in Loop: Header=BB8_2407 Depth=2
	v_add_u32_e32 v3, v7, v4
	v_ashrrev_i32_e32 v4, 31, v3
	v_add_co_u32_e32 v8, vcc, v44, v3
	v_addc_co_u32_e32 v9, vcc, v45, v4, vcc
	v_add_co_u32_e32 v10, vcc, v3, v28
	v_addc_co_u32_e32 v11, vcc, v4, v29, vcc
	s_mov_b64 s[88:89], 0
	s_mov_b64 s[44:45], 0
                                        ; implicit-def: $sgpr78_sgpr79
                                        ; implicit-def: $vgpr3
	s_branch .LBB8_2526
.LBB8_2525:                             ;   in Loop: Header=BB8_2526 Depth=3
	s_or_b64 exec, exec, s[90:91]
	s_waitcnt lgkmcnt(0)
	flat_store_short v[8:9], v4 glc slc
	s_waitcnt vmcnt(0)
	v_add_co_u32_e32 v4, vcc, v8, v12
	v_addc_co_u32_e32 v9, vcc, v9, v13, vcc
	v_add_co_u32_e32 v10, vcc, v10, v12
	v_addc_co_u32_e32 v11, vcc, v11, v13, vcc
	;; [unrolled: 2-line block ×3, first 2 shown]
	v_sub_u32_e32 v6, v6, v7
	v_cmp_gt_i32_e32 vcc, 2, v6
	s_or_b64 s[44:45], vcc, s[44:45]
	s_andn2_b64 s[78:79], s[78:79], exec
	s_and_b64 s[90:91], s[88:89], exec
	s_or_b64 s[78:79], s[78:79], s[90:91]
	s_andn2_b64 exec, exec, s[44:45]
	s_cbranch_execz .LBB8_2530
.LBB8_2526:                             ;   Parent Loop BB8_47 Depth=1
                                        ;     Parent Loop BB8_2407 Depth=2
                                        ; =>    This Inner Loop Header: Depth=3
	flat_load_ushort v4, v[10:11] glc slc
	s_and_saveexec_b64 s[90:91], s[88:89]
	s_cbranch_execz .LBB8_2528
; %bb.2527:                             ;   in Loop: Header=BB8_2526 Depth=3
	buffer_load_dword v7, off, s[0:3], s33 offset:180 ; 4-byte Folded Reload
	s_waitcnt vmcnt(0)
	v_add_co_u32_e32 v12, vcc, v8, v7
	buffer_load_dword v7, off, s[0:3], s33 offset:184 ; 4-byte Folded Reload
	s_waitcnt vmcnt(0)
	v_addc_co_u32_e32 v13, vcc, v9, v7, vcc
	flat_store_short v[8:9], v3 glc slc
	v_mov_b32_e32 v8, v12
	v_mov_b32_e32 v9, v13
.LBB8_2528:                             ;   in Loop: Header=BB8_2526 Depth=3
	s_or_b64 exec, exec, s[90:91]
	buffer_load_dword v7, off, s[0:3], s33 offset:180 ; 4-byte Folded Reload
	v_mov_b32_e32 v12, 0
	v_mov_b32_e32 v13, 0
	s_waitcnt vmcnt(0)
	v_add_co_u32_e32 v10, vcc, v10, v7
	buffer_load_dword v7, off, s[0:3], s33 offset:184 ; 4-byte Folded Reload
	s_waitcnt vmcnt(0)
	v_addc_co_u32_e32 v11, vcc, v11, v7, vcc
	buffer_load_dword v7, off, s[0:3], s33 offset:156 ; 4-byte Folded Reload
	s_waitcnt vmcnt(0)
	v_sub_u32_e32 v6, v6, v7
	v_cmp_lt_i32_e64 s[88:89], 1, v6
	v_mov_b32_e32 v7, 0
	s_and_saveexec_b64 s[90:91], s[88:89]
	s_cbranch_execz .LBB8_2525
; %bb.2529:                             ;   in Loop: Header=BB8_2526 Depth=3
	flat_load_ushort v3, v[10:11] glc slc
	buffer_load_dword v7, off, s[0:3], s33 offset:156 ; 4-byte Folded Reload
	buffer_load_dword v12, off, s[0:3], s33 offset:172 ; 4-byte Folded Reload
	;; [unrolled: 1-line block ×3, first 2 shown]
	v_add_co_u32_e32 v10, vcc, 0x80, v10
	v_addc_co_u32_e32 v11, vcc, 0, v11, vcc
	s_branch .LBB8_2525
.LBB8_2530:                             ;   in Loop: Header=BB8_2407 Depth=2
	s_or_b64 exec, exec, s[44:45]
	s_and_b64 exec, exec, s[78:79]
	s_cbranch_execz .LBB8_2532
; %bb.2531:                             ;   in Loop: Header=BB8_2407 Depth=2
	flat_store_short v[8:9], v3 glc slc
.LBB8_2532:                             ;   in Loop: Header=BB8_2407 Depth=2
	s_or_b64 exec, exec, s[26:27]
	v_cmp_lt_i32_e64 s[26:27], 0, v1
	s_and_saveexec_b64 s[44:45], s[10:11]
	s_cbranch_execz .LBB8_2478
.LBB8_2533:                             ;   in Loop: Header=BB8_2407 Depth=2
	s_and_saveexec_b64 s[78:79], s[58:59]
	s_xor_b64 s[78:79], exec, s[78:79]
	s_cbranch_execz .LBB8_2548
; %bb.2534:                             ;   in Loop: Header=BB8_2407 Depth=2
	s_and_saveexec_b64 s[88:89], s[16:17]
	s_cbranch_execz .LBB8_2547
; %bb.2535:                             ;   in Loop: Header=BB8_2407 Depth=2
	s_mov_b64 s[92:93], exec
	v_mbcnt_lo_u32_b32 v1, s92, 0
	v_mbcnt_hi_u32_b32 v1, s93, v1
	v_cmp_eq_u32_e32 vcc, 0, v1
	s_waitcnt vmcnt(0) lgkmcnt(0)
	buffer_wbinvl1_vol
	s_and_saveexec_b64 s[90:91], vcc
	s_cbranch_execz .LBB8_2537
; %bb.2536:                             ;   in Loop: Header=BB8_2407 Depth=2
	s_bcnt1_i32_b64 s47, s[92:93]
	v_mov_b32_e32 v3, s47
	v_mov_b32_e32 v4, v2
	ds_add_u64 v0, v[3:4]
	s_trap 2
.LBB8_2537:                             ;   in Loop: Header=BB8_2407 Depth=2
	s_or_b64 exec, exec, s[90:91]
	s_trap 2
	ds_read_b64 v[3:4], v0
	s_waitcnt lgkmcnt(0)
	buffer_load_dword v6, off, s[0:3], s33 offset:132 ; 4-byte Folded Reload
	buffer_load_dword v7, off, s[0:3], s33 offset:136 ; 4-byte Folded Reload
	s_waitcnt vmcnt(1)
	v_add_co_u32_e32 v6, vcc, v6, v52
	s_waitcnt vmcnt(0)
	v_addc_co_u32_e32 v7, vcc, 0, v7, vcc
	buffer_store_dword v6, off, s[0:3], s33 offset:132 ; 4-byte Folded Spill
	s_nop 0
	buffer_store_dword v7, off, s[0:3], s33 offset:136 ; 4-byte Folded Spill
	v_cmp_lt_u64_e32 vcc, v[3:4], v[6:7]
	s_and_saveexec_b64 s[90:91], vcc
	s_cbranch_execz .LBB8_2546
; %bb.2538:                             ;   in Loop: Header=BB8_2407 Depth=2
	s_mov_b32 s47, 0
	s_mov_b64 s[92:93], 0
                                        ; implicit-def: $sgpr94_sgpr95
                                        ; implicit-def: $sgpr30_sgpr31
	s_branch .LBB8_2540
.LBB8_2539:                             ;   in Loop: Header=BB8_2540 Depth=3
	s_or_b64 exec, exec, s[36:37]
	s_and_b64 vcc, exec, vcc
	s_or_b64 s[92:93], vcc, s[92:93]
	s_andn2_b64 s[94:95], s[94:95], exec
	s_and_b64 vcc, s[30:31], exec
	s_or_b64 s[94:95], s[94:95], vcc
	s_andn2_b64 exec, exec, s[92:93]
	s_cbranch_execz .LBB8_2544
.LBB8_2540:                             ;   Parent Loop BB8_47 Depth=1
                                        ;     Parent Loop BB8_2407 Depth=2
                                        ; =>    This Inner Loop Header: Depth=3
	s_add_i32 s47, s47, 1
	s_cmpk_lg_i32 s47, 0x2710
	s_cselect_b64 s[34:35], -1, 0
	s_and_b64 vcc, exec, s[34:35]
	s_cbranch_vccz .LBB8_2542
; %bb.2541:                             ;   in Loop: Header=BB8_2540 Depth=3
	s_mov_b64 vcc, -1
	s_or_b64 s[30:31], s[30:31], exec
	s_and_saveexec_b64 s[36:37], s[34:35]
	s_cbranch_execz .LBB8_2539
	s_branch .LBB8_2543
.LBB8_2542:                             ;   in Loop: Header=BB8_2540 Depth=3
	s_trap 2
	ds_read_b64 v[3:4], v0
	s_andn2_b64 s[34:35], s[34:35], exec
	s_mov_b32 s47, 0
	s_waitcnt vmcnt(0) lgkmcnt(0)
	flat_load_dword v1, v[3:4] glc
	s_waitcnt vmcnt(0) lgkmcnt(0)
	buffer_wbinvl1_vol
	v_cmp_eq_u32_e32 vcc, 0, v1
	s_and_b64 vcc, vcc, exec
	s_or_b64 s[34:35], s[34:35], vcc
	s_mov_b64 vcc, -1
	s_or_b64 s[30:31], s[30:31], exec
	s_and_saveexec_b64 s[36:37], s[34:35]
	s_cbranch_execz .LBB8_2539
.LBB8_2543:                             ;   in Loop: Header=BB8_2540 Depth=3
	s_sleep 1
	s_trap 2
	ds_read_b64 v[3:4], v0
	s_waitcnt lgkmcnt(0)
	buffer_load_dword v6, off, s[0:3], s33 offset:132 ; 4-byte Folded Reload
	buffer_load_dword v7, off, s[0:3], s33 offset:136 ; 4-byte Folded Reload
	s_andn2_b64 s[30:31], s[30:31], exec
	s_waitcnt vmcnt(0)
	v_cmp_ge_u64_e32 vcc, v[3:4], v[6:7]
	s_orn2_b64 vcc, vcc, exec
	s_branch .LBB8_2539
.LBB8_2544:                             ;   in Loop: Header=BB8_2407 Depth=2
	s_or_b64 exec, exec, s[92:93]
	s_and_saveexec_b64 s[92:93], s[94:95]
	s_xor_b64 s[92:93], exec, s[92:93]
	s_cbranch_execz .LBB8_2546
; %bb.2545:                             ;   in Loop: Header=BB8_2407 Depth=2
	v_mov_b32_e32 v1, 1
	ds_write_b32 v0, v1
	s_trap 2
.LBB8_2546:                             ;   in Loop: Header=BB8_2407 Depth=2
	s_or_b64 exec, exec, s[90:91]
	;;#ASMSTART
	s_wakeup
	;;#ASMEND
.LBB8_2547:                             ;   in Loop: Header=BB8_2407 Depth=2
	s_or_b64 exec, exec, s[88:89]
.LBB8_2548:                             ;   in Loop: Header=BB8_2407 Depth=2
	s_andn2_saveexec_b64 s[78:79], s[78:79]
	s_cbranch_execz .LBB8_2550
; %bb.2549:                             ;   in Loop: Header=BB8_2407 Depth=2
	s_waitcnt vmcnt(0) lgkmcnt(0)
	buffer_wbinvl1_vol
	s_barrier
.LBB8_2550:                             ;   in Loop: Header=BB8_2407 Depth=2
	s_or_b64 exec, exec, s[78:79]
	s_or_b64 exec, exec, s[44:45]
	s_and_saveexec_b64 s[44:45], s[24:25]
	s_xor_b64 s[44:45], exec, s[44:45]
	s_cbranch_execnz .LBB8_2479
.LBB8_2551:                             ;   in Loop: Header=BB8_2407 Depth=2
	s_andn2_saveexec_b64 s[26:27], s[44:45]
	s_cbranch_execz .LBB8_2570
.LBB8_2552:                             ;   in Loop: Header=BB8_2407 Depth=2
	s_and_saveexec_b64 s[44:45], s[58:59]
	s_xor_b64 s[44:45], exec, s[44:45]
	s_cbranch_execz .LBB8_2567
; %bb.2553:                             ;   in Loop: Header=BB8_2407 Depth=2
	s_and_saveexec_b64 s[78:79], s[16:17]
	s_cbranch_execz .LBB8_2566
; %bb.2554:                             ;   in Loop: Header=BB8_2407 Depth=2
	s_mov_b64 s[90:91], exec
	v_mbcnt_lo_u32_b32 v1, s90, 0
	v_mbcnt_hi_u32_b32 v1, s91, v1
	v_cmp_eq_u32_e32 vcc, 0, v1
	;;#ASMSTART
	s_waitcnt lgkmcnt(0) vmcnt(0)
	;;#ASMEND
	s_and_saveexec_b64 s[88:89], vcc
	s_cbranch_execz .LBB8_2556
; %bb.2555:                             ;   in Loop: Header=BB8_2407 Depth=2
	s_bcnt1_i32_b64 s47, s[90:91]
	v_mov_b32_e32 v3, s47
	v_mov_b32_e32 v4, v2
	s_waitcnt lgkmcnt(0)
	ds_add_u64 v0, v[3:4]
	s_trap 2
.LBB8_2556:                             ;   in Loop: Header=BB8_2407 Depth=2
	s_or_b64 exec, exec, s[88:89]
	s_trap 2
	ds_read_b64 v[3:4], v0
	s_waitcnt lgkmcnt(0)
	buffer_load_dword v6, off, s[0:3], s33 offset:132 ; 4-byte Folded Reload
	buffer_load_dword v7, off, s[0:3], s33 offset:136 ; 4-byte Folded Reload
	s_waitcnt vmcnt(0)
	v_add_co_u32_e32 v6, vcc, v6, v52
	v_addc_co_u32_e32 v7, vcc, 0, v7, vcc
	buffer_store_dword v6, off, s[0:3], s33 offset:132 ; 4-byte Folded Spill
	s_nop 0
	buffer_store_dword v7, off, s[0:3], s33 offset:136 ; 4-byte Folded Spill
	v_cmp_lt_u64_e32 vcc, v[3:4], v[6:7]
	s_and_saveexec_b64 s[88:89], vcc
	s_cbranch_execz .LBB8_2565
; %bb.2557:                             ;   in Loop: Header=BB8_2407 Depth=2
	s_mov_b32 s47, 0
	s_mov_b64 s[90:91], 0
                                        ; implicit-def: $sgpr92_sgpr93
                                        ; implicit-def: $sgpr94_sgpr95
	s_branch .LBB8_2559
.LBB8_2558:                             ;   in Loop: Header=BB8_2559 Depth=3
	s_or_b64 exec, exec, s[34:35]
	s_and_b64 vcc, exec, vcc
	s_or_b64 s[90:91], vcc, s[90:91]
	s_andn2_b64 s[92:93], s[92:93], exec
	s_and_b64 vcc, s[94:95], exec
	s_or_b64 s[92:93], s[92:93], vcc
	s_andn2_b64 exec, exec, s[90:91]
	s_cbranch_execz .LBB8_2563
.LBB8_2559:                             ;   Parent Loop BB8_47 Depth=1
                                        ;     Parent Loop BB8_2407 Depth=2
                                        ; =>    This Inner Loop Header: Depth=3
	s_add_i32 s47, s47, 1
	s_cmpk_lg_i32 s47, 0x2710
	s_cselect_b64 s[30:31], -1, 0
	s_and_b64 vcc, exec, s[30:31]
	s_cbranch_vccz .LBB8_2561
; %bb.2560:                             ;   in Loop: Header=BB8_2559 Depth=3
	s_mov_b64 vcc, -1
	s_or_b64 s[94:95], s[94:95], exec
	s_and_saveexec_b64 s[34:35], s[30:31]
	s_cbranch_execz .LBB8_2558
	s_branch .LBB8_2562
.LBB8_2561:                             ;   in Loop: Header=BB8_2559 Depth=3
	s_trap 2
	ds_read_b64 v[3:4], v0
	s_andn2_b64 s[30:31], s[30:31], exec
	s_mov_b32 s47, 0
	s_waitcnt vmcnt(0) lgkmcnt(0)
	flat_load_dword v1, v[3:4] glc
	s_waitcnt vmcnt(0) lgkmcnt(0)
	buffer_wbinvl1_vol
	v_cmp_eq_u32_e32 vcc, 0, v1
	s_and_b64 vcc, vcc, exec
	s_or_b64 s[30:31], s[30:31], vcc
	s_mov_b64 vcc, -1
	s_or_b64 s[94:95], s[94:95], exec
	s_and_saveexec_b64 s[34:35], s[30:31]
	s_cbranch_execz .LBB8_2558
.LBB8_2562:                             ;   in Loop: Header=BB8_2559 Depth=3
	s_sleep 1
	s_trap 2
	ds_read_b64 v[3:4], v0
	s_waitcnt lgkmcnt(0)
	buffer_load_dword v6, off, s[0:3], s33 offset:132 ; 4-byte Folded Reload
	buffer_load_dword v7, off, s[0:3], s33 offset:136 ; 4-byte Folded Reload
	s_andn2_b64 s[94:95], s[94:95], exec
	s_waitcnt vmcnt(0)
	v_cmp_ge_u64_e32 vcc, v[3:4], v[6:7]
	s_orn2_b64 vcc, vcc, exec
	s_branch .LBB8_2558
.LBB8_2563:                             ;   in Loop: Header=BB8_2407 Depth=2
	s_or_b64 exec, exec, s[90:91]
	s_and_saveexec_b64 s[90:91], s[92:93]
	s_xor_b64 s[90:91], exec, s[90:91]
	s_cbranch_execz .LBB8_2565
; %bb.2564:                             ;   in Loop: Header=BB8_2407 Depth=2
	v_mov_b32_e32 v1, 1
	ds_write_b32 v0, v1
	s_trap 2
.LBB8_2565:                             ;   in Loop: Header=BB8_2407 Depth=2
	s_or_b64 exec, exec, s[88:89]
	;;#ASMSTART
	s_wakeup
	;;#ASMEND
.LBB8_2566:                             ;   in Loop: Header=BB8_2407 Depth=2
	s_or_b64 exec, exec, s[78:79]
.LBB8_2567:                             ;   in Loop: Header=BB8_2407 Depth=2
	s_andn2_saveexec_b64 s[44:45], s[44:45]
	s_cbranch_execz .LBB8_2569
; %bb.2568:                             ;   in Loop: Header=BB8_2407 Depth=2
	;;#ASMSTART
	s_waitcnt lgkmcnt(0) vmcnt(0)
	;;#ASMEND
	s_waitcnt vmcnt(0) lgkmcnt(0)
	s_barrier
.LBB8_2569:                             ;   in Loop: Header=BB8_2407 Depth=2
	s_or_b64 exec, exec, s[44:45]
.LBB8_2570:                             ;   in Loop: Header=BB8_2407 Depth=2
	s_or_b64 exec, exec, s[26:27]
	v_and_b32_e32 v1, 32, v56
	v_cmp_ne_u32_e32 vcc, 0, v1
	s_and_saveexec_b64 s[26:27], vcc
	s_cbranch_execz .LBB8_2406
; %bb.2571:                             ;   in Loop: Header=BB8_2407 Depth=2
	buffer_load_dword v3, off, s[0:3], s33 offset:148 ; 4-byte Folded Reload
	buffer_load_dword v4, off, s[0:3], s33 offset:152 ; 4-byte Folded Reload
	s_waitcnt vmcnt(0)
	v_add_co_u32_e32 v3, vcc, 2, v3
	v_addc_co_u32_e32 v4, vcc, 0, v4, vcc
	buffer_store_dword v3, off, s[0:3], s33 offset:148 ; 4-byte Folded Spill
	s_nop 0
	buffer_store_dword v4, off, s[0:3], s33 offset:152 ; 4-byte Folded Spill
	flat_store_dwordx2 v[40:41], v[3:4]
	s_branch .LBB8_2406
.LBB8_2572:                             ;   in Loop: Header=BB8_47 Depth=1
	s_or_b64 exec, exec, s[40:41]
.LBB8_2573:                             ;   in Loop: Header=BB8_47 Depth=1
	s_or_b64 exec, exec, s[28:29]
	v_cmp_gt_i32_e32 vcc, 2, v1
	s_and_saveexec_b64 s[28:29], vcc
	s_cbranch_execz .LBB8_46
; %bb.2574:                             ;   in Loop: Header=BB8_47 Depth=1
	v_cmp_eq_u32_e64 s[42:43], 0, v1
	s_mov_b64 s[40:41], 0
	s_branch .LBB8_2576
.LBB8_2575:                             ;   in Loop: Header=BB8_2576 Depth=2
	s_or_b64 exec, exec, s[26:27]
	v_add_u32_e32 v0, v5, v0
	s_mov_b64 s[42:43], 0
	s_andn2_b64 exec, exec, s[40:41]
	s_cbranch_execz .LBB8_45
.LBB8_2576:                             ;   Parent Loop BB8_47 Depth=1
                                        ; =>  This Loop Header: Depth=2
                                        ;       Child Loop BB8_2582 Depth 3
                                        ;       Child Loop BB8_2606 Depth 3
	;; [unrolled: 1-line block ×3, first 2 shown]
	v_and_b32_e32 v1, 4, v56
	v_cmp_ne_u32_e32 vcc, 0, v1
	s_and_saveexec_b64 s[44:45], vcc
	s_cbranch_execz .LBB8_2598
; %bb.2577:                             ;   in Loop: Header=BB8_2576 Depth=2
	buffer_load_dword v3, off, s[0:3], s33 offset:148 ; 4-byte Folded Reload
	buffer_load_dword v4, off, s[0:3], s33 offset:152 ; 4-byte Folded Reload
	s_waitcnt vmcnt(0)
	v_add_co_u32_e32 v6, vcc, 2, v3
	v_addc_co_u32_e32 v7, vcc, 0, v4, vcc
	s_waitcnt lgkmcnt(0)
	v_cmp_lt_u64_e32 vcc, v[46:47], v[6:7]
	s_and_saveexec_b64 s[78:79], vcc
	s_cbranch_execz .LBB8_2589
; %bb.2578:                             ;   in Loop: Header=BB8_2576 Depth=2
	v_and_b32_e32 v1, 64, v56
	s_mov_b32 s46, 0
	v_cmp_eq_u32_e32 vcc, 0, v1
	s_mov_b64 s[88:89], 0
                                        ; implicit-def: $sgpr90_sgpr91
                                        ; implicit-def: $sgpr92_sgpr93
                                        ; implicit-def: $sgpr94_sgpr95
	s_branch .LBB8_2582
.LBB8_2579:                             ;   in Loop: Header=BB8_2582 Depth=3
	s_waitcnt vmcnt(0) lgkmcnt(0)
	v_cmp_ge_u64_e64 s[26:27], v[46:47], v[6:7]
	s_or_b64 s[36:37], s[36:37], exec
	s_orn2_b64 s[34:35], s[26:27], exec
.LBB8_2580:                             ;   in Loop: Header=BB8_2582 Depth=3
	s_or_b64 exec, exec, s[48:49]
	s_andn2_b64 s[26:27], s[94:95], exec
	s_and_b64 s[94:95], s[36:37], exec
	s_or_b64 s[94:95], s[26:27], s[94:95]
	s_andn2_b64 s[26:27], s[92:93], exec
	s_and_b64 s[92:93], s[34:35], exec
	s_or_b64 s[92:93], s[26:27], s[92:93]
.LBB8_2581:                             ;   in Loop: Header=BB8_2582 Depth=3
	s_or_b64 exec, exec, s[30:31]
	s_and_b64 s[26:27], exec, s[92:93]
	s_or_b64 s[88:89], s[26:27], s[88:89]
	s_andn2_b64 s[26:27], s[90:91], exec
	s_and_b64 s[90:91], s[94:95], exec
	s_or_b64 s[90:91], s[26:27], s[90:91]
	s_andn2_b64 exec, exec, s[88:89]
	s_cbranch_execz .LBB8_2586
.LBB8_2582:                             ;   Parent Loop BB8_47 Depth=1
                                        ;     Parent Loop BB8_2576 Depth=2
                                        ; =>    This Inner Loop Header: Depth=3
	s_sleep 1
	s_waitcnt vmcnt(0) lgkmcnt(0)
	flat_load_dwordx2 v[46:47], v[40:41] glc
	s_or_b64 s[94:95], s[94:95], exec
	s_or_b64 s[92:93], s[92:93], exec
                                        ; implicit-def: $vgpr1
	s_and_saveexec_b64 s[30:31], vcc
	s_cbranch_execz .LBB8_2581
; %bb.2583:                             ;   in Loop: Header=BB8_2582 Depth=3
	s_cmpk_lt_i32 s46, 0x270f
	s_cselect_b64 s[38:39], -1, 0
	s_cmpk_gt_i32 s46, 0x270e
	s_mov_b64 s[34:35], -1
	s_cbranch_scc0 .LBB8_2585
; %bb.2584:                             ;   in Loop: Header=BB8_2582 Depth=3
	s_trap 2
	ds_read_b64 v[3:4], v0
	s_andn2_b64 s[38:39], s[38:39], exec
	s_mov_b32 s46, 0
	s_mov_b64 s[36:37], 0
	s_waitcnt vmcnt(0) lgkmcnt(0)
	flat_load_dword v1, v[3:4] glc
	s_waitcnt vmcnt(0) lgkmcnt(0)
	buffer_wbinvl1_vol
	v_cmp_eq_u32_e64 s[26:27], 0, v1
	s_and_b64 s[26:27], s[26:27], exec
	s_or_b64 s[38:39], s[38:39], s[26:27]
	s_and_saveexec_b64 s[48:49], s[38:39]
	s_cbranch_execz .LBB8_2580
	s_branch .LBB8_2579
.LBB8_2585:                             ;   in Loop: Header=BB8_2582 Depth=3
	s_add_i32 s46, s46, 1
	s_mov_b64 s[36:37], -1
                                        ; implicit-def: $vgpr1
	s_and_saveexec_b64 s[48:49], s[38:39]
	s_cbranch_execz .LBB8_2580
	s_branch .LBB8_2579
.LBB8_2586:                             ;   in Loop: Header=BB8_2576 Depth=2
	s_or_b64 exec, exec, s[88:89]
	s_xor_b64 s[26:27], s[90:91], -1
	s_and_saveexec_b64 s[46:47], s[26:27]
	s_xor_b64 s[26:27], exec, s[46:47]
	s_cbranch_execz .LBB8_2588
; %bb.2587:                             ;   in Loop: Header=BB8_2576 Depth=2
	v_or_b32_e32 v56, 64, v56
	s_waitcnt lgkmcnt(0)
	ds_write_b32 v0, v1
	s_trap 2
.LBB8_2588:                             ;   in Loop: Header=BB8_2576 Depth=2
	s_or_b64 exec, exec, s[26:27]
.LBB8_2589:                             ;   in Loop: Header=BB8_2576 Depth=2
	s_or_b64 exec, exec, s[78:79]
	;;#ASMSTART
	s_wakeup
	;;#ASMEND
	buffer_load_dword v3, off, s[0:3], s33 offset:148 ; 4-byte Folded Reload
	buffer_load_dword v4, off, s[0:3], s33 offset:152 ; 4-byte Folded Reload
	v_and_b32_e32 v1, 0x100, v56
	v_cmp_ne_u32_e32 vcc, 0, v1
	s_mov_b64 s[26:27], -1
	s_waitcnt vmcnt(0)
	v_and_b32_e32 v1, 7, v3
                                        ; implicit-def: $vgpr3_vgpr4
	s_and_saveexec_b64 s[78:79], vcc
	s_cbranch_execz .LBB8_2593
; %bb.2590:                             ;   in Loop: Header=BB8_2576 Depth=2
	buffer_load_dword v8, off, s[0:3], s33 offset:204 ; 4-byte Folded Reload
	buffer_load_dword v9, off, s[0:3], s33 offset:208 ; 4-byte Folded Reload
	;; [unrolled: 1-line block ×4, first 2 shown]
	s_waitcnt vmcnt(0)
	v_mad_u64_u32 v[8:9], s[26:27], v1, 24, v[8:9]
	flat_load_dword v3, v[8:9]
	s_waitcnt vmcnt(0) lgkmcnt(0)
	v_cmp_ne_u32_e32 vcc, 1, v3
	v_cmp_eq_u32_e64 s[26:27], 1, v3
                                        ; implicit-def: $vgpr3_vgpr4
	s_and_saveexec_b64 s[88:89], s[26:27]
	s_cbranch_execz .LBB8_2592
; %bb.2591:                             ;   in Loop: Header=BB8_2576 Depth=2
	flat_load_dword v3, v[8:9] offset:4 glc
	s_waitcnt vmcnt(0) lgkmcnt(0)
	v_ashrrev_i32_e32 v4, 31, v3
	v_lshrrev_b64 v[3:4], 1, v[3:4]
.LBB8_2592:                             ;   in Loop: Header=BB8_2576 Depth=2
	s_or_b64 exec, exec, s[88:89]
	s_orn2_b64 s[26:27], vcc, exec
.LBB8_2593:                             ;   in Loop: Header=BB8_2576 Depth=2
	s_or_b64 exec, exec, s[78:79]
	s_and_saveexec_b64 s[78:79], s[26:27]
	s_cbranch_execz .LBB8_2595
; %bb.2594:                             ;   in Loop: Header=BB8_2576 Depth=2
	buffer_load_dword v3, off, s[0:3], s33 offset:228 ; 4-byte Folded Reload
	s_waitcnt vmcnt(0)
	v_mad_i64_i32 v[3:4], s[26:27], v1, v3, 0
.LBB8_2595:                             ;   in Loop: Header=BB8_2576 Depth=2
	s_or_b64 exec, exec, s[78:79]
	buffer_load_dword v8, off, s[0:3], s33 offset:196 ; 4-byte Folded Reload
	buffer_load_dword v9, off, s[0:3], s33 offset:200 ; 4-byte Folded Reload
	v_lshlrev_b64 v[3:4], 1, v[3:4]
	v_and_b32_e32 v1, 0x2000, v56
	s_waitcnt vmcnt(0)
	v_add_co_u32_e32 v3, vcc, v8, v3
	v_addc_co_u32_e32 v4, vcc, v9, v4, vcc
	v_cmp_ne_u32_e32 vcc, 0, v1
	ds_write_b64 v0, v[3:4] offset:720
	s_and_saveexec_b64 s[26:27], vcc
	s_cbranch_execz .LBB8_2597
; %bb.2596:                             ;   in Loop: Header=BB8_2576 Depth=2
	ds_read_b64 v[3:4], v0 offset:872
	s_waitcnt lgkmcnt(0)
	v_add_co_u32_e32 v3, vcc, 1, v3
	v_addc_co_u32_e32 v4, vcc, 0, v4, vcc
	ds_write_b64 v0, v[3:4] offset:872
.LBB8_2597:                             ;   in Loop: Header=BB8_2576 Depth=2
	s_or_b64 exec, exec, s[26:27]
	buffer_store_dword v6, off, s[0:3], s33 offset:148 ; 4-byte Folded Spill
	s_nop 0
	buffer_store_dword v7, off, s[0:3], s33 offset:152 ; 4-byte Folded Spill
.LBB8_2598:                             ;   in Loop: Header=BB8_2576 Depth=2
	s_or_b64 exec, exec, s[44:45]
	s_xor_b64 s[26:27], s[42:43], -1
	s_and_b64 s[26:27], exec, s[26:27]
	s_or_b64 s[40:41], s[26:27], s[40:41]
	s_and_saveexec_b64 s[26:27], s[10:11]
	s_cbranch_execz .LBB8_2617
; %bb.2599:                             ;   in Loop: Header=BB8_2576 Depth=2
	s_and_saveexec_b64 s[42:43], s[58:59]
	s_xor_b64 s[42:43], exec, s[42:43]
	s_cbranch_execz .LBB8_2614
; %bb.2600:                             ;   in Loop: Header=BB8_2576 Depth=2
	s_and_saveexec_b64 s[44:45], s[16:17]
	s_cbranch_execz .LBB8_2613
; %bb.2601:                             ;   in Loop: Header=BB8_2576 Depth=2
	s_mov_b64 s[88:89], exec
	v_mbcnt_lo_u32_b32 v1, s88, 0
	v_mbcnt_hi_u32_b32 v1, s89, v1
	v_cmp_eq_u32_e32 vcc, 0, v1
	s_waitcnt vmcnt(0) lgkmcnt(0)
	buffer_wbinvl1_vol
	s_and_saveexec_b64 s[78:79], vcc
	s_cbranch_execz .LBB8_2603
; %bb.2602:                             ;   in Loop: Header=BB8_2576 Depth=2
	s_bcnt1_i32_b64 s46, s[88:89]
	v_mov_b32_e32 v3, s46
	v_mov_b32_e32 v4, v2
	ds_add_u64 v0, v[3:4]
	s_trap 2
.LBB8_2603:                             ;   in Loop: Header=BB8_2576 Depth=2
	s_or_b64 exec, exec, s[78:79]
	s_trap 2
	ds_read_b64 v[3:4], v0
	s_waitcnt lgkmcnt(0)
	buffer_load_dword v6, off, s[0:3], s33 offset:132 ; 4-byte Folded Reload
	buffer_load_dword v7, off, s[0:3], s33 offset:136 ; 4-byte Folded Reload
	s_waitcnt vmcnt(1)
	v_add_co_u32_e32 v6, vcc, v6, v52
	s_waitcnt vmcnt(0)
	v_addc_co_u32_e32 v7, vcc, 0, v7, vcc
	buffer_store_dword v6, off, s[0:3], s33 offset:132 ; 4-byte Folded Spill
	s_nop 0
	buffer_store_dword v7, off, s[0:3], s33 offset:136 ; 4-byte Folded Spill
	v_cmp_lt_u64_e32 vcc, v[3:4], v[6:7]
	s_and_saveexec_b64 s[78:79], vcc
	s_cbranch_execz .LBB8_2612
; %bb.2604:                             ;   in Loop: Header=BB8_2576 Depth=2
	s_mov_b32 s46, 0
	s_mov_b64 s[88:89], 0
                                        ; implicit-def: $sgpr90_sgpr91
                                        ; implicit-def: $sgpr92_sgpr93
	s_branch .LBB8_2606
.LBB8_2605:                             ;   in Loop: Header=BB8_2606 Depth=3
	s_or_b64 exec, exec, s[30:31]
	s_and_b64 s[94:95], exec, vcc
	s_or_b64 s[88:89], s[94:95], s[88:89]
	s_andn2_b64 s[90:91], s[90:91], exec
	s_and_b64 s[94:95], s[92:93], exec
	s_or_b64 s[90:91], s[90:91], s[94:95]
	s_andn2_b64 exec, exec, s[88:89]
	s_cbranch_execz .LBB8_2610
.LBB8_2606:                             ;   Parent Loop BB8_47 Depth=1
                                        ;     Parent Loop BB8_2576 Depth=2
                                        ; =>    This Inner Loop Header: Depth=3
	s_add_i32 s46, s46, 1
	s_cmpk_lg_i32 s46, 0x2710
	s_cselect_b64 s[94:95], -1, 0
	s_and_b64 vcc, exec, s[94:95]
	s_cbranch_vccz .LBB8_2608
; %bb.2607:                             ;   in Loop: Header=BB8_2606 Depth=3
	s_mov_b64 vcc, -1
	s_or_b64 s[92:93], s[92:93], exec
	s_and_saveexec_b64 s[30:31], s[94:95]
	s_cbranch_execz .LBB8_2605
	s_branch .LBB8_2609
.LBB8_2608:                             ;   in Loop: Header=BB8_2606 Depth=3
	s_trap 2
	ds_read_b64 v[3:4], v0
	s_andn2_b64 s[94:95], s[94:95], exec
	s_mov_b32 s46, 0
	s_waitcnt vmcnt(0) lgkmcnt(0)
	flat_load_dword v1, v[3:4] glc
	s_waitcnt vmcnt(0) lgkmcnt(0)
	buffer_wbinvl1_vol
	v_cmp_eq_u32_e32 vcc, 0, v1
	s_and_b64 vcc, vcc, exec
	s_or_b64 s[94:95], s[94:95], vcc
	s_mov_b64 vcc, -1
	s_or_b64 s[92:93], s[92:93], exec
	s_and_saveexec_b64 s[30:31], s[94:95]
	s_cbranch_execz .LBB8_2605
.LBB8_2609:                             ;   in Loop: Header=BB8_2606 Depth=3
	s_sleep 1
	s_trap 2
	ds_read_b64 v[3:4], v0
	s_waitcnt lgkmcnt(0)
	buffer_load_dword v6, off, s[0:3], s33 offset:132 ; 4-byte Folded Reload
	buffer_load_dword v7, off, s[0:3], s33 offset:136 ; 4-byte Folded Reload
	s_andn2_b64 s[92:93], s[92:93], exec
	s_waitcnt vmcnt(0)
	v_cmp_ge_u64_e32 vcc, v[3:4], v[6:7]
	s_orn2_b64 vcc, vcc, exec
	s_branch .LBB8_2605
.LBB8_2610:                             ;   in Loop: Header=BB8_2576 Depth=2
	s_or_b64 exec, exec, s[88:89]
	s_and_saveexec_b64 s[46:47], s[90:91]
	s_xor_b64 s[46:47], exec, s[46:47]
	s_cbranch_execz .LBB8_2612
; %bb.2611:                             ;   in Loop: Header=BB8_2576 Depth=2
	v_mov_b32_e32 v1, 1
	ds_write_b32 v0, v1
	s_trap 2
.LBB8_2612:                             ;   in Loop: Header=BB8_2576 Depth=2
	s_or_b64 exec, exec, s[78:79]
	;;#ASMSTART
	s_wakeup
	;;#ASMEND
.LBB8_2613:                             ;   in Loop: Header=BB8_2576 Depth=2
	s_or_b64 exec, exec, s[44:45]
.LBB8_2614:                             ;   in Loop: Header=BB8_2576 Depth=2
	s_andn2_saveexec_b64 s[42:43], s[42:43]
	s_cbranch_execz .LBB8_2616
; %bb.2615:                             ;   in Loop: Header=BB8_2576 Depth=2
	s_waitcnt vmcnt(0) lgkmcnt(0)
	buffer_wbinvl1_vol
	s_barrier
.LBB8_2616:                             ;   in Loop: Header=BB8_2576 Depth=2
	s_or_b64 exec, exec, s[42:43]
.LBB8_2617:                             ;   in Loop: Header=BB8_2576 Depth=2
	s_or_b64 exec, exec, s[26:27]
	v_sub_u32_e32 v1, v30, v0
	v_min_i32_e32 v5, v5, v1
	s_and_saveexec_b64 s[26:27], s[24:25]
	s_xor_b64 s[26:27], exec, s[26:27]
	s_cbranch_execz .LBB8_2621
; %bb.2618:                             ;   in Loop: Header=BB8_2576 Depth=2
	s_trap 2
	ds_read_b32 v1, v0
	v_cmp_lt_i32_e32 vcc, 0, v5
	s_waitcnt lgkmcnt(0)
	v_readfirstlane_b32 s42, v1
	s_cmp_eq_u32 s42, 0
	s_cselect_b64 s[42:43], -1, 0
	v_and_b32_e32 v1, 16, v56
	s_and_b64 s[42:43], vcc, s[42:43]
	v_cmp_ne_u32_e32 vcc, 0, v1
	s_and_b64 s[44:45], vcc, s[42:43]
	s_and_saveexec_b64 s[42:43], s[44:45]
	s_cbranch_execz .LBB8_2620
; %bb.2619:                             ;   in Loop: Header=BB8_2576 Depth=2
	s_waitcnt vmcnt(0)
	buffer_wbinvl1_vol
.LBB8_2620:                             ;   in Loop: Header=BB8_2576 Depth=2
	s_or_b64 exec, exec, s[42:43]
.LBB8_2621:                             ;   in Loop: Header=BB8_2576 Depth=2
	s_andn2_saveexec_b64 s[26:27], s[26:27]
	s_cbranch_execz .LBB8_2640
; %bb.2622:                             ;   in Loop: Header=BB8_2576 Depth=2
	s_and_saveexec_b64 s[42:43], s[58:59]
	s_xor_b64 s[42:43], exec, s[42:43]
	s_cbranch_execz .LBB8_2637
; %bb.2623:                             ;   in Loop: Header=BB8_2576 Depth=2
	s_and_saveexec_b64 s[44:45], s[16:17]
	s_cbranch_execz .LBB8_2636
; %bb.2624:                             ;   in Loop: Header=BB8_2576 Depth=2
	s_mov_b64 s[88:89], exec
	v_mbcnt_lo_u32_b32 v1, s88, 0
	v_mbcnt_hi_u32_b32 v1, s89, v1
	v_cmp_eq_u32_e32 vcc, 0, v1
	;;#ASMSTART
	s_waitcnt lgkmcnt(0) vmcnt(0)
	;;#ASMEND
	s_and_saveexec_b64 s[78:79], vcc
	s_cbranch_execz .LBB8_2626
; %bb.2625:                             ;   in Loop: Header=BB8_2576 Depth=2
	s_bcnt1_i32_b64 s46, s[88:89]
	v_mov_b32_e32 v3, s46
	v_mov_b32_e32 v4, v2
	s_waitcnt lgkmcnt(0)
	ds_add_u64 v0, v[3:4]
	s_trap 2
.LBB8_2626:                             ;   in Loop: Header=BB8_2576 Depth=2
	s_or_b64 exec, exec, s[78:79]
	s_trap 2
	ds_read_b64 v[3:4], v0
	s_waitcnt lgkmcnt(0)
	buffer_load_dword v6, off, s[0:3], s33 offset:132 ; 4-byte Folded Reload
	buffer_load_dword v7, off, s[0:3], s33 offset:136 ; 4-byte Folded Reload
	s_waitcnt vmcnt(0)
	v_add_co_u32_e32 v6, vcc, v6, v52
	v_addc_co_u32_e32 v7, vcc, 0, v7, vcc
	buffer_store_dword v6, off, s[0:3], s33 offset:132 ; 4-byte Folded Spill
	s_nop 0
	buffer_store_dword v7, off, s[0:3], s33 offset:136 ; 4-byte Folded Spill
	v_cmp_lt_u64_e32 vcc, v[3:4], v[6:7]
	s_and_saveexec_b64 s[78:79], vcc
	s_cbranch_execz .LBB8_2635
; %bb.2627:                             ;   in Loop: Header=BB8_2576 Depth=2
	s_mov_b32 s46, 0
	s_mov_b64 s[88:89], 0
                                        ; implicit-def: $sgpr90_sgpr91
                                        ; implicit-def: $sgpr92_sgpr93
	s_branch .LBB8_2629
.LBB8_2628:                             ;   in Loop: Header=BB8_2629 Depth=3
	s_or_b64 exec, exec, s[30:31]
	s_and_b64 s[94:95], exec, vcc
	s_or_b64 s[88:89], s[94:95], s[88:89]
	s_andn2_b64 s[90:91], s[90:91], exec
	s_and_b64 s[94:95], s[92:93], exec
	s_or_b64 s[90:91], s[90:91], s[94:95]
	s_andn2_b64 exec, exec, s[88:89]
	s_cbranch_execz .LBB8_2633
.LBB8_2629:                             ;   Parent Loop BB8_47 Depth=1
                                        ;     Parent Loop BB8_2576 Depth=2
                                        ; =>    This Inner Loop Header: Depth=3
	s_add_i32 s46, s46, 1
	s_cmpk_lg_i32 s46, 0x2710
	s_cselect_b64 s[94:95], -1, 0
	s_and_b64 vcc, exec, s[94:95]
	s_cbranch_vccz .LBB8_2631
; %bb.2630:                             ;   in Loop: Header=BB8_2629 Depth=3
	s_mov_b64 vcc, -1
	s_or_b64 s[92:93], s[92:93], exec
	s_and_saveexec_b64 s[30:31], s[94:95]
	s_cbranch_execz .LBB8_2628
	s_branch .LBB8_2632
.LBB8_2631:                             ;   in Loop: Header=BB8_2629 Depth=3
	s_trap 2
	ds_read_b64 v[3:4], v0
	s_andn2_b64 s[94:95], s[94:95], exec
	s_mov_b32 s46, 0
	s_waitcnt vmcnt(0) lgkmcnt(0)
	flat_load_dword v1, v[3:4] glc
	s_waitcnt vmcnt(0) lgkmcnt(0)
	buffer_wbinvl1_vol
	v_cmp_eq_u32_e32 vcc, 0, v1
	s_and_b64 vcc, vcc, exec
	s_or_b64 s[94:95], s[94:95], vcc
	s_mov_b64 vcc, -1
	s_or_b64 s[92:93], s[92:93], exec
	s_and_saveexec_b64 s[30:31], s[94:95]
	s_cbranch_execz .LBB8_2628
.LBB8_2632:                             ;   in Loop: Header=BB8_2629 Depth=3
	s_sleep 1
	s_trap 2
	ds_read_b64 v[3:4], v0
	s_waitcnt lgkmcnt(0)
	buffer_load_dword v6, off, s[0:3], s33 offset:132 ; 4-byte Folded Reload
	buffer_load_dword v7, off, s[0:3], s33 offset:136 ; 4-byte Folded Reload
	s_andn2_b64 s[92:93], s[92:93], exec
	s_waitcnt vmcnt(0)
	v_cmp_ge_u64_e32 vcc, v[3:4], v[6:7]
	s_orn2_b64 vcc, vcc, exec
	s_branch .LBB8_2628
.LBB8_2633:                             ;   in Loop: Header=BB8_2576 Depth=2
	s_or_b64 exec, exec, s[88:89]
	s_and_saveexec_b64 s[46:47], s[90:91]
	s_xor_b64 s[46:47], exec, s[46:47]
	s_cbranch_execz .LBB8_2635
; %bb.2634:                             ;   in Loop: Header=BB8_2576 Depth=2
	v_mov_b32_e32 v1, 1
	ds_write_b32 v0, v1
	s_trap 2
.LBB8_2635:                             ;   in Loop: Header=BB8_2576 Depth=2
	s_or_b64 exec, exec, s[78:79]
	;;#ASMSTART
	s_wakeup
	;;#ASMEND
.LBB8_2636:                             ;   in Loop: Header=BB8_2576 Depth=2
	s_or_b64 exec, exec, s[44:45]
.LBB8_2637:                             ;   in Loop: Header=BB8_2576 Depth=2
	s_andn2_saveexec_b64 s[42:43], s[42:43]
	s_cbranch_execz .LBB8_2639
; %bb.2638:                             ;   in Loop: Header=BB8_2576 Depth=2
	;;#ASMSTART
	s_waitcnt lgkmcnt(0) vmcnt(0)
	;;#ASMEND
	s_waitcnt vmcnt(0) lgkmcnt(0)
	s_barrier
.LBB8_2639:                             ;   in Loop: Header=BB8_2576 Depth=2
	s_or_b64 exec, exec, s[42:43]
.LBB8_2640:                             ;   in Loop: Header=BB8_2576 Depth=2
	s_or_b64 exec, exec, s[26:27]
	v_and_b32_e32 v1, 32, v56
	v_cmp_ne_u32_e32 vcc, 0, v1
	s_and_saveexec_b64 s[26:27], vcc
	s_cbranch_execz .LBB8_2575
; %bb.2641:                             ;   in Loop: Header=BB8_2576 Depth=2
	buffer_load_dword v3, off, s[0:3], s33 offset:148 ; 4-byte Folded Reload
	buffer_load_dword v4, off, s[0:3], s33 offset:152 ; 4-byte Folded Reload
	s_waitcnt vmcnt(0)
	v_add_co_u32_e32 v3, vcc, 2, v3
	v_addc_co_u32_e32 v4, vcc, 0, v4, vcc
	buffer_store_dword v3, off, s[0:3], s33 offset:148 ; 4-byte Folded Spill
	s_nop 0
	buffer_store_dword v4, off, s[0:3], s33 offset:152 ; 4-byte Folded Spill
	flat_store_dwordx2 v[40:41], v[3:4]
	s_branch .LBB8_2575
.LBB8_2642:
	s_or_b64 exec, exec, s[60:61]
	buffer_load_dword v1, off, s[0:3], s33 offset:400 ; 4-byte Folded Reload
	buffer_load_dword v31, off, s[0:3], s33 offset:404 ; 4-byte Folded Reload
	;; [unrolled: 1-line block ×3, first 2 shown]
	v_readlane_b32 s28, v62, 2
	v_readlane_b32 s29, v62, 3
.LBB8_2643:
	v_readlane_b32 s4, v62, 0
	v_readlane_b32 s5, v62, 1
	s_or_b64 exec, exec, s[4:5]
	v_and_b32_e32 v0, 0x800, v56
	v_cmp_eq_u32_e32 vcc, 0, v0
	s_and_saveexec_b64 s[6:7], vcc
	s_cbranch_execz .LBB8_2676
; %bb.2644:
	v_and_b32_e32 v0, 48, v56
	v_cmp_ne_u32_e32 vcc, 0, v0
	s_and_saveexec_b64 s[4:5], vcc
	s_cbranch_execz .LBB8_2646
; %bb.2645:
	buffer_load_dword v2, off, s[0:3], s33 offset:392 ; 4-byte Folded Reload
	buffer_load_dword v3, off, s[0:3], s33 offset:396 ; 4-byte Folded Reload
	;; [unrolled: 1-line block ×4, first 2 shown]
	s_waitcnt vmcnt(0)
	flat_store_dwordx2 v[2:3], v[4:5] offset:104
.LBB8_2646:
	s_or_b64 exec, exec, s[4:5]
	s_movk_i32 s4, 0x88
	v_and_b32_e32 v0, 0x88, v56
	v_cmp_eq_u32_e32 vcc, s4, v0
	s_and_saveexec_b64 s[10:11], vcc
	s_cbranch_execz .LBB8_2656
; %bb.2647:
	buffer_load_dword v2, off, s[0:3], s33 offset:148 ; 4-byte Folded Reload
	buffer_load_dword v3, off, s[0:3], s33 offset:152 ; 4-byte Folded Reload
	s_mov_b32 s22, 0
	s_waitcnt vmcnt(0)
	v_add_u32_e32 v0, 6, v2
	buffer_load_dword v2, off, s[0:3], s33 offset:204 ; 4-byte Folded Reload
	buffer_load_dword v3, off, s[0:3], s33 offset:208 ; 4-byte Folded Reload
	;; [unrolled: 1-line block ×4, first 2 shown]
	v_and_b32_e32 v0, 7, v0
	s_waitcnt vmcnt(0)
	v_and_b32_e32 v4, 64, v56
	v_mad_u64_u32 v[5:6], s[4:5], v0, 24, v[2:3]
	v_cmp_eq_u32_e64 s[4:5], 0, v4
	flat_load_dwordx2 v[2:3], v[5:6] offset:8 glc
	s_waitcnt vmcnt(0) lgkmcnt(0)
	v_cmp_ne_u64_e32 vcc, -1, v[2:3]
	s_and_b64 s[4:5], vcc, s[4:5]
	s_and_b64 exec, exec, s[4:5]
	s_cbranch_execz .LBB8_2656
; %bb.2648:
	s_mov_b64 s[4:5], 0
                                        ; implicit-def: $sgpr12_sgpr13
                                        ; implicit-def: $sgpr14_sgpr15
	s_branch .LBB8_2651
.LBB8_2649:                             ;   in Loop: Header=BB8_2651 Depth=1
	flat_load_dwordx2 v[3:4], v[5:6] offset:8 glc
	s_waitcnt vmcnt(0)
	s_andn2_b64 s[14:15], s[14:15], exec
	s_waitcnt lgkmcnt(0)
	v_cmp_eq_u64_e32 vcc, -1, v[3:4]
	s_orn2_b64 s[18:19], vcc, exec
.LBB8_2650:                             ;   in Loop: Header=BB8_2651 Depth=1
	s_or_b64 exec, exec, s[20:21]
	s_and_b64 s[16:17], exec, s[18:19]
	s_or_b64 s[4:5], s[16:17], s[4:5]
	s_andn2_b64 s[12:13], s[12:13], exec
	s_and_b64 s[16:17], s[14:15], exec
	s_or_b64 s[12:13], s[12:13], s[16:17]
	s_andn2_b64 exec, exec, s[4:5]
	s_cbranch_execz .LBB8_2654
.LBB8_2651:                             ; =>This Inner Loop Header: Depth=1
	s_cmpk_lt_i32 s22, 0x270f
	s_cselect_b64 s[16:17], -1, 0
	s_and_b64 vcc, exec, s[16:17]
	s_cbranch_vccnz .LBB8_2653
; %bb.2652:                             ;   in Loop: Header=BB8_2651 Depth=1
	s_trap 2
	ds_read_b64 v[2:3], v0
	s_andn2_b64 s[16:17], s[16:17], exec
	s_mov_b32 s22, 0
	s_waitcnt lgkmcnt(0)
	flat_load_dword v2, v[2:3] glc
	s_waitcnt vmcnt(0) lgkmcnt(0)
	buffer_wbinvl1_vol
	v_cmp_eq_u32_e32 vcc, 0, v2
	s_and_b64 s[18:19], vcc, exec
	s_or_b64 s[16:17], s[16:17], s[18:19]
	s_mov_b64 s[18:19], -1
	s_or_b64 s[14:15], s[14:15], exec
	s_and_saveexec_b64 s[20:21], s[16:17]
	s_cbranch_execz .LBB8_2650
	s_branch .LBB8_2649
.LBB8_2653:                             ;   in Loop: Header=BB8_2651 Depth=1
	s_add_i32 s22, s22, 1
                                        ; implicit-def: $vgpr2
	s_mov_b64 s[18:19], -1
	s_or_b64 s[14:15], s[14:15], exec
	s_and_saveexec_b64 s[20:21], s[16:17]
	s_cbranch_execz .LBB8_2650
	s_branch .LBB8_2649
.LBB8_2654:
	s_or_b64 exec, exec, s[4:5]
	s_and_saveexec_b64 s[4:5], s[12:13]
	s_xor_b64 s[4:5], exec, s[4:5]
	s_cbranch_execz .LBB8_2656
; %bb.2655:
	ds_write_b32 v0, v2
	s_trap 2
.LBB8_2656:
	s_or_b64 exec, exec, s[10:11]
	v_and_b32_e32 v0, 0x2000, v56
	v_cmp_ne_u32_e32 vcc, 0, v0
	s_and_saveexec_b64 s[4:5], vcc
	s_cbranch_execz .LBB8_2658
; %bb.2657:
	s_trap 2
	ds_read_b64 v[2:3], v0
	buffer_load_dword v4, off, s[0:3], s33 offset:412 ; 4-byte Folded Reload
	buffer_load_dword v5, off, s[0:3], s33 offset:416 ; 4-byte Folded Reload
	s_waitcnt vmcnt(0) lgkmcnt(0)
	flat_store_dwordx2 v[4:5], v[2:3] offset:16
.LBB8_2658:
	s_or_b64 exec, exec, s[4:5]
	s_waitcnt vmcnt(0)
	v_cmp_ne_u32_e32 vcc, 64, v1
	s_and_b64 exec, exec, vcc
	s_cbranch_execz .LBB8_2676
; %bb.2659:
	v_cmp_ne_u32_sdwa s[4:5], v1, v20 src0_sel:DWORD src1_sel:WORD_0
	s_and_saveexec_b64 s[10:11], s[4:5]
	s_xor_b64 s[4:5], exec, s[10:11]
	s_cbranch_execz .LBB8_2674
; %bb.2660:
	v_and_b32_e32 v0, 63, v31
	v_cmp_eq_u32_e32 vcc, 0, v0
	s_and_saveexec_b64 s[10:11], vcc
	s_cbranch_execz .LBB8_2673
; %bb.2661:
	s_mov_b64 s[14:15], exec
	v_mbcnt_lo_u32_b32 v0, s14, 0
	v_mbcnt_hi_u32_b32 v0, s15, v0
	v_cmp_eq_u32_e32 vcc, 0, v0
	s_waitcnt lgkmcnt(0)
	buffer_wbinvl1_vol
	s_and_saveexec_b64 s[12:13], vcc
	s_cbranch_execz .LBB8_2663
; %bb.2662:
	s_bcnt1_i32_b64 s14, s[14:15]
	v_mov_b32_e32 v2, s14
	v_mov_b32_e32 v3, 0
	ds_add_u64 v0, v[2:3]
	s_trap 2
.LBB8_2663:
	s_or_b64 exec, exec, s[12:13]
	v_lshrrev_b32_e32 v0, 6, v1
	s_trap 2
	ds_read_b64 v[2:3], v0
	s_waitcnt lgkmcnt(0)
	buffer_load_dword v4, off, s[0:3], s33 offset:132 ; 4-byte Folded Reload
	buffer_load_dword v5, off, s[0:3], s33 offset:136 ; 4-byte Folded Reload
	s_waitcnt vmcnt(1)
	v_add_co_u32_e32 v0, vcc, v4, v0
	s_waitcnt vmcnt(0)
	v_addc_co_u32_e32 v1, vcc, 0, v5, vcc
	v_cmp_lt_u64_e32 vcc, v[2:3], v[0:1]
	s_and_saveexec_b64 s[12:13], vcc
	s_cbranch_execz .LBB8_2672
; %bb.2664:
	s_mov_b32 s26, 0
	s_mov_b64 s[14:15], 0
                                        ; implicit-def: $sgpr16_sgpr17
                                        ; implicit-def: $sgpr18_sgpr19
	s_branch .LBB8_2666
.LBB8_2665:                             ;   in Loop: Header=BB8_2666 Depth=1
	s_or_b64 exec, exec, s[22:23]
	s_and_b64 s[20:21], exec, s[24:25]
	s_or_b64 s[14:15], s[20:21], s[14:15]
	s_andn2_b64 s[16:17], s[16:17], exec
	s_and_b64 s[20:21], s[18:19], exec
	s_or_b64 s[16:17], s[16:17], s[20:21]
	s_andn2_b64 exec, exec, s[14:15]
	s_cbranch_execz .LBB8_2670
.LBB8_2666:                             ; =>This Inner Loop Header: Depth=1
	s_add_i32 s26, s26, 1
	s_cmpk_lg_i32 s26, 0x2710
	s_cselect_b64 s[20:21], -1, 0
	s_and_b64 vcc, exec, s[20:21]
	s_cbranch_vccz .LBB8_2668
; %bb.2667:                             ;   in Loop: Header=BB8_2666 Depth=1
	s_mov_b64 s[24:25], -1
	s_or_b64 s[18:19], s[18:19], exec
	s_and_saveexec_b64 s[22:23], s[20:21]
	s_cbranch_execz .LBB8_2665
	s_branch .LBB8_2669
.LBB8_2668:                             ;   in Loop: Header=BB8_2666 Depth=1
	s_trap 2
	ds_read_b64 v[2:3], v0
	s_andn2_b64 s[20:21], s[20:21], exec
	s_mov_b32 s26, 0
	s_waitcnt lgkmcnt(0)
	flat_load_dword v2, v[2:3] glc
	s_waitcnt vmcnt(0) lgkmcnt(0)
	buffer_wbinvl1_vol
	v_cmp_eq_u32_e32 vcc, 0, v2
	s_and_b64 s[22:23], vcc, exec
	s_or_b64 s[20:21], s[20:21], s[22:23]
	s_mov_b64 s[24:25], -1
	s_or_b64 s[18:19], s[18:19], exec
	s_and_saveexec_b64 s[22:23], s[20:21]
	s_cbranch_execz .LBB8_2665
.LBB8_2669:                             ;   in Loop: Header=BB8_2666 Depth=1
	s_sleep 1
	s_trap 2
	ds_read_b64 v[2:3], v0
	s_waitcnt lgkmcnt(0)
	s_andn2_b64 s[18:19], s[18:19], exec
	v_cmp_ge_u64_e32 vcc, v[2:3], v[0:1]
	s_orn2_b64 s[24:25], vcc, exec
	s_branch .LBB8_2665
.LBB8_2670:
	s_or_b64 exec, exec, s[14:15]
	s_and_saveexec_b64 s[14:15], s[16:17]
	s_xor_b64 s[14:15], exec, s[14:15]
	s_cbranch_execz .LBB8_2672
; %bb.2671:
	v_mov_b32_e32 v0, 1
	ds_write_b32 v0, v0
	s_trap 2
.LBB8_2672:
	s_or_b64 exec, exec, s[12:13]
	;;#ASMSTART
	s_wakeup
	;;#ASMEND
.LBB8_2673:
	s_or_b64 exec, exec, s[10:11]
.LBB8_2674:
	s_andn2_saveexec_b64 s[4:5], s[4:5]
	s_cbranch_execz .LBB8_2676
; %bb.2675:
	s_waitcnt lgkmcnt(0)
	buffer_wbinvl1_vol
	s_barrier
.LBB8_2676:
	s_or_b64 exec, exec, s[6:7]
.LBB8_2677:
	s_andn2_saveexec_b64 s[26:27], s[28:29]
	s_cbranch_execz .LBB8_2679
; %bb.2678:
	s_getpc_b64 s[4:5]
	s_add_u32 s4, s4, __PRETTY_FUNCTION__._ZN10PrimitivesI12hip_bfloat1610FuncMinMaxIS0_E12FanSymmetricILi1EELi0E11ProtoSimpleILi2ELi2ELi0ELi2ELi0ELi0EELi0ELb0ELi0ELi1ELi0EEC2EiiPKiS9_PKvPvmhhhP15ncclDevWorkCollP14ncclDevWorkP2pii@rel32@lo+4
	s_addc_u32 s5, s5, __PRETTY_FUNCTION__._ZN10PrimitivesI12hip_bfloat1610FuncMinMaxIS0_E12FanSymmetricILi1EELi0E11ProtoSimpleILi2ELi2ELi0ELi2ELi0ELi0EELi0ELb0ELi0ELi1ELi0EEC2EiiPKiS9_PKvPvmhhhP15ncclDevWorkCollP14ncclDevWorkP2pii@rel32@hi+12
	s_getpc_b64 s[6:7]
	s_add_u32 s6, s6, __assert_fail@rel32@lo+4
	s_addc_u32 s7, s7, __assert_fail@rel32@hi+12
	v_mov_b32_e32 v0, s4
	s_waitcnt vmcnt(0)
	v_mov_b32_e32 v1, s5
	s_swappc_b64 s[30:31], s[6:7]
	; divergent unreachable
.LBB8_2679:
	s_or_b64 exec, exec, s[26:27]
	buffer_load_dword v61, off, s[0:3], s33 ; 4-byte Folded Reload
	buffer_load_dword v60, off, s[0:3], s33 offset:4 ; 4-byte Folded Reload
	buffer_load_dword v59, off, s[0:3], s33 offset:8 ; 4-byte Folded Reload
	;; [unrolled: 1-line block ×5, first 2 shown]
	s_waitcnt lgkmcnt(0)
	buffer_load_dword v47, off, s[0:3], s33 offset:24 ; 4-byte Folded Reload
	buffer_load_dword v46, off, s[0:3], s33 offset:28 ; 4-byte Folded Reload
	;; [unrolled: 1-line block ×8, first 2 shown]
	v_readlane_b32 s30, v63, 32
	v_readlane_b32 s31, v63, 33
	;; [unrolled: 1-line block ×34, first 2 shown]
	s_mov_b32 s32, s33
	v_readlane_b32 s4, v63, 34
	s_or_saveexec_b64 s[6:7], -1
	buffer_load_dword v63, off, s[0:3], s33 offset:420 ; 4-byte Folded Reload
	buffer_load_dword v62, off, s[0:3], s33 offset:424 ; 4-byte Folded Reload
	s_mov_b64 exec, s[6:7]
	s_mov_b32 s33, s4
	s_waitcnt vmcnt(0)
	s_setpc_b64 s[30:31]
.Lfunc_end8:
	.size	_ZN12_GLOBAL__N_17runRingI12hip_bfloat1610FuncMinMaxIS1_E11ProtoSimpleILi2ELi2ELi0ELi2ELi0ELi0EELi0ELi0ELi2ELi1EEEviiP15ncclDevWorkColl, .Lfunc_end8-_ZN12_GLOBAL__N_17runRingI12hip_bfloat1610FuncMinMaxIS1_E11ProtoSimpleILi2ELi2ELi0ELi2ELi0ELi0EELi0ELi0ELi2ELi1EEEviiP15ncclDevWorkColl
                                        ; -- End function
	.set .L_ZN12_GLOBAL__N_17runRingI12hip_bfloat1610FuncMinMaxIS1_E11ProtoSimpleILi2ELi2ELi0ELi2ELi0ELi0EELi0ELi0ELi2ELi1EEEviiP15ncclDevWorkColl.num_vgpr, max(64, .L__assert_fail.num_vgpr)
	.set .L_ZN12_GLOBAL__N_17runRingI12hip_bfloat1610FuncMinMaxIS1_E11ProtoSimpleILi2ELi2ELi0ELi2ELi0ELi0EELi0ELi0ELi2ELi1EEEviiP15ncclDevWorkColl.num_agpr, max(0, .L__assert_fail.num_agpr)
	.set .L_ZN12_GLOBAL__N_17runRingI12hip_bfloat1610FuncMinMaxIS1_E11ProtoSimpleILi2ELi2ELi0ELi2ELi0ELi0EELi0ELi0ELi2ELi1EEEviiP15ncclDevWorkColl.numbered_sgpr, max(98, .L__assert_fail.numbered_sgpr)
	.set .L_ZN12_GLOBAL__N_17runRingI12hip_bfloat1610FuncMinMaxIS1_E11ProtoSimpleILi2ELi2ELi0ELi2ELi0ELi0EELi0ELi0ELi2ELi1EEEviiP15ncclDevWorkColl.num_named_barrier, max(0, .L__assert_fail.num_named_barrier)
	.set .L_ZN12_GLOBAL__N_17runRingI12hip_bfloat1610FuncMinMaxIS1_E11ProtoSimpleILi2ELi2ELi0ELi2ELi0ELi0EELi0ELi0ELi2ELi1EEEviiP15ncclDevWorkColl.private_seg_size, 432+max(.L__assert_fail.private_seg_size)
	.set .L_ZN12_GLOBAL__N_17runRingI12hip_bfloat1610FuncMinMaxIS1_E11ProtoSimpleILi2ELi2ELi0ELi2ELi0ELi0EELi0ELi0ELi2ELi1EEEviiP15ncclDevWorkColl.uses_vcc, or(1, .L__assert_fail.uses_vcc)
	.set .L_ZN12_GLOBAL__N_17runRingI12hip_bfloat1610FuncMinMaxIS1_E11ProtoSimpleILi2ELi2ELi0ELi2ELi0ELi0EELi0ELi0ELi2ELi1EEEviiP15ncclDevWorkColl.uses_flat_scratch, or(0, .L__assert_fail.uses_flat_scratch)
	.set .L_ZN12_GLOBAL__N_17runRingI12hip_bfloat1610FuncMinMaxIS1_E11ProtoSimpleILi2ELi2ELi0ELi2ELi0ELi0EELi0ELi0ELi2ELi1EEEviiP15ncclDevWorkColl.has_dyn_sized_stack, or(0, .L__assert_fail.has_dyn_sized_stack)
	.set .L_ZN12_GLOBAL__N_17runRingI12hip_bfloat1610FuncMinMaxIS1_E11ProtoSimpleILi2ELi2ELi0ELi2ELi0ELi0EELi0ELi0ELi2ELi1EEEviiP15ncclDevWorkColl.has_recursion, or(1, .L__assert_fail.has_recursion)
	.set .L_ZN12_GLOBAL__N_17runRingI12hip_bfloat1610FuncMinMaxIS1_E11ProtoSimpleILi2ELi2ELi0ELi2ELi0ELi0EELi0ELi0ELi2ELi1EEEviiP15ncclDevWorkColl.has_indirect_call, or(0, .L__assert_fail.has_indirect_call)
	.section	.AMDGPU.csdata,"",@progbits
; Function info:
; codeLenInByte = 88428
; TotalNumSgprs: 102
; NumVgprs: 64
; ScratchSize: 496
; MemoryBound: 1
	.text
	.p2align	2                               ; -- Begin function _Z51ncclDevFunc_AllReduce_RING_SIMPLE_MinMax_bf16_0_1_2v
	.type	_Z51ncclDevFunc_AllReduce_RING_SIMPLE_MinMax_bf16_0_1_2v,@function
_Z51ncclDevFunc_AllReduce_RING_SIMPLE_MinMax_bf16_0_1_2v: ; @_Z51ncclDevFunc_AllReduce_RING_SIMPLE_MinMax_bf16_0_1_2v
; %bb.0:
	s_waitcnt vmcnt(0) expcnt(0) lgkmcnt(0)
	s_mov_b32 s4, s33
	s_mov_b32 s33, s32
	s_or_saveexec_b64 s[6:7], -1
	buffer_store_dword v43, off, s[0:3], s33 offset:20 ; 4-byte Folded Spill
	buffer_store_dword v44, off, s[0:3], s33 offset:24 ; 4-byte Folded Spill
	s_mov_b64 exec, s[6:7]
	v_writelane_b32 v44, s4, 38
	v_writelane_b32 v44, s100, 36
	;; [unrolled: 1-line block ×3, first 2 shown]
	s_addk_i32 s32, 0x800
	buffer_store_dword v40, off, s[0:3], s33 offset:12 ; 4-byte Folded Spill
	buffer_store_dword v41, off, s[0:3], s33 offset:8 ; 4-byte Folded Spill
	;; [unrolled: 1-line block ×3, first 2 shown]
	buffer_store_dword v62, off, s[0:3], s33 ; 4-byte Folded Spill
	v_writelane_b32 v44, s34, 0
	v_writelane_b32 v44, s35, 1
	;; [unrolled: 1-line block ×36, first 2 shown]
	s_trap 2
	ds_read_b32 v0, v0
	v_mov_b32_e32 v40, v31
                                        ; implicit-def: $vgpr43 : SGPR spill to VGPR lane
	v_and_b32_e32 v41, 0x3ff, v40
	s_mov_b32 s99, s12
	v_writelane_b32 v43, s8, 0
	s_waitcnt lgkmcnt(0)
	v_cmp_lt_i32_e32 vcc, v41, v0
	v_writelane_b32 v43, s9, 1
	s_and_saveexec_b64 s[4:5], vcc
	s_cbranch_execz .LBB9_5
; %bb.1:
	v_readlane_b32 s8, v43, 0
	v_readlane_b32 s9, v43, 1
	s_load_dword s6, s[8:9], 0x0
	v_mov_b32_e32 v1, 0
	s_mov_b32 s10, 0
	v_mov_b32_e32 v4, v41
                                        ; implicit-def: $vgpr3
	s_waitcnt lgkmcnt(0)
	s_cmp_lt_u32 s99, s6
	s_cselect_b32 s6, 12, 18
	s_add_u32 s6, s8, s6
	s_addc_u32 s7, s9, 0
	global_load_ushort v1, v1, s[6:7]
	s_trap 2
	ds_read_b32 v2, v0
	s_mov_b64 s[6:7], 0
	s_waitcnt vmcnt(0) lgkmcnt(0)
	v_mul_lo_u32 v2, v2, v1
	s_branch .LBB9_3
.LBB9_2:                                ;   in Loop: Header=BB9_3 Depth=1
	s_or_b64 exec, exec, s[8:9]
	v_add_u32_e32 v4, v4, v1
	v_cmp_ge_i32_e32 vcc, v4, v0
	s_or_b64 s[6:7], vcc, s[6:7]
	v_add_u32_e32 v3, v3, v2
	s_andn2_b64 exec, exec, s[6:7]
	s_cbranch_execz .LBB9_5
.LBB9_3:                                ; =>This Inner Loop Header: Depth=1
	ds_read_b32 v5, v3
	s_waitcnt lgkmcnt(0)
	v_and_b32_e32 v5, 0x1000000, v5
	v_cmp_ne_u32_e32 vcc, 0, v5
	s_and_saveexec_b64 s[8:9], vcc
	s_cbranch_execz .LBB9_2
; %bb.4:                                ;   in Loop: Header=BB9_3 Depth=1
	ds_read_b64 v[5:6], v3 offset:104
	s_waitcnt lgkmcnt(0)
	flat_load_ushort v5, v[5:6]
	v_mov_b32_e32 v6, s10
	s_waitcnt vmcnt(0) lgkmcnt(0)
	v_and_b32_e32 v5, 0xffff, v5
	ds_write_b64 v3, v[5:6] offset:104
	s_branch .LBB9_2
.LBB9_5:
	s_or_b64 exec, exec, s[4:5]
	s_waitcnt vmcnt(0) lgkmcnt(0)
	s_barrier
	s_trap 2
	ds_read_b32 v0, v0
	s_waitcnt lgkmcnt(0)
	v_cmp_gt_i32_e32 vcc, 1, v0
	s_cbranch_vccnz .LBB9_13
; %bb.6:
	s_mov_b32 s98, 0
	v_mov_b32_e32 v42, 6
	s_branch .LBB9_8
.LBB9_7:                                ;   in Loop: Header=BB9_8 Depth=1
	s_or_b64 exec, exec, s[6:7]
	s_trap 2
	ds_read_b32 v0, v0
	s_add_i32 s98, s98, 1
	s_waitcnt lgkmcnt(0)
	v_cmp_lt_i32_e32 vcc, s98, v0
	s_cbranch_vccz .LBB9_13
.LBB9_8:                                ; =>This Inner Loop Header: Depth=1
	s_trap 2
	ds_read_b32 v0, v0
	s_cmp_eq_u32 s98, 0
	s_cbranch_scc1 .LBB9_11
; %bb.9:                                ;   in Loop: Header=BB9_8 Depth=1
	s_trap 2
	s_waitcnt lgkmcnt(0)
	ds_read_b32 v1, v0
	s_waitcnt lgkmcnt(0)
	v_xor_b32_e32 v1, v1, v0
	v_and_b32_e32 v1, 0xff0000, v1
	v_cmp_eq_u32_e32 vcc, 0, v1
	s_cbranch_vccnz .LBB9_11
; %bb.10:                               ;   in Loop: Header=BB9_8 Depth=1
	s_barrier
	ds_read_b32 v0, v0
.LBB9_11:                               ;   in Loop: Header=BB9_8 Depth=1
	s_waitcnt lgkmcnt(0)
	v_lshlrev_b32_sdwa v1, v42, v0 dst_sel:DWORD dst_unused:UNUSED_PAD src0_sel:DWORD src1_sel:BYTE_2
	v_cmp_lt_u32_e32 vcc, v41, v1
	s_and_saveexec_b64 s[6:7], vcc
	s_cbranch_execz .LBB9_7
; %bb.12:                               ;   in Loop: Header=BB9_8 Depth=1
	v_writelane_b32 v43, s6, 2
	s_mov_b64 s[4:5], src_shared_base
	v_writelane_b32 v43, s7, 3
	s_or_saveexec_b64 s[100:101], -1
	buffer_store_dword v43, off, s[0:3], s33 offset:16 ; 4-byte Folded Spill
	s_mov_b64 exec, s[100:101]
	v_readlane_b32 s8, v43, 0
	s_getpc_b64 s[6:7]
	s_add_u32 s6, s6, _ZN12_GLOBAL__N_17runRingI12hip_bfloat1610FuncMinMaxIS1_E11ProtoSimpleILi2ELi2ELi0ELi2ELi0ELi0EELi0ELi0ELi2ELi1EEEviiP15ncclDevWorkColl@rel32@lo+4
	s_addc_u32 s7, s7, _ZN12_GLOBAL__N_17runRingI12hip_bfloat1610FuncMinMaxIS1_E11ProtoSimpleILi2ELi2ELi0ELi2ELi0ELi0EELi0ELi0ELi2ELi1EEEviiP15ncclDevWorkColl@rel32@hi+12
	v_readlane_b32 s9, v43, 1
	s_mov_b32 s12, s99
	v_mov_b32_e32 v31, v40
	v_mov_b32_e32 v0, v41
	;; [unrolled: 1-line block ×3, first 2 shown]
	s_swappc_b64 s[30:31], s[6:7]
	s_or_saveexec_b64 s[100:101], -1
	buffer_load_dword v43, off, s[0:3], s33 offset:16 ; 4-byte Folded Reload
	s_mov_b64 exec, s[100:101]
	s_waitcnt vmcnt(0)
	v_readlane_b32 s6, v43, 2
	v_readlane_b32 s7, v43, 3
	s_branch .LBB9_7
.LBB9_13:
	buffer_load_dword v62, off, s[0:3], s33 ; 4-byte Folded Reload
	buffer_load_dword v42, off, s[0:3], s33 offset:4 ; 4-byte Folded Reload
	buffer_load_dword v41, off, s[0:3], s33 offset:8 ; 4-byte Folded Reload
	buffer_load_dword v40, off, s[0:3], s33 offset:12 ; 4-byte Folded Reload
	v_readlane_b32 s30, v44, 34
	v_readlane_b32 s31, v44, 35
	;; [unrolled: 1-line block ×36, first 2 shown]
	s_mov_b32 s32, s33
	v_readlane_b32 s4, v44, 38
	v_readlane_b32 s100, v44, 36
	;; [unrolled: 1-line block ×3, first 2 shown]
	s_or_saveexec_b64 s[6:7], -1
	buffer_load_dword v43, off, s[0:3], s33 offset:20 ; 4-byte Folded Reload
	buffer_load_dword v44, off, s[0:3], s33 offset:24 ; 4-byte Folded Reload
	s_mov_b64 exec, s[6:7]
	s_mov_b32 s33, s4
	s_waitcnt vmcnt(0)
	s_setpc_b64 s[30:31]
.Lfunc_end9:
	.size	_Z51ncclDevFunc_AllReduce_RING_SIMPLE_MinMax_bf16_0_1_2v, .Lfunc_end9-_Z51ncclDevFunc_AllReduce_RING_SIMPLE_MinMax_bf16_0_1_2v
                                        ; -- End function
	.set .L_Z51ncclDevFunc_AllReduce_RING_SIMPLE_MinMax_bf16_0_1_2v.num_vgpr, max(63, .L_ZN12_GLOBAL__N_17runRingI12hip_bfloat1610FuncMinMaxIS1_E11ProtoSimpleILi2ELi2ELi0ELi2ELi0ELi0EELi0ELi0ELi2ELi1EEEviiP15ncclDevWorkColl.num_vgpr)
	.set .L_Z51ncclDevFunc_AllReduce_RING_SIMPLE_MinMax_bf16_0_1_2v.num_agpr, max(0, .L_ZN12_GLOBAL__N_17runRingI12hip_bfloat1610FuncMinMaxIS1_E11ProtoSimpleILi2ELi2ELi0ELi2ELi0ELi0EELi0ELi0ELi2ELi1EEEviiP15ncclDevWorkColl.num_agpr)
	.set .L_Z51ncclDevFunc_AllReduce_RING_SIMPLE_MinMax_bf16_0_1_2v.numbered_sgpr, max(102, .L_ZN12_GLOBAL__N_17runRingI12hip_bfloat1610FuncMinMaxIS1_E11ProtoSimpleILi2ELi2ELi0ELi2ELi0ELi0EELi0ELi0ELi2ELi1EEEviiP15ncclDevWorkColl.numbered_sgpr)
	.set .L_Z51ncclDevFunc_AllReduce_RING_SIMPLE_MinMax_bf16_0_1_2v.num_named_barrier, max(0, .L_ZN12_GLOBAL__N_17runRingI12hip_bfloat1610FuncMinMaxIS1_E11ProtoSimpleILi2ELi2ELi0ELi2ELi0ELi0EELi0ELi0ELi2ELi1EEEviiP15ncclDevWorkColl.num_named_barrier)
	.set .L_Z51ncclDevFunc_AllReduce_RING_SIMPLE_MinMax_bf16_0_1_2v.private_seg_size, 32+max(.L_ZN12_GLOBAL__N_17runRingI12hip_bfloat1610FuncMinMaxIS1_E11ProtoSimpleILi2ELi2ELi0ELi2ELi0ELi0EELi0ELi0ELi2ELi1EEEviiP15ncclDevWorkColl.private_seg_size)
	.set .L_Z51ncclDevFunc_AllReduce_RING_SIMPLE_MinMax_bf16_0_1_2v.uses_vcc, or(1, .L_ZN12_GLOBAL__N_17runRingI12hip_bfloat1610FuncMinMaxIS1_E11ProtoSimpleILi2ELi2ELi0ELi2ELi0ELi0EELi0ELi0ELi2ELi1EEEviiP15ncclDevWorkColl.uses_vcc)
	.set .L_Z51ncclDevFunc_AllReduce_RING_SIMPLE_MinMax_bf16_0_1_2v.uses_flat_scratch, or(0, .L_ZN12_GLOBAL__N_17runRingI12hip_bfloat1610FuncMinMaxIS1_E11ProtoSimpleILi2ELi2ELi0ELi2ELi0ELi0EELi0ELi0ELi2ELi1EEEviiP15ncclDevWorkColl.uses_flat_scratch)
	.set .L_Z51ncclDevFunc_AllReduce_RING_SIMPLE_MinMax_bf16_0_1_2v.has_dyn_sized_stack, or(0, .L_ZN12_GLOBAL__N_17runRingI12hip_bfloat1610FuncMinMaxIS1_E11ProtoSimpleILi2ELi2ELi0ELi2ELi0ELi0EELi0ELi0ELi2ELi1EEEviiP15ncclDevWorkColl.has_dyn_sized_stack)
	.set .L_Z51ncclDevFunc_AllReduce_RING_SIMPLE_MinMax_bf16_0_1_2v.has_recursion, or(1, .L_ZN12_GLOBAL__N_17runRingI12hip_bfloat1610FuncMinMaxIS1_E11ProtoSimpleILi2ELi2ELi0ELi2ELi0ELi0EELi0ELi0ELi2ELi1EEEviiP15ncclDevWorkColl.has_recursion)
	.set .L_Z51ncclDevFunc_AllReduce_RING_SIMPLE_MinMax_bf16_0_1_2v.has_indirect_call, or(0, .L_ZN12_GLOBAL__N_17runRingI12hip_bfloat1610FuncMinMaxIS1_E11ProtoSimpleILi2ELi2ELi0ELi2ELi0ELi0EELi0ELi0ELi2ELi1EEEviiP15ncclDevWorkColl.has_indirect_call)
	.section	.AMDGPU.csdata,"",@progbits
; Function info:
; codeLenInByte = 1340
; TotalNumSgprs: 106
; NumVgprs: 64
; ScratchSize: 528
; MemoryBound: 0
	.text
	.p2align	2                               ; -- Begin function _ZN12_GLOBAL__N_17runRingI12hip_bfloat1610FuncMinMaxIS1_E11ProtoSimpleILi2ELi2ELi0ELi4ELi0ELi0EELi0ELi0ELi4ELi0EEEviiP15ncclDevWorkColl
	.type	_ZN12_GLOBAL__N_17runRingI12hip_bfloat1610FuncMinMaxIS1_E11ProtoSimpleILi2ELi2ELi0ELi4ELi0ELi0EELi0ELi0ELi4ELi0EEEviiP15ncclDevWorkColl,@function
_ZN12_GLOBAL__N_17runRingI12hip_bfloat1610FuncMinMaxIS1_E11ProtoSimpleILi2ELi2ELi0ELi4ELi0ELi0EELi0ELi0ELi4ELi0EEEviiP15ncclDevWorkColl: ; @_ZN12_GLOBAL__N_17runRingI12hip_bfloat1610FuncMinMaxIS1_E11ProtoSimpleILi2ELi2ELi0ELi4ELi0ELi0EELi0ELi0ELi4ELi0EEEviiP15ncclDevWorkColl
; %bb.0:
	s_waitcnt vmcnt(0) expcnt(0) lgkmcnt(0)
	s_mov_b32 s4, s33
	s_mov_b32 s33, s32
	s_or_saveexec_b64 s[6:7], -1
	buffer_store_dword v63, off, s[0:3], s33 offset:308 ; 4-byte Folded Spill
	s_mov_b64 exec, s[6:7]
	v_writelane_b32 v63, s4, 33
	s_addk_i32 s32, 0x5000
	buffer_store_dword v40, off, s[0:3], s33 offset:56 ; 4-byte Folded Spill
	buffer_store_dword v41, off, s[0:3], s33 offset:52 ; 4-byte Folded Spill
	;; [unrolled: 1-line block ×14, first 2 shown]
	buffer_store_dword v62, off, s[0:3], s33 ; 4-byte Folded Spill
	v_writelane_b32 v63, s34, 0
	v_writelane_b32 v63, s35, 1
	;; [unrolled: 1-line block ×33, first 2 shown]
	buffer_store_dword v31, off, s[0:3], s33 offset:292 ; 4-byte Folded Spill
	buffer_store_dword v1, off, s[0:3], s33 offset:280 ; 4-byte Folded Spill
	s_trap 2
	flat_load_dword v5, v[2:3]
	ds_read_b32 v6, v0
	v_mov_b32_e32 v55, v0
                                        ; implicit-def: $vgpr0_vgpr1
                                        ; implicit-def: $vgpr7_vgpr8
                                        ; kill: killed $vgpr7_vgpr8
                                        ; implicit-def: $vgpr18_vgpr19
	s_waitcnt lgkmcnt(0)
	v_readfirstlane_b32 s54, v6
	s_waitcnt vmcnt(0)
	v_cmp_ne_u32_sdwa s[4:5], v6, v5 src0_sel:DWORD src1_sel:BYTE_0
	s_and_saveexec_b64 s[6:7], s[4:5]
	s_xor_b64 s[4:5], exec, s[6:7]
	s_cbranch_execz .LBB10_6
; %bb.1:
	v_not_b32_sdwa v4, v5 dst_sel:DWORD dst_unused:UNUSED_PAD src0_sel:BYTE_0
	v_cmp_ne_u32_sdwa s[6:7], v6, v5 src0_sel:DWORD src1_sel:BYTE_1
                                        ; implicit-def: $vgpr0_vgpr1
                                        ; implicit-def: $vgpr7_vgpr8
                                        ; kill: killed $vgpr7_vgpr8
                                        ; implicit-def: $vgpr18_vgpr19
	s_and_saveexec_b64 s[10:11], s[6:7]
	s_xor_b64 s[6:7], exec, s[10:11]
	s_cbranch_execz .LBB10_3
; %bb.2:
	flat_load_dwordx4 v[7:10], v[2:3] offset:72
	flat_load_dwordx2 v[0:1], v[2:3] offset:96
	v_add_u32_e32 v4, v6, v4
	v_ashrrev_i32_e32 v5, 31, v4
	s_waitcnt vmcnt(0) lgkmcnt(0)
	v_mul_lo_u32 v5, v9, v5
	v_mad_u64_u32 v[6:7], s[10:11], v9, v4, v[7:8]
	v_mul_lo_u32 v4, v10, v4
	v_mov_b32_e32 v19, v10
	v_lshrrev_b64 v[0:1], 13, v[0:1]
	v_mov_b32_e32 v18, v9
	v_add3_u32 v7, v4, v7, v5
	buffer_store_dword v6, off, s[0:3], s33 offset:248 ; 4-byte Folded Spill
	s_nop 0
	buffer_store_dword v7, off, s[0:3], s33 offset:252 ; 4-byte Folded Spill
                                        ; implicit-def: $vgpr5
                                        ; implicit-def: $vgpr4
.LBB10_3:
	s_andn2_saveexec_b64 s[6:7], s[6:7]
	s_cbranch_execz .LBB10_5
; %bb.4:
	flat_load_dwordx4 v[6:9], v[2:3] offset:72
	flat_load_dwordx4 v[18:21], v[2:3] offset:88
	v_add_u32_sdwa v0, v5, v4 dst_sel:DWORD dst_unused:UNUSED_PAD src0_sel:BYTE_1 src1_sel:DWORD
	v_ashrrev_i32_e32 v1, 31, v0
	s_waitcnt vmcnt(0) lgkmcnt(0)
	v_mul_lo_u32 v1, v8, v1
	v_mad_u64_u32 v[4:5], s[10:11], v8, v0, v[6:7]
	v_mul_lo_u32 v0, v9, v0
	v_add3_u32 v5, v0, v5, v1
	v_lshrrev_b32_e32 v0, 2, v21
	buffer_store_dword v4, off, s[0:3], s33 offset:248 ; 4-byte Folded Spill
	s_nop 0
	buffer_store_dword v5, off, s[0:3], s33 offset:252 ; 4-byte Folded Spill
.LBB10_5:
	s_or_b64 exec, exec, s[6:7]
.LBB10_6:
	s_andn2_saveexec_b64 s[4:5], s[4:5]
	s_cbranch_execz .LBB10_8
; %bb.7:
	flat_load_dwordx2 v[0:1], v[2:3] offset:96
	flat_load_dwordx2 v[18:19], v[2:3] offset:72
	v_mov_b32_e32 v4, 0
	v_mov_b32_e32 v5, 0
	buffer_store_dword v4, off, s[0:3], s33 offset:248 ; 4-byte Folded Spill
	s_nop 0
	buffer_store_dword v5, off, s[0:3], s33 offset:252 ; 4-byte Folded Spill
	s_waitcnt vmcnt(0) lgkmcnt(0)
	v_lshlrev_b64 v[0:1], 8, v[0:1]
.LBB10_8:
	s_or_b64 exec, exec, s[4:5]
	s_trap 2
	ds_read_b64 v[4:5], v0
	s_waitcnt lgkmcnt(0)
	v_cmp_ne_u32_e32 vcc, -1, v4
	v_cndmask_b32_e64 v1, 0, 1, vcc
	v_cmp_ne_u32_e32 vcc, -1, v5
	buffer_load_dword v5, off, s[0:3], s33 offset:280 ; 4-byte Folded Reload
	v_addc_co_u32_e64 v8, s[4:5], 0, v1, vcc
	v_lshlrev_b32_e32 v4, 1, v8
	s_waitcnt vmcnt(0)
	v_cmp_le_u32_e64 s[4:5], v4, v5
	s_and_saveexec_b64 s[6:7], s[4:5]
	s_xor_b64 s[46:47], exec, s[6:7]
	s_cbranch_execz .LBB10_1925
; %bb.9:
	flat_load_dwordx4 v[10:13], v[2:3] offset:16
	flat_load_dwordx2 v[4:5], v[2:3] offset:104
	flat_load_ushort v7, v[2:3] offset:8
	flat_load_dword v6, v[2:3] offset:4
	s_trap 2
	s_load_dword s4, s[8:9], 0x0
	v_mov_b32_e32 v9, 0
	v_mov_b32_e32 v62, 4
	s_waitcnt lgkmcnt(0)
	s_cmp_lt_u32 s12, s4
	s_cselect_b32 s4, 12, 18
	s_add_u32 s4, s8, s4
	s_addc_u32 s5, s9, 0
	global_load_ushort v9, v9, s[4:5]
	v_cmp_ge_u32_e64 s[4:5], v55, v1
	s_waitcnt vmcnt(0)
	buffer_store_dword v9, off, s[0:3], s33 offset:296 ; 4-byte Folded Spill
	ds_read_b32 v9, v0
	s_waitcnt lgkmcnt(0)
	v_readfirstlane_b32 s24, v9
	s_and_saveexec_b64 s[6:7], s[4:5]
	s_cbranch_execz .LBB10_19
; %bb.10:
	v_cmp_ge_u32_e64 s[4:5], v55, v8
                                        ; implicit-def: $vgpr62
	s_and_saveexec_b64 s[10:11], s[4:5]
	s_xor_b64 s[4:5], exec, s[10:11]
	s_cbranch_execz .LBB10_16
; %bb.11:
	buffer_load_dword v14, off, s[0:3], s33 offset:280 ; 4-byte Folded Reload
	v_cndmask_b32_e64 v9, 0, 1, vcc
	s_waitcnt vmcnt(0)
	v_sub_u32_e32 v9, v14, v9
	v_cmp_ge_u32_e32 vcc, v55, v9
	s_and_saveexec_b64 s[10:11], vcc
	s_xor_b64 s[10:11], exec, s[10:11]
; %bb.12:
                                        ; implicit-def: $vgpr8
; %bb.13:
	s_or_saveexec_b64 s[10:11], s[10:11]
	v_mov_b32_e32 v62, 16
	s_xor_b64 exec, exec, s[10:11]
	s_cbranch_execz .LBB10_15
; %bb.14:
	buffer_load_dword v9, off, s[0:3], s33 offset:280 ; 4-byte Folded Reload
	s_waitcnt vmcnt(0)
	v_sub_u32_e32 v8, v9, v8
	v_cmp_lt_i32_e32 vcc, v55, v8
	v_cndmask_b32_e64 v62, 32, 0, vcc
.LBB10_15:
	s_or_b64 exec, exec, s[10:11]
.LBB10_16:
	s_andn2_saveexec_b64 s[4:5], s[4:5]
; %bb.17:
	v_mov_b32_e32 v62, 8
; %bb.18:
	s_or_b64 exec, exec, s[4:5]
.LBB10_19:
	s_or_b64 exec, exec, s[6:7]
	v_and_b32_e32 v8, 36, v62
	v_cmp_ne_u32_e32 vcc, 0, v8
	v_mov_b32_e32 v8, -1
	s_and_saveexec_b64 s[4:5], vcc
	s_cbranch_execz .LBB10_21
; %bb.20:
	s_trap 2
	ds_read_b32 v8, v0
.LBB10_21:
	s_or_b64 exec, exec, s[4:5]
	v_and_b32_e32 v9, 24, v62
	v_cmp_ne_u32_e64 s[4:5], 0, v9
	s_and_saveexec_b64 s[6:7], s[4:5]
	s_cbranch_execz .LBB10_23
; %bb.22:
	s_trap 2
	s_waitcnt lgkmcnt(0)
	ds_read_b32 v8, v0
.LBB10_23:
	s_or_b64 exec, exec, s[6:7]
	v_mov_b32_e32 v14, 0
	v_mov_b32_e32 v15, 0
	v_lshrrev_b64 v[6:7], 31, v[6:7]
	buffer_store_dword v14, off, s[0:3], s33 offset:284 ; 4-byte Folded Spill
	s_nop 0
	buffer_store_dword v15, off, s[0:3], s33 offset:288 ; 4-byte Folded Spill
	v_mov_b32_e32 v42, 0
                                        ; implicit-def: $vgpr14_vgpr15
	v_mov_b32_e32 v43, 0
	v_and_b32_e32 v6, 3, v6
                                        ; kill: killed $vgpr14_vgpr15
                                        ; implicit-def: $vgpr14_vgpr15
                                        ; implicit-def: $vgpr54
                                        ; kill: killed $vgpr14_vgpr15
                                        ; implicit-def: $vgpr14_vgpr15
                                        ; kill: killed $vgpr14_vgpr15
                                        ; implicit-def: $vgpr56_vgpr57
                                        ; implicit-def: $vgpr40_vgpr41
	s_and_saveexec_b64 s[4:5], vcc
	s_cbranch_execz .LBB10_33
; %bb.24:
	s_trap 2
	ds_read_b64 v[14:15], v0
	s_waitcnt lgkmcnt(1)
	v_ashrrev_i32_e32 v9, 31, v8
	v_lshlrev_b64 v[16:17], 3, v[8:9]
	v_and_b32_e32 v7, 0xffff, v6
	s_movk_i32 s6, 0xa8
	s_waitcnt lgkmcnt(0)
	v_add_co_u32_e32 v14, vcc, v14, v16
	v_addc_co_u32_e32 v15, vcc, v15, v17, vcc
	flat_load_dwordx2 v[14:15], v[14:15]
                                        ; implicit-def: $vgpr16_vgpr17
                                        ; kill: killed $vgpr16_vgpr17
	s_waitcnt vmcnt(0) lgkmcnt(0)
	v_mad_u64_u32 v[14:15], s[6:7], v7, s6, v[14:15]
	flat_load_dword v7, v[14:15] offset:640
	s_waitcnt vmcnt(0) lgkmcnt(0)
	v_cmp_eq_u32_e32 vcc, 1, v7
	s_and_saveexec_b64 s[6:7], vcc
	s_cbranch_execz .LBB10_26
; %bb.25:
	flat_load_dwordx2 v[20:21], v[14:15] offset:648
	v_or_b32_e32 v62, 0x2000, v62
	s_waitcnt vmcnt(0) lgkmcnt(0)
	flat_load_dwordx2 v[16:17], v[20:21]
	s_trap 2
	s_waitcnt vmcnt(0) lgkmcnt(0)
	ds_write_b64 v0, v[16:17]
	flat_load_dwordx2 v[16:17], v[20:21] offset:8
	s_waitcnt vmcnt(0) lgkmcnt(0)
	ds_write_b64 v0, v[16:17]
	buffer_store_dword v20, off, s[0:3], s33 offset:300 ; 4-byte Folded Spill
	s_nop 0
	buffer_store_dword v21, off, s[0:3], s33 offset:304 ; 4-byte Folded Spill
	flat_load_dwordx2 v[16:17], v[20:21] offset:16
	s_waitcnt vmcnt(0) lgkmcnt(0)
	ds_write_b64 v0, v[16:17]
.LBB10_26:
	s_or_b64 exec, exec, s[6:7]
	flat_load_dwordx2 v[16:17], v[14:15] offset:608
	v_and_b32_e32 v7, 32, v62
                                        ; implicit-def: $vgpr40_vgpr41
	s_waitcnt vmcnt(0) lgkmcnt(0)
	v_add_co_u32_e32 v9, vcc, 3, v16
	v_addc_co_u32_e32 v17, vcc, 0, v17, vcc
	v_and_b32_e32 v16, -4, v9
	v_cmp_ne_u32_e32 vcc, 0, v7
	buffer_store_dword v16, off, s[0:3], s33 offset:60 ; 4-byte Folded Spill
	s_nop 0
	buffer_store_dword v17, off, s[0:3], s33 offset:64 ; 4-byte Folded Spill
	s_and_saveexec_b64 s[6:7], vcc
	s_cbranch_execz .LBB10_28
; %bb.27:
	flat_load_dwordx2 v[40:41], v[14:15] offset:560
	buffer_load_dword v16, off, s[0:3], s33 offset:60 ; 4-byte Folded Reload
	buffer_load_dword v17, off, s[0:3], s33 offset:64 ; 4-byte Folded Reload
	s_waitcnt vmcnt(0) lgkmcnt(0)
	flat_store_dwordx2 v[40:41], v[16:17]
.LBB10_28:
	s_or_b64 exec, exec, s[6:7]
	v_add_co_u32_e32 v16, vcc, 0x1f8, v14
	v_addc_co_u32_e32 v17, vcc, 0, v15, vcc
	v_and_b32_e32 v7, 4, v62
	v_mov_b32_e32 v42, 0
	buffer_store_dword v16, off, s[0:3], s33 offset:284 ; 4-byte Folded Spill
	s_nop 0
	buffer_store_dword v17, off, s[0:3], s33 offset:288 ; 4-byte Folded Spill
	v_mov_b32_e32 v43, 0
	v_cmp_ne_u32_e32 vcc, 0, v7
                                        ; implicit-def: $vgpr54
                                        ; implicit-def: $vgpr16_vgpr17
                                        ; kill: killed $vgpr16_vgpr17
                                        ; implicit-def: $vgpr56_vgpr57
	s_and_saveexec_b64 s[6:7], vcc
	s_cbranch_execz .LBB10_32
; %bb.29:
	v_and_b32_e32 v7, 0x800, v62
	v_cmp_eq_u32_e32 vcc, 0, v7
	s_and_saveexec_b64 s[10:11], vcc
	s_cbranch_execz .LBB10_31
; %bb.30:
	s_trap 2
	buffer_load_dword v16, off, s[0:3], s33 offset:284 ; 4-byte Folded Reload
	buffer_load_dword v17, off, s[0:3], s33 offset:288 ; 4-byte Folded Reload
	s_waitcnt vmcnt(0)
	ds_write_b64 v0, v[16:17]
.LBB10_31:
	s_or_b64 exec, exec, s[10:11]
	flat_load_dwordx2 v[40:41], v[14:15] offset:552
	v_or_b32_e32 v9, 0x100, v62
	s_waitcnt vmcnt(0) lgkmcnt(0)
	flat_load_dwordx2 v[56:57], v[40:41] glc
	flat_load_dword v7, v[14:15] offset:576
	flat_load_dwordx2 v[42:43], v[14:15] offset:600
	s_nop 0
	flat_load_dwordx2 v[14:15], v[14:15] offset:520
	s_waitcnt vmcnt(0) lgkmcnt(0)
	buffer_store_dword v14, off, s[0:3], s33 offset:84 ; 4-byte Folded Spill
	s_nop 0
	buffer_store_dword v15, off, s[0:3], s33 offset:88 ; 4-byte Folded Spill
	v_cmp_eq_u64_e32 vcc, 0, v[42:43]
	v_ashrrev_i32_e32 v54, 1, v7
	v_cndmask_b32_e32 v62, v9, v62, vcc
.LBB10_32:
	s_or_b64 exec, exec, s[6:7]
.LBB10_33:
	s_or_b64 exec, exec, s[4:5]
	v_and_b32_e32 v7, 24, v62
	v_cmp_ne_u32_e32 vcc, 0, v7
                                        ; implicit-def: $vgpr14_vgpr15
                                        ; kill: killed $vgpr14_vgpr15
	s_and_saveexec_b64 s[4:5], vcc
	s_cbranch_execz .LBB10_41
; %bb.34:
	s_trap 2
	ds_read_b64 v[14:15], v0
	s_waitcnt lgkmcnt(0)
	v_ashrrev_i32_e32 v9, 31, v8
	v_lshlrev_b64 v[7:8], 3, v[8:9]
	v_and_b32_e32 v6, 0xffff, v6
	s_movk_i32 s6, 0xa8
	v_add_co_u32_e32 v7, vcc, v14, v7
	v_addc_co_u32_e32 v8, vcc, v15, v8, vcc
	flat_load_dwordx2 v[7:8], v[7:8]
	s_waitcnt vmcnt(0) lgkmcnt(0)
	v_mad_u64_u32 v[6:7], s[6:7], v6, s6, v[7:8]
	buffer_store_dword v6, off, s[0:3], s33 offset:284 ; 4-byte Folded Spill
	s_nop 0
	buffer_store_dword v7, off, s[0:3], s33 offset:288 ; 4-byte Folded Spill
	flat_load_dwordx4 v[42:45], v[6:7] offset:96
	v_or_b32_e32 v6, 0x100, v62
	s_waitcnt vmcnt(0) lgkmcnt(0)
	v_cmp_eq_u64_e32 vcc, 0, v[42:43]
	v_cndmask_b32_e32 v62, v6, v62, vcc
	v_and_b32_e32 v6, 16, v62
	v_cmp_ne_u32_e32 vcc, 0, v6
                                        ; implicit-def: $vgpr6_vgpr7
                                        ; kill: killed $vgpr6_vgpr7
	s_and_saveexec_b64 s[6:7], vcc
	s_cbranch_execz .LBB10_36
; %bb.35:
	buffer_load_dword v6, off, s[0:3], s33 offset:284 ; 4-byte Folded Reload
	buffer_load_dword v7, off, s[0:3], s33 offset:288 ; 4-byte Folded Reload
	s_waitcnt vmcnt(0)
	flat_load_dwordx2 v[40:41], v[6:7] offset:48
	flat_load_dwordx2 v[8:9], v[6:7] offset:120
	s_waitcnt vmcnt(0) lgkmcnt(0)
	buffer_store_dword v8, off, s[0:3], s33 offset:92 ; 4-byte Folded Spill
	s_nop 0
	buffer_store_dword v9, off, s[0:3], s33 offset:96 ; 4-byte Folded Spill
	flat_load_dwordx2 v[6:7], v[6:7] offset:16
	s_waitcnt vmcnt(0) lgkmcnt(0)
	buffer_store_dword v6, off, s[0:3], s33 offset:84 ; 4-byte Folded Spill
	s_nop 0
	buffer_store_dword v7, off, s[0:3], s33 offset:88 ; 4-byte Folded Spill
.LBB10_36:
	s_or_b64 exec, exec, s[6:7]
	v_add_co_u32_e32 v6, vcc, 3, v44
	v_addc_co_u32_e32 v7, vcc, 0, v45, vcc
	v_and_b32_e32 v6, -4, v6
	buffer_store_dword v6, off, s[0:3], s33 offset:60 ; 4-byte Folded Spill
	s_nop 0
	buffer_store_dword v7, off, s[0:3], s33 offset:64 ; 4-byte Folded Spill
	v_and_b32_e32 v6, 8, v62
	v_cmp_ne_u32_e32 vcc, 0, v6
	s_and_saveexec_b64 s[6:7], vcc
	s_cbranch_execz .LBB10_40
; %bb.37:
	v_and_b32_e32 v6, 0x800, v62
	v_cmp_eq_u32_e32 vcc, 0, v6
	s_and_saveexec_b64 s[10:11], vcc
	s_cbranch_execz .LBB10_39
; %bb.38:
	s_trap 2
	buffer_load_dword v6, off, s[0:3], s33 offset:284 ; 4-byte Folded Reload
	buffer_load_dword v7, off, s[0:3], s33 offset:288 ; 4-byte Folded Reload
	s_waitcnt vmcnt(0)
	ds_write_b64 v0, v[6:7]
.LBB10_39:
	s_or_b64 exec, exec, s[10:11]
	buffer_load_dword v7, off, s[0:3], s33 offset:284 ; 4-byte Folded Reload
	buffer_load_dword v8, off, s[0:3], s33 offset:288 ; 4-byte Folded Reload
	s_waitcnt vmcnt(0)
	flat_load_dwordx2 v[40:41], v[7:8] offset:56
	s_waitcnt vmcnt(0) lgkmcnt(0)
	flat_load_dwordx2 v[56:57], v[40:41] glc
	flat_load_dword v6, v[7:8] offset:72
	s_nop 0
	flat_load_dwordx2 v[7:8], v[7:8] offset:16
	s_waitcnt vmcnt(0) lgkmcnt(0)
	buffer_store_dword v7, off, s[0:3], s33 offset:84 ; 4-byte Folded Spill
	s_nop 0
	buffer_store_dword v8, off, s[0:3], s33 offset:88 ; 4-byte Folded Spill
	v_ashrrev_i32_e32 v54, 1, v6
.LBB10_40:
	s_or_b64 exec, exec, s[6:7]
.LBB10_41:
	s_or_b64 exec, exec, s[4:5]
	v_cmp_eq_u32_e64 s[4:5], 0, v55
	s_and_saveexec_b64 s[6:7], s[4:5]
	s_cbranch_execz .LBB10_43
; %bb.42:
	flat_load_dwordx2 v[6:7], v[2:3] offset:32
	s_waitcnt lgkmcnt(0)
	v_mov_b32_e32 v8, v12
	v_mov_b32_e32 v9, v13
	ds_write2_b64 v0, v[8:9], v[10:11] offset1:1
	s_trap 2
	s_waitcnt vmcnt(0)
	ds_write_b64 v0, v[6:7]
	ds_write_b64 v0, v[4:5]
.LBB10_43:
	s_or_b64 exec, exec, s[6:7]
	v_mov_b32_e32 v46, 0
	v_cmp_lt_i64_e32 vcc, 0, v[18:19]
	v_mov_b32_e32 v47, 0
	s_and_saveexec_b64 s[56:57], vcc
	s_cbranch_execz .LBB10_1891
; %bb.44:
	flat_load_dword v3, v[2:3] offset:4
	v_and_b32_e32 v9, 0x1fffff00, v0
	buffer_load_dword v4, off, s[0:3], s33 offset:280 ; 4-byte Folded Reload
	buffer_load_dword v0, off, s[0:3], s33 offset:292 ; 4-byte Folded Reload
	s_trap 2
	buffer_load_dword v5, off, s[0:3], s33 offset:296 ; 4-byte Folded Reload
	v_mov_b32_e32 v2, 0
	v_mov_b32_e32 v10, v2
	v_and_b32_e32 v7, 63, v55
	s_waitcnt lgkmcnt(0)
	v_lshrrev_b32_e32 v8, 6, v55
	v_cmp_lt_u32_e64 s[20:21], v7, v1
	v_cmp_le_u32_e64 s[22:23], v7, v1
	s_ashr_i32 s18, s24, 31
	s_movk_i32 s25, 0x400
	s_lshr_b32 s27, s18, 29
	s_add_i32 s27, s24, s27
	s_movk_i32 s26, 0x80
	s_ashr_i32 s55, s54, 31
	s_ashr_i32 s28, s27, 4
	s_add_u32 s71, s54, -1
	s_addc_u32 s80, s55, -1
	s_add_i32 s81, s54, s54
	v_mov_b32_e32 v16, 0
	v_mov_b32_e32 v46, 0
	s_mov_b32 s59, 0
	v_ashrrev_i32_e32 v59, 31, v54
	s_mov_b64 s[62:63], 0
	s_movk_i32 s64, 0xfc00
	s_movk_i32 s65, 0xff80
	;; [unrolled: 1-line block ×4, first 2 shown]
	s_mov_b32 s68, 0x7f800000
	s_movk_i32 s69, 0x7fff
	s_mov_b32 s70, 0xffff0000
	v_cmp_eq_u32_e64 s[18:19], 0, v7
	v_mov_b32_e32 v17, 0
	v_mov_b32_e32 v47, 0
	s_waitcnt vmcnt(0)
	v_lshrrev_b32_e32 v44, 6, v4
	v_and_b32_e32 v0, 63, v0
	v_lshlrev_b32_e32 v1, 12, v44
	v_cmp_ne_u32_sdwa s[60:61], v4, v5 src0_sel:DWORD src1_sel:WORD_0
	buffer_load_dword v5, off, s[0:3], s33 offset:92 ; 4-byte Folded Reload
	buffer_load_dword v6, off, s[0:3], s33 offset:96 ; 4-byte Folded Reload
	s_nop 0
	buffer_store_dword v9, off, s[0:3], s33 offset:200 ; 4-byte Folded Spill
	s_nop 0
	buffer_store_dword v10, off, s[0:3], s33 offset:204 ; 4-byte Folded Spill
	v_lshlrev_b32_e32 v45, 10, v44
	buffer_store_dword v1, off, s[0:3], s33 offset:72 ; 4-byte Folded Spill
	v_cmp_ge_u32_e32 vcc, v55, v4
	v_cmp_eq_u32_e64 s[6:7], 64, v4
	v_cmp_ne_u32_e64 s[10:11], 64, v4
	v_lshlrev_b32_e32 v4, 1, v4
	v_and_b32_e32 v53, 0x7f80, v4
	buffer_store_dword v7, off, s[0:3], s33 offset:188 ; 4-byte Folded Spill
	v_add_u32_e32 v4, 0xffffff80, v53
	buffer_store_dword v8, off, s[0:3], s33 offset:152 ; 4-byte Folded Spill
	v_lshlrev_b32_e32 v58, 11, v44
	v_lshlrev_b32_e32 v14, 13, v44
	v_mad_i64_i32 v[12:13], s[16:17], v9, s54, 0
	v_cmp_eq_u32_e64 s[16:17], 0, v0
	v_lshlrev_b32_e32 v0, 4, v7
	v_lshl_or_b32 v1, v8, 12, v0
	buffer_store_dword v1, off, s[0:3], s33 offset:184 ; 4-byte Folded Spill
	v_add_u32_e32 v1, 0xfffffc00, v45
	v_lshl_or_b32 v15, v8, 13, v0
	v_ashrrev_i32_e32 v0, 31, v1
	buffer_store_dword v1, off, s[0:3], s33 offset:120 ; 4-byte Folded Spill
	v_add_co_u32_e64 v1, s[24:25], s25, v1
	buffer_store_dword v1, off, s[0:3], s33 offset:128 ; 4-byte Folded Spill
	buffer_store_dword v0, off, s[0:3], s33 offset:124 ; 4-byte Folded Spill
	v_addc_co_u32_e64 v0, s[24:25], 0, v0, s[24:25]
	s_waitcnt vmcnt(9)
	v_cmp_eq_u64_e64 s[12:13], 0, v[5:6]
	v_cmp_ne_u64_e64 s[14:15], 0, v[5:6]
	v_ashrrev_i32_e32 v5, 31, v4
	buffer_store_dword v0, off, s[0:3], s33 offset:132 ; 4-byte Folded Spill
	buffer_store_dword v4, off, s[0:3], s33 offset:104 ; 4-byte Folded Spill
	v_add_co_u32_e64 v0, s[24:25], s26, v4
	buffer_store_dword v0, off, s[0:3], s33 offset:112 ; 4-byte Folded Spill
	buffer_store_dword v5, off, s[0:3], s33 offset:108 ; 4-byte Folded Spill
	v_addc_co_u32_e64 v0, s[24:25], 0, v5, s[24:25]
	s_not_b32 s24, s54
	s_cmp_gt_i32 s54, 0
	s_cselect_b32 s24, s24, -1
	s_ashr_i32 s25, s27, 31
	s_add_i32 s82, s24, s81
	s_lshr_b32 s24, s25, 28
	s_add_i32 s28, s28, s24
	buffer_store_dword v0, off, s[0:3], s33 offset:116 ; 4-byte Folded Spill
	s_ashr_i32 s83, s82, 31
	s_ashr_i32 s84, s28, 4
	v_and_b32_e32 v0, 1, v3
	s_cmp_gt_i32 s54, 2
	v_cmp_eq_u32_e64 s[24:25], 1, v0
	s_cselect_b64 s[72:73], -1, 0
	s_add_i32 s26, s54, 1
	s_xor_b64 s[74:75], s[24:25], -1
	s_cmp_ge_i32 s26, s54
	s_cselect_b32 s27, s54, 0
	s_sub_i32 s86, s26, s27
	v_mov_b32_e32 v0, v42
	s_add_i32 s85, s54, -2
	s_xor_b64 s[76:77], vcc, -1
	s_ashr_i32 s78, s55, 31
	s_ashr_i32 s87, s86, 31
	v_mov_b32_e32 v1, v43
	buffer_store_dword v55, off, s[0:3], s33 offset:164 ; 4-byte Folded Spill
	buffer_store_dword v0, off, s[0:3], s33 offset:168 ; 4-byte Folded Spill
	s_nop 0
	buffer_store_dword v1, off, s[0:3], s33 offset:172 ; 4-byte Folded Spill
	buffer_store_dword v2, off, s[0:3], s33 offset:176 ; 4-byte Folded Spill
	;; [unrolled: 1-line block ×10, first 2 shown]
	s_nop 0
	buffer_store_dword v19, off, s[0:3], s33 offset:260 ; 4-byte Folded Spill
	buffer_store_dword v20, off, s[0:3], s33 offset:264 ; 4-byte Folded Spill
	;; [unrolled: 1-line block ×4, first 2 shown]
	s_nop 0
	buffer_store_dword v13, off, s[0:3], s33 offset:276 ; 4-byte Folded Spill
	buffer_store_dword v14, off, s[0:3], s33 offset:216 ; 4-byte Folded Spill
	;; [unrolled: 1-line block ×3, first 2 shown]
	s_branch .LBB10_47
.LBB10_45:                              ;   in Loop: Header=BB10_47 Depth=1
	s_or_b64 exec, exec, s[40:41]
.LBB10_46:                              ;   in Loop: Header=BB10_47 Depth=1
	s_or_b64 exec, exec, s[28:29]
	buffer_load_dword v12, off, s[0:3], s33 offset:272 ; 4-byte Folded Reload
	buffer_load_dword v13, off, s[0:3], s33 offset:276 ; 4-byte Folded Reload
	;; [unrolled: 1-line block ×10, first 2 shown]
	s_waitcnt vmcnt(0)
	v_add_co_u32_e32 v16, vcc, v16, v12
	v_addc_co_u32_e32 v17, vcc, v17, v13, vcc
	v_cmp_ge_i64_e32 vcc, v[16:17], v[18:19]
	s_or_b64 s[62:63], vcc, s[62:63]
	s_andn2_b64 exec, exec, s[62:63]
	s_cbranch_execz .LBB10_1890
.LBB10_47:                              ; =>This Loop Header: Depth=1
                                        ;     Child Loop BB10_57 Depth 2
                                        ;       Child Loop BB10_65 Depth 3
                                        ;       Child Loop BB10_89 Depth 3
                                        ;       Child Loop BB10_108 Depth 3
                                        ;       Child Loop BB10_135 Depth 3
                                        ;       Child Loop BB10_140 Depth 3
                                        ;       Child Loop BB10_146 Depth 3
                                        ;       Child Loop BB10_151 Depth 3
                                        ;       Child Loop BB10_160 Depth 3
                                        ;       Child Loop BB10_179 Depth 3
                                        ;     Child Loop BB10_197 Depth 2
                                        ;       Child Loop BB10_203 Depth 3
                                        ;       Child Loop BB10_227 Depth 3
	;; [unrolled: 1-line block ×3, first 2 shown]
                                        ;     Child Loop BB10_269 Depth 2
                                        ;       Child Loop BB10_272 Depth 3
                                        ;         Child Loop BB10_280 Depth 4
                                        ;         Child Loop BB10_308 Depth 4
	;; [unrolled: 1-line block ×9, first 2 shown]
                                        ;       Child Loop BB10_645 Depth 3
                                        ;         Child Loop BB10_651 Depth 4
                                        ;         Child Loop BB10_679 Depth 4
	;; [unrolled: 1-line block ×3, first 2 shown]
                                        ;     Child Loop BB10_720 Depth 2
                                        ;       Child Loop BB10_728 Depth 3
                                        ;       Child Loop BB10_756 Depth 3
	;; [unrolled: 1-line block ×9, first 2 shown]
                                        ;         Child Loop BB10_970 Depth 4
                                        ;       Child Loop BB10_978 Depth 3
                                        ;       Child Loop BB10_1046 Depth 3
                                        ;         Child Loop BB10_1051 Depth 4
                                        ;       Child Loop BB10_1315 Depth 3
                                        ;       Child Loop BB10_1334 Depth 3
                                        ;     Child Loop BB10_1353 Depth 2
                                        ;       Child Loop BB10_1359 Depth 3
                                        ;       Child Loop BB10_1387 Depth 3
	;; [unrolled: 1-line block ×3, first 2 shown]
                                        ;     Child Loop BB10_1428 Depth 2
                                        ;       Child Loop BB10_1431 Depth 3
                                        ;         Child Loop BB10_1439 Depth 4
                                        ;         Child Loop BB10_1467 Depth 4
	;; [unrolled: 1-line block ×9, first 2 shown]
                                        ;           Child Loop BB10_1521 Depth 5
                                        ;         Child Loop BB10_1528 Depth 4
                                        ;         Child Loop BB10_1533 Depth 4
                                        ;           Child Loop BB10_1534 Depth 5
                                        ;         Child Loop BB10_1570 Depth 4
                                        ;         Child Loop BB10_1589 Depth 4
                                        ;       Child Loop BB10_1607 Depth 3
                                        ;         Child Loop BB10_1613 Depth 4
                                        ;         Child Loop BB10_1641 Depth 4
	;; [unrolled: 1-line block ×3, first 2 shown]
                                        ;     Child Loop BB10_1686 Depth 2
                                        ;       Child Loop BB10_1694 Depth 3
                                        ;       Child Loop BB10_1718 Depth 3
	;; [unrolled: 1-line block ×9, first 2 shown]
                                        ;     Child Loop BB10_1824 Depth 2
                                        ;       Child Loop BB10_1830 Depth 3
                                        ;       Child Loop BB10_1854 Depth 3
	;; [unrolled: 1-line block ×3, first 2 shown]
	v_sub_co_u32_e32 v0, vcc, v18, v16
	v_subb_co_u32_e32 v1, vcc, v19, v17, vcc
	buffer_store_dword v0, off, s[0:3], s33 offset:192 ; 4-byte Folded Spill
	s_nop 0
	buffer_store_dword v1, off, s[0:3], s33 offset:196 ; 4-byte Folded Spill
	v_cmp_lt_i64_e32 vcc, v[0:1], v[12:13]
	s_and_saveexec_b64 s[28:29], vcc
	s_cbranch_execz .LBB10_53
; %bb.48:                               ;   in Loop: Header=BB10_47 Depth=1
	buffer_load_dword v4, off, s[0:3], s33 offset:192 ; 4-byte Folded Reload
	buffer_load_dword v5, off, s[0:3], s33 offset:196 ; 4-byte Folded Reload
	v_mov_b32_e32 v0, s80
	s_waitcnt vmcnt(0)
	v_add_co_u32_e32 v4, vcc, s71, v4
	s_waitcnt vmcnt(0)
	v_addc_co_u32_e32 v5, vcc, v0, v5, vcc
	v_or_b32_e32 v3, s55, v5
	v_cmp_ne_u64_e32 vcc, 0, v[2:3]
                                        ; implicit-def: $vgpr0_vgpr1
	s_and_saveexec_b64 s[26:27], vcc
	s_xor_b64 s[40:41], exec, s[26:27]
	s_cbranch_execz .LBB10_50
; %bb.49:                               ;   in Loop: Header=BB10_47 Depth=1
	s_add_u32 s26, s54, s78
	s_mov_b32 s79, s78
	s_addc_u32 s27, s55, s78
	s_xor_b64 s[42:43], s[26:27], s[78:79]
	v_cvt_f32_u32_e32 v0, s42
	v_cvt_f32_u32_e32 v1, s43
	s_sub_u32 s44, 0, s42
	s_subb_u32 s45, 0, s43
	v_ashrrev_i32_e32 v6, 31, v5
	v_mac_f32_e32 v0, 0x4f800000, v1
	v_rcp_f32_e32 v0, v0
	v_mul_f32_e32 v0, 0x5f7ffffc, v0
	v_mul_f32_e32 v1, 0x2f800000, v0
	v_trunc_f32_e32 v1, v1
	v_mac_f32_e32 v0, 0xcf800000, v1
	v_cvt_u32_f32_e32 v1, v1
	v_cvt_u32_f32_e32 v0, v0
	v_readfirstlane_b32 s58, v1
	v_readfirstlane_b32 s26, v0
	s_mul_i32 s27, s44, s58
	s_mul_hi_u32 s88, s44, s26
	s_mul_i32 s79, s45, s26
	s_add_i32 s27, s88, s27
	s_add_i32 s27, s27, s79
	s_mul_i32 s89, s44, s26
	s_mul_i32 s88, s26, s27
	s_mul_hi_u32 s90, s26, s89
	s_mul_hi_u32 s79, s26, s27
	s_add_u32 s88, s90, s88
	s_addc_u32 s79, 0, s79
	s_mul_hi_u32 s91, s58, s89
	s_mul_i32 s89, s58, s89
	s_add_u32 s88, s88, s89
	s_mul_hi_u32 s90, s58, s27
	s_addc_u32 s79, s79, s91
	s_addc_u32 s88, s90, 0
	s_mul_i32 s27, s58, s27
	s_add_u32 s27, s79, s27
	s_addc_u32 s79, 0, s88
	s_add_u32 s88, s26, s27
	s_cselect_b64 s[26:27], -1, 0
	s_cmp_lg_u64 s[26:27], 0
	s_addc_u32 s58, s58, s79
	s_mul_i32 s26, s44, s58
	s_mul_hi_u32 s27, s44, s88
	s_add_i32 s26, s27, s26
	s_mul_i32 s45, s45, s88
	s_add_i32 s26, s26, s45
	s_mul_i32 s44, s44, s88
	s_mul_hi_u32 s45, s58, s44
	s_mul_i32 s79, s58, s44
	s_mul_i32 s90, s88, s26
	s_mul_hi_u32 s44, s88, s44
	s_mul_hi_u32 s89, s88, s26
	s_add_u32 s44, s44, s90
	s_addc_u32 s89, 0, s89
	s_add_u32 s44, s44, s79
	s_mul_hi_u32 s27, s58, s26
	s_addc_u32 s44, s89, s45
	s_addc_u32 s27, s27, 0
	s_mul_i32 s26, s58, s26
	s_add_u32 s26, s44, s26
	s_addc_u32 s44, 0, s27
	s_add_u32 s45, s88, s26
	s_cselect_b64 s[26:27], -1, 0
	s_cmp_lg_u64 s[26:27], 0
	v_add_co_u32_e32 v0, vcc, v4, v6
	s_addc_u32 s44, s58, s44
	v_addc_co_u32_e32 v3, vcc, v5, v6, vcc
	v_xor_b32_e32 v5, v0, v6
	v_mad_u64_u32 v[0:1], s[26:27], v5, s44, 0
	v_mul_hi_u32 v4, v5, s45
	v_xor_b32_e32 v7, v3, v6
	v_add_co_u32_e32 v8, vcc, v4, v0
	v_addc_co_u32_e32 v9, vcc, 0, v1, vcc
	v_mad_u64_u32 v[0:1], s[26:27], v7, s45, 0
	v_mad_u64_u32 v[3:4], s[26:27], v7, s44, 0
	v_add_co_u32_e32 v0, vcc, v8, v0
	v_addc_co_u32_e32 v0, vcc, v9, v1, vcc
	v_addc_co_u32_e32 v1, vcc, 0, v4, vcc
	v_add_co_u32_e32 v3, vcc, v0, v3
	v_addc_co_u32_e32 v4, vcc, 0, v1, vcc
	v_mul_lo_u32 v8, s43, v3
	v_mul_lo_u32 v9, s42, v4
	v_mad_u64_u32 v[0:1], s[26:27], s42, v3, 0
	v_add3_u32 v1, v1, v9, v8
	v_sub_u32_e32 v8, v7, v1
	v_mov_b32_e32 v9, s43
	v_sub_co_u32_e32 v0, vcc, v5, v0
	v_subb_co_u32_e64 v5, s[26:27], v8, v9, vcc
	v_subrev_co_u32_e64 v8, s[26:27], s42, v0
	v_subbrev_co_u32_e64 v5, s[26:27], 0, v5, s[26:27]
	v_cmp_le_u32_e64 s[26:27], s43, v5
	v_cndmask_b32_e64 v9, 0, -1, s[26:27]
	v_cmp_le_u32_e64 s[26:27], s42, v8
	v_cndmask_b32_e64 v8, 0, -1, s[26:27]
	v_cmp_eq_u32_e64 s[26:27], s43, v5
	v_cndmask_b32_e64 v5, v9, v8, s[26:27]
	v_add_co_u32_e64 v8, s[26:27], 2, v3
	v_subb_co_u32_e32 v1, vcc, v7, v1, vcc
	v_addc_co_u32_e64 v9, s[26:27], 0, v4, s[26:27]
	v_cmp_le_u32_e32 vcc, s43, v1
	v_add_co_u32_e64 v10, s[26:27], 1, v3
	v_cndmask_b32_e64 v7, 0, -1, vcc
	v_cmp_le_u32_e32 vcc, s42, v0
	v_addc_co_u32_e64 v11, s[26:27], 0, v4, s[26:27]
	v_cndmask_b32_e64 v0, 0, -1, vcc
	v_cmp_eq_u32_e32 vcc, s43, v1
	v_cmp_ne_u32_e64 s[26:27], 0, v5
	v_cndmask_b32_e32 v0, v7, v0, vcc
	v_cndmask_b32_e64 v5, v11, v9, s[26:27]
	v_cmp_ne_u32_e32 vcc, 0, v0
	v_cndmask_b32_e64 v1, v10, v8, s[26:27]
	v_cndmask_b32_e32 v0, v4, v5, vcc
	v_cndmask_b32_e32 v1, v3, v1, vcc
	v_xor_b32_e32 v3, s78, v6
	v_xor_b32_e32 v4, v0, v3
	v_xor_b32_e32 v0, v1, v3
	v_sub_co_u32_e32 v0, vcc, v0, v3
	v_subb_co_u32_e32 v1, vcc, v4, v3, vcc
                                        ; implicit-def: $vgpr4
.LBB10_50:                              ;   in Loop: Header=BB10_47 Depth=1
	s_andn2_saveexec_b64 s[26:27], s[40:41]
	s_cbranch_execz .LBB10_52
; %bb.51:                               ;   in Loop: Header=BB10_47 Depth=1
	v_cvt_f32_u32_e32 v0, s54
	s_sub_i32 s40, 0, s54
	v_rcp_iflag_f32_e32 v0, v0
	v_mul_f32_e32 v0, 0x4f7ffffe, v0
	v_cvt_u32_f32_e32 v0, v0
	v_mul_lo_u32 v1, s40, v0
	v_mul_hi_u32 v1, v0, v1
	v_add_u32_e32 v0, v0, v1
	v_mul_hi_u32 v0, v4, v0
	v_mul_lo_u32 v1, v0, s54
	v_add_u32_e32 v3, 1, v0
	v_sub_u32_e32 v1, v4, v1
	v_subrev_u32_e32 v4, s54, v1
	v_cmp_le_u32_e32 vcc, s54, v1
	v_cndmask_b32_e32 v1, v1, v4, vcc
	v_cndmask_b32_e32 v0, v0, v3, vcc
	v_add_u32_e32 v3, 1, v0
	v_cmp_le_u32_e32 vcc, s54, v1
	v_cndmask_b32_e32 v0, v0, v3, vcc
	v_mov_b32_e32 v1, v2
.LBB10_52:                              ;   in Loop: Header=BB10_47 Depth=1
	s_or_b64 exec, exec, s[26:27]
	v_add_co_u32_e32 v0, vcc, 7, v0
	v_addc_co_u32_e32 v1, vcc, 0, v1, vcc
	v_and_b32_e32 v0, -8, v0
	buffer_store_dword v0, off, s[0:3], s33 offset:200 ; 4-byte Folded Spill
	s_nop 0
	buffer_store_dword v1, off, s[0:3], s33 offset:204 ; 4-byte Folded Spill
.LBB10_53:                              ;   in Loop: Header=BB10_47 Depth=1
	s_or_b64 exec, exec, s[28:29]
	buffer_load_dword v5, off, s[0:3], s33 offset:200 ; 4-byte Folded Reload
	buffer_load_dword v6, off, s[0:3], s33 offset:204 ; 4-byte Folded Reload
	v_mov_b32_e32 v37, 0
	s_waitcnt vmcnt(0)
	v_mul_lo_u32 v4, v5, s83
	s_waitcnt vmcnt(0)
	v_mul_lo_u32 v3, v6, s82
	v_mad_u64_u32 v[0:1], s[26:27], v5, s82, 0
	v_add3_u32 v1, v1, v4, v3
	buffer_load_dword v3, off, s[0:3], s33 offset:248 ; 4-byte Folded Reload
	buffer_load_dword v4, off, s[0:3], s33 offset:252 ; 4-byte Folded Reload
	s_waitcnt vmcnt(0)
	v_add_co_u32_e32 v3, vcc, v16, v3
	buffer_store_dword v16, off, s[0:3], s33 offset:224 ; 4-byte Folded Spill
	s_nop 0
	buffer_store_dword v17, off, s[0:3], s33 offset:228 ; 4-byte Folded Spill
	s_waitcnt vmcnt(2)
	v_addc_co_u32_e32 v4, vcc, v17, v4, vcc
	buffer_store_dword v3, off, s[0:3], s33 offset:136 ; 4-byte Folded Spill
	s_nop 0
	buffer_store_dword v4, off, s[0:3], s33 offset:140 ; 4-byte Folded Spill
	buffer_load_dword v3, off, s[0:3], s33 offset:192 ; 4-byte Folded Reload
	s_nop 0
	buffer_load_dword v4, off, s[0:3], s33 offset:196 ; 4-byte Folded Reload
	s_waitcnt vmcnt(0)
	v_sub_co_u32_e32 v3, vcc, v3, v0
	s_waitcnt vmcnt(0)
	v_subb_co_u32_e32 v4, vcc, v4, v1, vcc
	v_cmp_lt_i64_e32 vcc, v[5:6], v[3:4]
	v_cndmask_b32_e32 v5, v3, v5, vcc
	v_max_i32_e32 v18, 0, v5
	v_add_u32_e32 v4, 31, v18
	v_lshrrev_b32_e32 v4, 1, v4
	v_and_b32_e32 v4, 0x3ffffff0, v4
	v_cmp_lt_i32_e32 vcc, 0, v5
	v_mov_b32_e32 v3, 0
	v_max_i32_e32 v4, s84, v4
	s_and_b64 s[26:27], s[76:77], vcc
	s_and_saveexec_b64 s[28:29], s[26:27]
	s_cbranch_execz .LBB10_193
; %bb.54:                               ;   in Loop: Header=BB10_47 Depth=1
	v_lshlrev_b64 v[48:49], 1, v[0:1]
	s_mov_b32 s58, 1
	s_mov_b64 s[42:43], -1
	v_mov_b32_e32 v37, 0
	s_mov_b64 s[40:41], 0
	buffer_store_dword v48, off, s[0:3], s33 offset:144 ; 4-byte Folded Spill
	s_nop 0
	buffer_store_dword v49, off, s[0:3], s33 offset:148 ; 4-byte Folded Spill
	s_branch .LBB10_57
.LBB10_55:                              ;   in Loop: Header=BB10_57 Depth=2
	s_or_b64 exec, exec, s[44:45]
	buffer_load_dword v0, off, s[0:3], s33 offset:60 ; 4-byte Folded Reload
	buffer_load_dword v1, off, s[0:3], s33 offset:64 ; 4-byte Folded Reload
	s_waitcnt vmcnt(0)
	v_add_co_u32_e32 v0, vcc, 2, v0
	v_addc_co_u32_e32 v1, vcc, 0, v1, vcc
	buffer_store_dword v0, off, s[0:3], s33 offset:60 ; 4-byte Folded Spill
	s_nop 0
	buffer_store_dword v1, off, s[0:3], s33 offset:64 ; 4-byte Folded Spill
	flat_store_dwordx2 v[40:41], v[0:1]
.LBB10_56:                              ;   in Loop: Header=BB10_57 Depth=2
	s_or_b64 exec, exec, s[26:27]
	v_add_u32_e32 v37, v4, v37
	v_cmp_ge_i32_e32 vcc, v37, v18
	s_xor_b64 s[26:27], s[42:43], -1
	s_or_b64 s[26:27], s[26:27], vcc
	s_and_b64 s[26:27], exec, s[26:27]
	s_or_b64 s[40:41], s[26:27], s[40:41]
	s_mov_b64 s[42:43], 0
	v_mov_b32_e32 v3, s58
	s_mov_b32 s58, 2
	s_andn2_b64 exec, exec, s[40:41]
	s_cbranch_execz .LBB10_192
.LBB10_57:                              ;   Parent Loop BB10_47 Depth=1
                                        ; =>  This Loop Header: Depth=2
                                        ;       Child Loop BB10_65 Depth 3
                                        ;       Child Loop BB10_89 Depth 3
	;; [unrolled: 1-line block ×9, first 2 shown]
	s_and_saveexec_b64 s[26:27], s[4:5]
	s_cbranch_execz .LBB10_59
; %bb.58:                               ;   in Loop: Header=BB10_57 Depth=2
	s_trap 2
	ds_read_b64 v[0:1], v0
	buffer_load_dword v5, off, s[0:3], s33 offset:136 ; 4-byte Folded Reload
	buffer_load_dword v6, off, s[0:3], s33 offset:140 ; 4-byte Folded Reload
	v_ashrrev_i32_e32 v38, 31, v37
	s_waitcnt vmcnt(0)
	v_lshlrev_b64 v[7:8], 1, v[5:6]
	s_waitcnt lgkmcnt(0)
	v_add_co_u32_e32 v0, vcc, v0, v7
	v_addc_co_u32_e32 v1, vcc, v1, v8, vcc
	v_add_co_u32_e32 v3, vcc, v0, v48
	v_addc_co_u32_e32 v5, vcc, v1, v49, vcc
	v_lshlrev_b64 v[0:1], 1, v[37:38]
	v_add_co_u32_e32 v0, vcc, v3, v0
	v_addc_co_u32_e32 v1, vcc, v5, v1, vcc
	v_mov_b32_e32 v3, v2
	ds_write_b64 v0, v[0:1]
	ds_write_b64 v0, v[2:3]
.LBB10_59:                              ;   in Loop: Header=BB10_57 Depth=2
	s_or_b64 exec, exec, s[26:27]
	v_sub_u32_e32 v0, v18, v37
	v_min_i32_e32 v4, v4, v0
	v_and_b32_e32 v0, 8, v62
	v_cmp_ne_u32_e32 vcc, 0, v0
	s_and_saveexec_b64 s[44:45], vcc
	s_cbranch_execz .LBB10_81
; %bb.60:                               ;   in Loop: Header=BB10_57 Depth=2
	buffer_load_dword v0, off, s[0:3], s33 offset:60 ; 4-byte Folded Reload
	buffer_load_dword v1, off, s[0:3], s33 offset:64 ; 4-byte Folded Reload
	s_waitcnt lgkmcnt(0)
	v_add_co_u32_e32 v7, vcc, 8, v56
	v_addc_co_u32_e32 v8, vcc, 0, v57, vcc
	s_waitcnt vmcnt(0)
	v_add_co_u32_e32 v0, vcc, 2, v0
	s_waitcnt vmcnt(0)
	v_addc_co_u32_e32 v1, vcc, 0, v1, vcc
	v_cmp_lt_u64_e32 vcc, v[7:8], v[0:1]
	s_and_saveexec_b64 s[88:89], vcc
	s_cbranch_execz .LBB10_72
; %bb.61:                               ;   in Loop: Header=BB10_57 Depth=2
	v_and_b32_e32 v3, 64, v62
	s_mov_b32 s79, 0
	v_cmp_eq_u32_e32 vcc, 0, v3
	s_mov_b64 s[90:91], 0
                                        ; implicit-def: $sgpr92_sgpr93
                                        ; implicit-def: $sgpr94_sgpr95
                                        ; implicit-def: $sgpr30_sgpr31
	s_branch .LBB10_65
.LBB10_62:                              ;   in Loop: Header=BB10_65 Depth=3
	s_waitcnt vmcnt(0) lgkmcnt(0)
	v_add_co_u32_e64 v7, s[26:27], 8, v56
	v_addc_co_u32_e64 v8, s[26:27], 0, v57, s[26:27]
	v_cmp_ge_u64_e64 s[26:27], v[7:8], v[0:1]
	s_or_b64 s[38:39], s[38:39], exec
	s_orn2_b64 s[36:37], s[26:27], exec
.LBB10_63:                              ;   in Loop: Header=BB10_65 Depth=3
	s_or_b64 exec, exec, s[50:51]
	s_andn2_b64 s[26:27], s[30:31], exec
	s_and_b64 s[30:31], s[38:39], exec
	s_or_b64 s[30:31], s[26:27], s[30:31]
	s_andn2_b64 s[26:27], s[94:95], exec
	s_and_b64 s[94:95], s[36:37], exec
	s_or_b64 s[94:95], s[26:27], s[94:95]
.LBB10_64:                              ;   in Loop: Header=BB10_65 Depth=3
	s_or_b64 exec, exec, s[34:35]
	s_and_b64 s[26:27], exec, s[94:95]
	s_or_b64 s[90:91], s[26:27], s[90:91]
	s_andn2_b64 s[26:27], s[92:93], exec
	s_and_b64 s[92:93], s[30:31], exec
	s_or_b64 s[92:93], s[26:27], s[92:93]
	s_andn2_b64 exec, exec, s[90:91]
	s_cbranch_execz .LBB10_69
.LBB10_65:                              ;   Parent Loop BB10_47 Depth=1
                                        ;     Parent Loop BB10_57 Depth=2
                                        ; =>    This Inner Loop Header: Depth=3
	s_sleep 1
	s_waitcnt vmcnt(0) lgkmcnt(0)
	flat_load_dwordx2 v[56:57], v[40:41] glc
	s_or_b64 s[30:31], s[30:31], exec
	s_or_b64 s[94:95], s[94:95], exec
                                        ; implicit-def: $vgpr3
	s_and_saveexec_b64 s[34:35], vcc
	s_cbranch_execz .LBB10_64
; %bb.66:                               ;   in Loop: Header=BB10_65 Depth=3
	s_cmpk_lt_i32 s79, 0x270f
	s_cselect_b64 s[48:49], -1, 0
	s_cmpk_gt_i32 s79, 0x270e
	s_mov_b64 s[36:37], -1
	s_cbranch_scc0 .LBB10_68
; %bb.67:                               ;   in Loop: Header=BB10_65 Depth=3
	s_trap 2
	ds_read_b64 v[7:8], v0
	s_andn2_b64 s[48:49], s[48:49], exec
	s_mov_b32 s79, 0
	s_mov_b64 s[38:39], 0
	s_waitcnt vmcnt(0) lgkmcnt(0)
	flat_load_dword v3, v[7:8] glc
	s_waitcnt vmcnt(0) lgkmcnt(0)
	buffer_wbinvl1_vol
	v_cmp_eq_u32_e64 s[26:27], 0, v3
	s_and_b64 s[26:27], s[26:27], exec
	s_or_b64 s[48:49], s[48:49], s[26:27]
	s_and_saveexec_b64 s[50:51], s[48:49]
	s_cbranch_execz .LBB10_63
	s_branch .LBB10_62
.LBB10_68:                              ;   in Loop: Header=BB10_65 Depth=3
	s_add_i32 s79, s79, 1
	s_mov_b64 s[38:39], -1
                                        ; implicit-def: $vgpr3
	s_and_saveexec_b64 s[50:51], s[48:49]
	s_cbranch_execz .LBB10_63
	s_branch .LBB10_62
.LBB10_69:                              ;   in Loop: Header=BB10_57 Depth=2
	s_or_b64 exec, exec, s[90:91]
	s_xor_b64 s[26:27], s[92:93], -1
	s_and_saveexec_b64 s[90:91], s[26:27]
	s_xor_b64 s[26:27], exec, s[90:91]
	s_cbranch_execz .LBB10_71
; %bb.70:                               ;   in Loop: Header=BB10_57 Depth=2
	v_or_b32_e32 v62, 64, v62
	s_waitcnt lgkmcnt(0)
	ds_write_b32 v0, v3
	s_trap 2
.LBB10_71:                              ;   in Loop: Header=BB10_57 Depth=2
	s_or_b64 exec, exec, s[26:27]
.LBB10_72:                              ;   in Loop: Header=BB10_57 Depth=2
	s_or_b64 exec, exec, s[88:89]
	;;#ASMSTART
	s_wakeup
	;;#ASMEND
	buffer_load_dword v5, off, s[0:3], s33 offset:60 ; 4-byte Folded Reload
	buffer_load_dword v6, off, s[0:3], s33 offset:64 ; 4-byte Folded Reload
	v_and_b32_e32 v3, 0x100, v62
	v_cmp_ne_u32_e32 vcc, 0, v3
	s_mov_b64 s[26:27], -1
                                        ; implicit-def: $vgpr12_vgpr13
	s_waitcnt vmcnt(0)
	v_and_b32_e32 v3, 7, v5
	s_and_saveexec_b64 s[88:89], vcc
	s_cbranch_execz .LBB10_76
; %bb.73:                               ;   in Loop: Header=BB10_57 Depth=2
	v_mad_u64_u32 v[14:15], s[26:27], v3, 24, v[42:43]
	v_ashrrev_i32_e32 v5, 31, v4
	v_lshlrev_b64 v[7:8], 1, v[4:5]
	flat_load_dword v5, v[14:15]
                                        ; implicit-def: $vgpr12_vgpr13
	s_waitcnt vmcnt(0) lgkmcnt(0)
	v_cmp_ne_u32_e32 vcc, 1, v5
	v_cmp_eq_u32_e64 s[26:27], 1, v5
	flat_store_dwordx2 v[14:15], v[7:8] offset:8
	s_and_saveexec_b64 s[90:91], s[26:27]
	s_cbranch_execz .LBB10_75
; %bb.74:                               ;   in Loop: Header=BB10_57 Depth=2
	flat_load_dword v7, v[14:15] offset:4 glc
	s_waitcnt vmcnt(0) lgkmcnt(0)
	v_ashrrev_i32_e32 v8, 31, v7
	v_lshrrev_b64 v[12:13], 1, v[7:8]
.LBB10_75:                              ;   in Loop: Header=BB10_57 Depth=2
	s_or_b64 exec, exec, s[90:91]
	s_orn2_b64 s[26:27], vcc, exec
.LBB10_76:                              ;   in Loop: Header=BB10_57 Depth=2
	s_or_b64 exec, exec, s[88:89]
	s_and_saveexec_b64 s[88:89], s[26:27]
; %bb.77:                               ;   in Loop: Header=BB10_57 Depth=2
	v_mad_i64_i32 v[12:13], s[26:27], v3, v54, 0
; %bb.78:                               ;   in Loop: Header=BB10_57 Depth=2
	s_or_b64 exec, exec, s[88:89]
	buffer_load_dword v5, off, s[0:3], s33 offset:84 ; 4-byte Folded Reload
	buffer_load_dword v6, off, s[0:3], s33 offset:88 ; 4-byte Folded Reload
	v_lshlrev_b64 v[7:8], 1, v[12:13]
	v_and_b32_e32 v3, 0x2000, v62
	s_waitcnt vmcnt(0)
	v_add_co_u32_e32 v7, vcc, v5, v7
	v_addc_co_u32_e32 v8, vcc, v6, v8, vcc
	v_cmp_ne_u32_e32 vcc, 0, v3
	ds_write_b64 v0, v[7:8] offset:784
	s_and_saveexec_b64 s[26:27], vcc
	s_cbranch_execz .LBB10_80
; %bb.79:                               ;   in Loop: Header=BB10_57 Depth=2
	ds_read_b64 v[7:8], v0 offset:872
	s_waitcnt lgkmcnt(0)
	v_add_co_u32_e32 v7, vcc, 1, v7
	v_addc_co_u32_e32 v8, vcc, 0, v8, vcc
	ds_write_b64 v0, v[7:8] offset:872
.LBB10_80:                              ;   in Loop: Header=BB10_57 Depth=2
	s_or_b64 exec, exec, s[26:27]
	buffer_store_dword v0, off, s[0:3], s33 offset:60 ; 4-byte Folded Spill
	s_nop 0
	buffer_store_dword v1, off, s[0:3], s33 offset:64 ; 4-byte Folded Spill
.LBB10_81:                              ;   in Loop: Header=BB10_57 Depth=2
	s_or_b64 exec, exec, s[44:45]
	s_and_saveexec_b64 s[26:27], s[10:11]
	s_cbranch_execz .LBB10_100
; %bb.82:                               ;   in Loop: Header=BB10_57 Depth=2
	s_and_saveexec_b64 s[44:45], s[60:61]
	s_xor_b64 s[44:45], exec, s[44:45]
	s_cbranch_execz .LBB10_97
; %bb.83:                               ;   in Loop: Header=BB10_57 Depth=2
	s_and_saveexec_b64 s[88:89], s[16:17]
	s_cbranch_execz .LBB10_96
; %bb.84:                               ;   in Loop: Header=BB10_57 Depth=2
	s_mov_b64 s[92:93], exec
	v_mbcnt_lo_u32_b32 v0, s92, 0
	v_mbcnt_hi_u32_b32 v0, s93, v0
	v_cmp_eq_u32_e32 vcc, 0, v0
	s_waitcnt vmcnt(0) lgkmcnt(0)
	buffer_wbinvl1_vol
	s_and_saveexec_b64 s[90:91], vcc
	s_cbranch_execz .LBB10_86
; %bb.85:                               ;   in Loop: Header=BB10_57 Depth=2
	s_bcnt1_i32_b64 s79, s[92:93]
	v_mov_b32_e32 v0, s79
	v_mov_b32_e32 v1, v2
	ds_add_u64 v0, v[0:1]
	s_trap 2
.LBB10_86:                              ;   in Loop: Header=BB10_57 Depth=2
	s_or_b64 exec, exec, s[90:91]
	s_trap 2
	ds_read_b64 v[0:1], v0
	s_waitcnt lgkmcnt(0)
	v_add_co_u32_e32 v46, vcc, v46, v44
	v_addc_co_u32_e32 v47, vcc, 0, v47, vcc
	v_cmp_lt_u64_e32 vcc, v[0:1], v[46:47]
	s_and_saveexec_b64 s[90:91], vcc
	s_cbranch_execz .LBB10_95
; %bb.87:                               ;   in Loop: Header=BB10_57 Depth=2
	s_mov_b32 s79, 0
	s_mov_b64 s[92:93], 0
                                        ; implicit-def: $sgpr94_sgpr95
                                        ; implicit-def: $sgpr30_sgpr31
	s_branch .LBB10_89
.LBB10_88:                              ;   in Loop: Header=BB10_89 Depth=3
	s_or_b64 exec, exec, s[36:37]
	s_and_b64 vcc, exec, vcc
	s_or_b64 s[92:93], vcc, s[92:93]
	s_andn2_b64 s[94:95], s[94:95], exec
	s_and_b64 vcc, s[30:31], exec
	s_or_b64 s[94:95], s[94:95], vcc
	s_andn2_b64 exec, exec, s[92:93]
	s_cbranch_execz .LBB10_93
.LBB10_89:                              ;   Parent Loop BB10_47 Depth=1
                                        ;     Parent Loop BB10_57 Depth=2
                                        ; =>    This Inner Loop Header: Depth=3
	s_add_i32 s79, s79, 1
	s_cmpk_lg_i32 s79, 0x2710
	s_cselect_b64 s[34:35], -1, 0
	s_and_b64 vcc, exec, s[34:35]
	s_cbranch_vccz .LBB10_91
; %bb.90:                               ;   in Loop: Header=BB10_89 Depth=3
	s_mov_b64 vcc, -1
	s_or_b64 s[30:31], s[30:31], exec
	s_and_saveexec_b64 s[36:37], s[34:35]
	s_cbranch_execz .LBB10_88
	s_branch .LBB10_92
.LBB10_91:                              ;   in Loop: Header=BB10_89 Depth=3
	s_trap 2
	ds_read_b64 v[0:1], v0
	s_andn2_b64 s[34:35], s[34:35], exec
	s_mov_b32 s79, 0
	s_waitcnt lgkmcnt(0)
	flat_load_dword v0, v[0:1] glc
	s_waitcnt vmcnt(0) lgkmcnt(0)
	buffer_wbinvl1_vol
	v_cmp_eq_u32_e32 vcc, 0, v0
	s_and_b64 vcc, vcc, exec
	s_or_b64 s[34:35], s[34:35], vcc
	s_mov_b64 vcc, -1
	s_or_b64 s[30:31], s[30:31], exec
	s_and_saveexec_b64 s[36:37], s[34:35]
	s_cbranch_execz .LBB10_88
.LBB10_92:                              ;   in Loop: Header=BB10_89 Depth=3
	s_sleep 1
	s_trap 2
	ds_read_b64 v[0:1], v0
	s_waitcnt lgkmcnt(0)
	s_andn2_b64 s[30:31], s[30:31], exec
	v_cmp_ge_u64_e32 vcc, v[0:1], v[46:47]
	s_orn2_b64 vcc, vcc, exec
	s_branch .LBB10_88
.LBB10_93:                              ;   in Loop: Header=BB10_57 Depth=2
	s_or_b64 exec, exec, s[92:93]
	s_and_saveexec_b64 s[92:93], s[94:95]
	s_xor_b64 s[92:93], exec, s[92:93]
	s_cbranch_execz .LBB10_95
; %bb.94:                               ;   in Loop: Header=BB10_57 Depth=2
	v_mov_b32_e32 v0, 1
	ds_write_b32 v0, v0
	s_trap 2
.LBB10_95:                              ;   in Loop: Header=BB10_57 Depth=2
	s_or_b64 exec, exec, s[90:91]
	;;#ASMSTART
	s_wakeup
	;;#ASMEND
.LBB10_96:                              ;   in Loop: Header=BB10_57 Depth=2
	s_or_b64 exec, exec, s[88:89]
.LBB10_97:                              ;   in Loop: Header=BB10_57 Depth=2
	s_andn2_saveexec_b64 s[44:45], s[44:45]
	s_cbranch_execz .LBB10_99
; %bb.98:                               ;   in Loop: Header=BB10_57 Depth=2
	s_waitcnt vmcnt(0) lgkmcnt(0)
	buffer_wbinvl1_vol
	s_barrier
.LBB10_99:                              ;   in Loop: Header=BB10_57 Depth=2
	s_or_b64 exec, exec, s[44:45]
.LBB10_100:                             ;   in Loop: Header=BB10_57 Depth=2
	s_or_b64 exec, exec, s[26:27]
	s_trap 2
	ds_read_b32 v3, v0
	v_and_b32_e32 v0, 0x4000, v62
	v_cmp_ne_u32_e32 vcc, 0, v0
	s_xor_b64 s[26:27], s[6:7], -1
	s_and_b64 s[44:45], s[26:27], vcc
	s_and_saveexec_b64 s[26:27], s[44:45]
	s_cbranch_execz .LBB10_119
; %bb.101:                              ;   in Loop: Header=BB10_57 Depth=2
	s_and_saveexec_b64 s[44:45], s[60:61]
	s_xor_b64 s[44:45], exec, s[44:45]
	s_cbranch_execz .LBB10_116
; %bb.102:                              ;   in Loop: Header=BB10_57 Depth=2
	s_and_saveexec_b64 s[88:89], s[16:17]
	s_cbranch_execz .LBB10_115
; %bb.103:                              ;   in Loop: Header=BB10_57 Depth=2
	s_mov_b64 s[92:93], exec
	v_mbcnt_lo_u32_b32 v0, s92, 0
	v_mbcnt_hi_u32_b32 v0, s93, v0
	v_cmp_eq_u32_e32 vcc, 0, v0
	s_waitcnt vmcnt(0) lgkmcnt(0)
	buffer_wbinvl1_vol
	s_and_saveexec_b64 s[90:91], vcc
	s_cbranch_execz .LBB10_105
; %bb.104:                              ;   in Loop: Header=BB10_57 Depth=2
	s_bcnt1_i32_b64 s79, s[92:93]
	v_mov_b32_e32 v0, s79
	v_mov_b32_e32 v1, v2
	ds_add_u64 v0, v[0:1]
	s_trap 2
.LBB10_105:                             ;   in Loop: Header=BB10_57 Depth=2
	s_or_b64 exec, exec, s[90:91]
	s_trap 2
	ds_read_b64 v[0:1], v0
	s_waitcnt lgkmcnt(0)
	v_add_co_u32_e32 v46, vcc, v46, v44
	v_addc_co_u32_e32 v47, vcc, 0, v47, vcc
	v_cmp_lt_u64_e32 vcc, v[0:1], v[46:47]
	s_and_saveexec_b64 s[90:91], vcc
	s_cbranch_execz .LBB10_114
; %bb.106:                              ;   in Loop: Header=BB10_57 Depth=2
	s_mov_b32 s79, 0
	s_mov_b64 s[92:93], 0
                                        ; implicit-def: $sgpr94_sgpr95
                                        ; implicit-def: $sgpr30_sgpr31
	s_branch .LBB10_108
.LBB10_107:                             ;   in Loop: Header=BB10_108 Depth=3
	s_or_b64 exec, exec, s[36:37]
	s_and_b64 vcc, exec, vcc
	s_or_b64 s[92:93], vcc, s[92:93]
	s_andn2_b64 s[94:95], s[94:95], exec
	s_and_b64 vcc, s[30:31], exec
	s_or_b64 s[94:95], s[94:95], vcc
	s_andn2_b64 exec, exec, s[92:93]
	s_cbranch_execz .LBB10_112
.LBB10_108:                             ;   Parent Loop BB10_47 Depth=1
                                        ;     Parent Loop BB10_57 Depth=2
                                        ; =>    This Inner Loop Header: Depth=3
	s_add_i32 s79, s79, 1
	s_cmpk_lg_i32 s79, 0x2710
	s_cselect_b64 s[34:35], -1, 0
	s_and_b64 vcc, exec, s[34:35]
	s_cbranch_vccz .LBB10_110
; %bb.109:                              ;   in Loop: Header=BB10_108 Depth=3
	s_mov_b64 vcc, -1
	s_or_b64 s[30:31], s[30:31], exec
	s_and_saveexec_b64 s[36:37], s[34:35]
	s_cbranch_execz .LBB10_107
	s_branch .LBB10_111
.LBB10_110:                             ;   in Loop: Header=BB10_108 Depth=3
	s_trap 2
	ds_read_b64 v[0:1], v0
	s_andn2_b64 s[34:35], s[34:35], exec
	s_mov_b32 s79, 0
	s_waitcnt lgkmcnt(0)
	flat_load_dword v0, v[0:1] glc
	s_waitcnt vmcnt(0) lgkmcnt(0)
	buffer_wbinvl1_vol
	v_cmp_eq_u32_e32 vcc, 0, v0
	s_and_b64 vcc, vcc, exec
	s_or_b64 s[34:35], s[34:35], vcc
	s_mov_b64 vcc, -1
	s_or_b64 s[30:31], s[30:31], exec
	s_and_saveexec_b64 s[36:37], s[34:35]
	s_cbranch_execz .LBB10_107
.LBB10_111:                             ;   in Loop: Header=BB10_108 Depth=3
	s_sleep 1
	s_trap 2
	ds_read_b64 v[0:1], v0
	s_waitcnt lgkmcnt(0)
	s_andn2_b64 s[30:31], s[30:31], exec
	v_cmp_ge_u64_e32 vcc, v[0:1], v[46:47]
	s_orn2_b64 vcc, vcc, exec
	s_branch .LBB10_107
.LBB10_112:                             ;   in Loop: Header=BB10_57 Depth=2
	s_or_b64 exec, exec, s[92:93]
	s_and_saveexec_b64 s[92:93], s[94:95]
	s_xor_b64 s[92:93], exec, s[92:93]
	s_cbranch_execz .LBB10_114
; %bb.113:                              ;   in Loop: Header=BB10_57 Depth=2
	v_mov_b32_e32 v0, 1
	ds_write_b32 v0, v0
	s_trap 2
.LBB10_114:                             ;   in Loop: Header=BB10_57 Depth=2
	s_or_b64 exec, exec, s[90:91]
	;;#ASMSTART
	s_wakeup
	;;#ASMEND
.LBB10_115:                             ;   in Loop: Header=BB10_57 Depth=2
	s_or_b64 exec, exec, s[88:89]
.LBB10_116:                             ;   in Loop: Header=BB10_57 Depth=2
	s_andn2_saveexec_b64 s[44:45], s[44:45]
	s_cbranch_execz .LBB10_118
; %bb.117:                              ;   in Loop: Header=BB10_57 Depth=2
	s_waitcnt vmcnt(0) lgkmcnt(0)
	buffer_wbinvl1_vol
	s_barrier
.LBB10_118:                             ;   in Loop: Header=BB10_57 Depth=2
	s_or_b64 exec, exec, s[44:45]
.LBB10_119:                             ;   in Loop: Header=BB10_57 Depth=2
	s_or_b64 exec, exec, s[26:27]
	s_trap 2
	ds_read_b64 v[0:1], v0
	s_waitcnt lgkmcnt(0)
	v_cmp_eq_u64_e32 vcc, 0, v[0:1]
	s_cbranch_vccnz .LBB10_127
; %bb.120:                              ;   in Loop: Header=BB10_57 Depth=2
	s_trap 2
	ds_read_b64 v[12:13], v0
	s_waitcnt lgkmcnt(0)
	v_cmp_eq_u64_e32 vcc, 0, v[12:13]
	s_cbranch_vccnz .LBB10_127
; %bb.121:                              ;   in Loop: Header=BB10_57 Depth=2
	s_mov_b64 s[26:27], -1
	s_and_saveexec_b64 s[44:45], s[18:19]
	s_cbranch_execz .LBB10_123
; %bb.122:                              ;   in Loop: Header=BB10_57 Depth=2
	ds_read_b32 v5, v0 offset:720
	s_waitcnt lgkmcnt(0)
	v_and_b32_e32 v5, 15, v5
	v_cmp_eq_u32_e32 vcc, 0, v5
	s_orn2_b64 s[26:27], vcc, exec
.LBB10_123:                             ;   in Loop: Header=BB10_57 Depth=2
	s_or_b64 exec, exec, s[44:45]
	s_and_saveexec_b64 s[44:45], s[20:21]
	s_cbranch_execz .LBB10_125
; %bb.124:                              ;   in Loop: Header=BB10_57 Depth=2
	ds_read_b32 v5, v0 offset:784
	s_waitcnt lgkmcnt(0)
	v_and_b32_e32 v5, 15, v5
	v_cmp_eq_u32_e32 vcc, 0, v5
	s_and_b64 s[88:89], s[26:27], vcc
	s_andn2_b64 s[26:27], s[26:27], exec
	s_and_b64 s[88:89], s[88:89], exec
	s_or_b64 s[26:27], s[26:27], s[88:89]
.LBB10_125:                             ;   in Loop: Header=BB10_57 Depth=2
	s_or_b64 exec, exec, s[44:45]
	v_cmp_eq_u32_e32 vcc, 0, v3
	s_xor_b64 s[26:27], s[26:27], -1
	v_cndmask_b32_e32 v3, 0, v4, vcc
	v_cndmask_b32_e64 v6, 0, 1, s[26:27]
	v_lshlrev_b32_e32 v5, 1, v3
	s_mov_b64 s[88:89], -1
	v_cmp_ne_u32_e32 vcc, 0, v6
	v_mov_b32_e32 v9, 0
	s_cbranch_vccz .LBB10_133
; %bb.126:                              ;   in Loop: Header=BB10_57 Depth=2
	v_mov_b32_e32 v19, v55
	s_and_saveexec_b64 s[26:27], s[88:89]
	s_cbranch_execnz .LBB10_144
	s_branch .LBB10_152
.LBB10_127:                             ;   in Loop: Header=BB10_57 Depth=2
	s_mov_b64 s[26:27], 0
	s_and_saveexec_b64 s[44:45], s[10:11]
	s_cbranch_execnz .LBB10_153
.LBB10_128:                             ;   in Loop: Header=BB10_57 Depth=2
	s_or_b64 exec, exec, s[44:45]
                                        ; implicit-def: $vgpr0
	s_and_saveexec_b64 s[44:45], s[24:25]
	s_xor_b64 s[44:45], exec, s[44:45]
	s_cbranch_execz .LBB10_171
.LBB10_129:                             ;   in Loop: Header=BB10_57 Depth=2
	v_and_b32_e32 v1, 16, v62
	v_cmp_ne_u32_e32 vcc, 0, v1
	v_and_b32_e32 v0, 16, v62
	s_and_b64 s[88:89], vcc, s[26:27]
	s_and_saveexec_b64 s[26:27], s[88:89]
	s_cbranch_execz .LBB10_131
; %bb.130:                              ;   in Loop: Header=BB10_57 Depth=2
	v_mov_b32_e32 v0, 1
	s_waitcnt vmcnt(0) lgkmcnt(0)
	buffer_wbinvl1_vol
.LBB10_131:                             ;   in Loop: Header=BB10_57 Depth=2
	s_or_b64 exec, exec, s[26:27]
	s_andn2_saveexec_b64 s[26:27], s[44:45]
	s_cbranch_execnz .LBB10_172
.LBB10_132:                             ;   in Loop: Header=BB10_57 Depth=2
	s_or_b64 exec, exec, s[26:27]
	v_cmp_ne_u32_e32 vcc, 0, v0
	s_and_saveexec_b64 s[26:27], vcc
	s_cbranch_execz .LBB10_56
	s_branch .LBB10_190
.LBB10_133:                             ;   in Loop: Header=BB10_57 Depth=2
	v_ashrrev_i32_e32 v6, 31, v5
	v_lshrrev_b32_e32 v6, 19, v6
	v_add_u32_e32 v6, v5, v6
	v_ashrrev_i32_e32 v11, 13, v6
	buffer_load_dword v6, off, s[0:3], s33 offset:152 ; 4-byte Folded Reload
	s_waitcnt vmcnt(0)
	v_sub_u32_e32 v20, v11, v6
	v_cmp_lt_i32_e32 vcc, 0, v20
	s_and_saveexec_b64 s[44:45], vcc
	s_cbranch_execz .LBB10_137
; %bb.134:                              ;   in Loop: Header=BB10_57 Depth=2
	buffer_load_dword v19, off, s[0:3], s33 offset:216 ; 4-byte Folded Reload
	buffer_load_dword v52, off, s[0:3], s33 offset:220 ; 4-byte Folded Reload
	v_mov_b32_e32 v15, v13
	v_mov_b32_e32 v17, v1
	s_mov_b64 s[88:89], 0
	v_mov_b32_e32 v14, v12
	v_mov_b32_e32 v16, v0
	;; [unrolled: 1-line block ×3, first 2 shown]
.LBB10_135:                             ;   Parent Loop BB10_47 Depth=1
                                        ;     Parent Loop BB10_57 Depth=2
                                        ; =>    This Inner Loop Header: Depth=3
	s_waitcnt vmcnt(0)
	v_add_co_u32_e32 v7, vcc, v52, v16
	v_addc_co_u32_e32 v8, vcc, 0, v17, vcc
	v_add_co_u32_e32 v38, vcc, s66, v7
	v_addc_co_u32_e32 v39, vcc, 0, v8, vcc
	global_load_dwordx4 v[21:24], v[7:8], off glc slc
	global_load_dwordx4 v[25:28], v[7:8], off offset:1024 glc slc
	global_load_dwordx4 v[29:32], v[7:8], off offset:2048 glc slc
	;; [unrolled: 1-line block ×3, first 2 shown]
	global_load_dwordx4 v[48:51], v[38:39], off glc slc
	global_load_dwordx4 v[58:61], v[38:39], off offset:1024 glc slc
	s_nop 0
	global_load_dwordx4 v[7:10], v[38:39], off offset:2048 glc slc
	global_load_dwordx4 v[42:45], v[38:39], off offset:3072 glc slc
	v_add_co_u32_e32 v38, vcc, v52, v14
	v_addc_co_u32_e32 v39, vcc, 0, v15, vcc
	v_add_co_u32_e32 v16, vcc, v16, v19
	v_addc_co_u32_e32 v17, vcc, 0, v17, vcc
	v_sub_u32_e32 v20, v20, v6
	v_add_co_u32_e32 v14, vcc, v14, v19
	v_addc_co_u32_e32 v15, vcc, 0, v15, vcc
	v_cmp_gt_i32_e64 s[26:27], 1, v20
	v_add_co_u32_e32 v54, vcc, s66, v38
	s_or_b64 s[88:89], s[26:27], s[88:89]
	v_addc_co_u32_e32 v55, vcc, 0, v39, vcc
	s_waitcnt vmcnt(7)
	global_store_dwordx4 v[38:39], v[21:24], off glc slc
	s_waitcnt vmcnt(7)
	global_store_dwordx4 v[38:39], v[25:28], off offset:1024 glc slc
	s_waitcnt vmcnt(7)
	global_store_dwordx4 v[38:39], v[29:32], off offset:2048 glc slc
	;; [unrolled: 2-line block ×3, first 2 shown]
	s_waitcnt vmcnt(7)
	global_store_dwordx4 v[54:55], v[48:51], off glc slc
	s_waitcnt vmcnt(7)
	global_store_dwordx4 v[54:55], v[58:61], off offset:1024 glc slc
	s_waitcnt vmcnt(7)
	global_store_dwordx4 v[54:55], v[7:10], off offset:2048 glc slc
	;; [unrolled: 2-line block ×3, first 2 shown]
	s_andn2_b64 exec, exec, s[88:89]
	s_cbranch_execnz .LBB10_135
; %bb.136:                              ;   in Loop: Header=BB10_57 Depth=2
	s_or_b64 exec, exec, s[88:89]
	buffer_load_dword v55, off, s[0:3], s33 offset:164 ; 4-byte Folded Reload
	buffer_load_dword v42, off, s[0:3], s33 offset:168 ; 4-byte Folded Reload
	;; [unrolled: 1-line block ×11, first 2 shown]
	s_waitcnt vmcnt(7)
	v_mov_b32_e32 v44, v6
.LBB10_137:                             ;   in Loop: Header=BB10_57 Depth=2
	s_or_b64 exec, exec, s[44:45]
	v_lshlrev_b32_e32 v14, 13, v11
	v_cmp_ne_u32_e32 vcc, v5, v14
	s_mov_b64 s[88:89], 0
	v_mov_b32_e32 v9, 0
                                        ; implicit-def: $vgpr19
	s_and_saveexec_b64 s[44:45], vcc
	s_cbranch_execz .LBB10_143
; %bb.138:                              ;   in Loop: Header=BB10_57 Depth=2
	buffer_load_dword v8, off, s[0:3], s33 offset:188 ; 4-byte Folded Reload
	v_lshlrev_b32_e32 v7, 6, v20
	v_sub_u32_e32 v6, v5, v14
	s_waitcnt vmcnt(0)
	v_sub_u32_e32 v7, v8, v7
	v_ashrrev_i32_e32 v8, 31, v7
	v_lshrrev_b32_e32 v8, 26, v8
	v_add_u32_e32 v8, v7, v8
	v_ashrrev_i32_e32 v10, 6, v8
	v_and_b32_e32 v8, 0xffffffc0, v8
	v_sub_u32_e32 v15, v7, v8
	v_ashrrev_i32_e32 v8, 31, v6
	v_lshrrev_b32_e32 v8, 22, v8
	v_add_u32_e32 v8, v6, v8
	v_and_b32_e32 v9, 0xfffffc00, v8
	v_lshlrev_b32_e32 v7, 4, v15
	v_sub_u32_e32 v16, v6, v9
	v_lshl_add_u32 v7, v10, 10, v7
	v_ashrrev_i32_e32 v11, 10, v8
	v_cmp_lt_i32_e32 vcc, 15, v16
	v_sub_u32_e32 v19, v6, v7
	v_addc_co_u32_e64 v6, s[26:27], 0, v11, vcc
	v_sub_u32_e32 v17, v6, v10
	v_cmp_lt_i32_e64 s[26:27], 15, v19
	s_and_saveexec_b64 s[88:89], s[26:27]
	s_cbranch_execz .LBB10_142
; %bb.139:                              ;   in Loop: Header=BB10_57 Depth=2
	v_add_u32_e32 v7, v7, v14
	v_ashrrev_i32_e32 v20, 31, v7
	s_mov_b64 s[90:91], 0
.LBB10_140:                             ;   Parent Loop BB10_47 Depth=1
                                        ;     Parent Loop BB10_57 Depth=2
                                        ; =>    This Inner Loop Header: Depth=3
	v_add_co_u32_e64 v10, s[26:27], v0, v7
	v_addc_co_u32_e64 v11, s[26:27], v1, v20, s[26:27]
	global_load_dwordx4 v[21:24], v[10:11], off glc slc
	v_add_co_u32_e64 v10, s[26:27], v12, v7
	v_addc_co_u32_e64 v11, s[26:27], v13, v20, s[26:27]
	v_add_co_u32_e64 v7, s[26:27], v7, v45
	v_sub_u32_e32 v19, v19, v45
	v_addc_co_u32_e64 v20, s[26:27], 0, v20, s[26:27]
	v_cmp_gt_i32_e64 s[26:27], 16, v19
	v_sub_u32_e32 v17, v17, v44
	s_or_b64 s[90:91], s[26:27], s[90:91]
	s_waitcnt vmcnt(0)
	global_store_dwordx4 v[10:11], v[21:24], off glc slc
	s_andn2_b64 exec, exec, s[90:91]
	s_cbranch_execnz .LBB10_140
; %bb.141:                              ;   in Loop: Header=BB10_57 Depth=2
	s_or_b64 exec, exec, s[90:91]
.LBB10_142:                             ;   in Loop: Header=BB10_57 Depth=2
	s_or_b64 exec, exec, s[88:89]
	v_and_b32_e32 v5, 14, v5
	v_sub_u32_e32 v6, v16, v5
	v_cndmask_b32_e32 v6, 0, v6, vcc
	v_cndmask_b32_e32 v5, v16, v5, vcc
	v_cmp_lt_i32_e32 vcc, 0, v17
	v_add3_u32 v9, v9, v14, v6
	v_cndmask_b32_e32 v6, 0, v44, vcc
	v_sub_u32_e32 v6, v6, v17
	v_cmp_ne_u32_e32 vcc, 0, v5
	v_lshl_add_u32 v19, v6, 6, v15
	s_and_b64 s[88:89], vcc, exec
.LBB10_143:                             ;   in Loop: Header=BB10_57 Depth=2
	s_or_b64 exec, exec, s[44:45]
	s_and_saveexec_b64 s[26:27], s[88:89]
	s_cbranch_execz .LBB10_152
.LBB10_144:                             ;   in Loop: Header=BB10_57 Depth=2
	v_ashrrev_i32_e32 v6, 31, v19
	v_lshrrev_b32_e32 v6, 26, v6
	v_add_u32_e32 v7, v19, v6
	v_ashrrev_i32_e32 v6, 31, v5
	v_lshrrev_b32_e32 v6, 21, v6
	v_add_u32_e32 v6, v5, v6
	v_ashrrev_i32_e32 v20, 6, v7
	v_ashrrev_i32_e32 v22, 11, v6
	v_sub_u32_e32 v21, v22, v20
	v_cmp_lt_i32_e32 vcc, 0, v21
	s_and_saveexec_b64 s[44:45], vcc
	s_cbranch_execz .LBB10_148
; %bb.145:                              ;   in Loop: Header=BB10_57 Depth=2
	v_and_b32_e32 v6, 0x7fffffc0, v7
	v_sub_u32_e32 v6, v19, v6
	v_lshlrev_b32_e32 v6, 1, v6
	v_lshlrev_b32_e32 v7, 11, v20
	v_add3_u32 v23, v6, v9, v7
	s_waitcnt vmcnt(0)
	v_mov_b32_e32 v15, v13
	v_mov_b32_e32 v17, v1
	v_ashrrev_i32_e32 v24, 31, v23
	s_mov_b64 s[88:89], 0
	v_mov_b32_e32 v14, v12
	v_mov_b32_e32 v16, v0
.LBB10_146:                             ;   Parent Loop BB10_47 Depth=1
                                        ;     Parent Loop BB10_57 Depth=2
                                        ; =>    This Inner Loop Header: Depth=3
	v_add_co_u32_e32 v7, vcc, v23, v16
	v_addc_co_u32_e32 v8, vcc, v24, v17, vcc
	flat_load_ushort v6, v[7:8] glc slc
	flat_load_ushort v10, v[7:8] offset:128 glc slc
	flat_load_ushort v11, v[7:8] offset:256 glc slc
	;; [unrolled: 1-line block ×15, first 2 shown]
	v_add_co_u32_e32 v7, vcc, v23, v14
	v_addc_co_u32_e32 v8, vcc, v24, v15, vcc
	s_waitcnt vmcnt(0)
	v_add_co_u32_e32 v16, vcc, v16, v58
	v_addc_co_u32_e32 v17, vcc, 0, v17, vcc
	v_add_co_u32_e32 v14, vcc, v14, v58
	v_sub_u32_e32 v21, v21, v44
	v_addc_co_u32_e32 v15, vcc, 0, v15, vcc
	v_cmp_gt_i32_e32 vcc, 1, v21
	s_or_b64 s[88:89], vcc, s[88:89]
	s_waitcnt lgkmcnt(0)
	flat_store_short v[7:8], v6 glc slc
	flat_store_short v[7:8], v10 offset:128 glc slc
	flat_store_short v[7:8], v11 offset:256 glc slc
	flat_store_short v[7:8], v25 offset:384 glc slc
	flat_store_short v[7:8], v26 offset:512 glc slc
	flat_store_short v[7:8], v27 offset:640 glc slc
	flat_store_short v[7:8], v28 offset:768 glc slc
	flat_store_short v[7:8], v29 offset:896 glc slc
	flat_store_short v[7:8], v30 offset:1024 glc slc
	flat_store_short v[7:8], v31 offset:1152 glc slc
	flat_store_short v[7:8], v32 offset:1280 glc slc
	flat_store_short v[7:8], v33 offset:1408 glc slc
	flat_store_short v[7:8], v34 offset:1536 glc slc
	flat_store_short v[7:8], v35 offset:1664 glc slc
	flat_store_short v[7:8], v36 offset:1792 glc slc
	flat_store_short v[7:8], v38 offset:1920 glc slc
	s_andn2_b64 exec, exec, s[88:89]
	s_cbranch_execnz .LBB10_146
; %bb.147:                              ;   in Loop: Header=BB10_57 Depth=2
	s_or_b64 exec, exec, s[88:89]
.LBB10_148:                             ;   in Loop: Header=BB10_57 Depth=2
	s_or_b64 exec, exec, s[44:45]
	buffer_load_dword v14, off, s[0:3], s33 offset:80 ; 4-byte Folded Reload
	v_lshlrev_b32_e32 v7, 11, v22
	v_cmp_ne_u32_e32 vcc, v5, v7
	s_and_b64 s[44:45], exec, vcc
	s_mov_b64 exec, s[44:45]
	s_cbranch_execz .LBB10_152
; %bb.149:                              ;   in Loop: Header=BB10_57 Depth=2
	v_lshlrev_b32_e32 v6, 6, v20
	v_sub_u32_e32 v6, v19, v6
	v_lshlrev_b32_e32 v8, 6, v21
	v_sub_u32_e32 v6, v6, v8
	v_ashrrev_i32_e32 v8, 31, v6
	v_lshrrev_b32_e32 v8, 26, v8
	v_add_u32_e32 v8, v6, v8
	v_and_b32_e32 v10, 0x7fffffc0, v8
	v_sub_u32_e32 v6, v6, v10
	v_lshlrev_b32_e32 v8, 1, v8
	v_and_b32_e32 v8, 0xffffff80, v8
	v_lshlrev_b32_e32 v6, 1, v6
	v_add3_u32 v7, v8, v6, v7
	v_sub_u32_e32 v5, v5, v7
	v_cmp_lt_i32_e32 vcc, 1, v5
	s_and_b64 exec, exec, vcc
	s_cbranch_execz .LBB10_152
; %bb.150:                              ;   in Loop: Header=BB10_57 Depth=2
	v_add_u32_e32 v7, v7, v9
	v_ashrrev_i32_e32 v9, 31, v7
	s_mov_b64 s[44:45], 0
.LBB10_151:                             ;   Parent Loop BB10_47 Depth=1
                                        ;     Parent Loop BB10_57 Depth=2
                                        ; =>    This Inner Loop Header: Depth=3
	v_add_co_u32_e32 v10, vcc, v0, v7
	v_addc_co_u32_e32 v11, vcc, v1, v9, vcc
	flat_load_ushort v6, v[10:11] glc slc
	v_add_co_u32_e32 v10, vcc, v12, v7
	v_addc_co_u32_e32 v11, vcc, v13, v9, vcc
	s_waitcnt vmcnt(0)
	v_add_co_u32_e32 v7, vcc, v7, v14
	v_sub_u32_e32 v5, v5, v14
	v_addc_co_u32_e32 v9, vcc, 0, v9, vcc
	v_cmp_gt_i32_e32 vcc, 2, v5
	s_or_b64 s[44:45], vcc, s[44:45]
	s_waitcnt lgkmcnt(0)
	flat_store_short v[10:11], v6 glc slc
	s_andn2_b64 exec, exec, s[44:45]
	s_cbranch_execnz .LBB10_151
.LBB10_152:                             ;   in Loop: Header=BB10_57 Depth=2
	s_or_b64 exec, exec, s[26:27]
	v_cmp_lt_i32_e64 s[26:27], 0, v3
	s_and_saveexec_b64 s[44:45], s[10:11]
	s_cbranch_execz .LBB10_128
.LBB10_153:                             ;   in Loop: Header=BB10_57 Depth=2
	s_and_saveexec_b64 s[88:89], s[60:61]
	s_xor_b64 s[88:89], exec, s[88:89]
	s_cbranch_execz .LBB10_168
; %bb.154:                              ;   in Loop: Header=BB10_57 Depth=2
	s_and_saveexec_b64 s[90:91], s[16:17]
	s_cbranch_execz .LBB10_167
; %bb.155:                              ;   in Loop: Header=BB10_57 Depth=2
	s_mov_b64 s[94:95], exec
	v_mbcnt_lo_u32_b32 v0, s94, 0
	v_mbcnt_hi_u32_b32 v0, s95, v0
	v_cmp_eq_u32_e32 vcc, 0, v0
	s_waitcnt vmcnt(0) lgkmcnt(0)
	buffer_wbinvl1_vol
	s_and_saveexec_b64 s[92:93], vcc
	s_cbranch_execz .LBB10_157
; %bb.156:                              ;   in Loop: Header=BB10_57 Depth=2
	s_bcnt1_i32_b64 s79, s[94:95]
	v_mov_b32_e32 v0, s79
	v_mov_b32_e32 v1, v2
	ds_add_u64 v0, v[0:1]
	s_trap 2
.LBB10_157:                             ;   in Loop: Header=BB10_57 Depth=2
	s_or_b64 exec, exec, s[92:93]
	s_trap 2
	ds_read_b64 v[0:1], v0
	s_waitcnt lgkmcnt(0)
	v_add_co_u32_e32 v46, vcc, v46, v44
	v_addc_co_u32_e32 v47, vcc, 0, v47, vcc
	v_cmp_lt_u64_e32 vcc, v[0:1], v[46:47]
	s_and_saveexec_b64 s[92:93], vcc
	s_cbranch_execz .LBB10_166
; %bb.158:                              ;   in Loop: Header=BB10_57 Depth=2
	s_mov_b32 s79, 0
	s_mov_b64 s[94:95], 0
                                        ; implicit-def: $sgpr30_sgpr31
                                        ; implicit-def: $sgpr34_sgpr35
	s_branch .LBB10_160
.LBB10_159:                             ;   in Loop: Header=BB10_160 Depth=3
	s_or_b64 exec, exec, s[38:39]
	s_and_b64 vcc, exec, vcc
	s_or_b64 s[94:95], vcc, s[94:95]
	s_andn2_b64 vcc, s[30:31], exec
	s_and_b64 s[30:31], s[34:35], exec
	s_or_b64 s[30:31], vcc, s[30:31]
	s_andn2_b64 exec, exec, s[94:95]
	s_cbranch_execz .LBB10_164
.LBB10_160:                             ;   Parent Loop BB10_47 Depth=1
                                        ;     Parent Loop BB10_57 Depth=2
                                        ; =>    This Inner Loop Header: Depth=3
	s_add_i32 s79, s79, 1
	s_cmpk_lg_i32 s79, 0x2710
	s_cselect_b64 s[36:37], -1, 0
	s_and_b64 vcc, exec, s[36:37]
	s_cbranch_vccz .LBB10_162
; %bb.161:                              ;   in Loop: Header=BB10_160 Depth=3
	s_mov_b64 vcc, -1
	s_or_b64 s[34:35], s[34:35], exec
	s_and_saveexec_b64 s[38:39], s[36:37]
	s_cbranch_execz .LBB10_159
	s_branch .LBB10_163
.LBB10_162:                             ;   in Loop: Header=BB10_160 Depth=3
	s_trap 2
	ds_read_b64 v[0:1], v0
	s_andn2_b64 s[36:37], s[36:37], exec
	s_mov_b32 s79, 0
	s_waitcnt lgkmcnt(0)
	flat_load_dword v0, v[0:1] glc
	s_waitcnt vmcnt(0) lgkmcnt(0)
	buffer_wbinvl1_vol
	v_cmp_eq_u32_e32 vcc, 0, v0
	s_and_b64 vcc, vcc, exec
	s_or_b64 s[36:37], s[36:37], vcc
	s_mov_b64 vcc, -1
	s_or_b64 s[34:35], s[34:35], exec
	s_and_saveexec_b64 s[38:39], s[36:37]
	s_cbranch_execz .LBB10_159
.LBB10_163:                             ;   in Loop: Header=BB10_160 Depth=3
	s_sleep 1
	s_trap 2
	ds_read_b64 v[0:1], v0
	s_waitcnt lgkmcnt(0)
	s_andn2_b64 s[34:35], s[34:35], exec
	v_cmp_ge_u64_e32 vcc, v[0:1], v[46:47]
	s_orn2_b64 vcc, vcc, exec
	s_branch .LBB10_159
.LBB10_164:                             ;   in Loop: Header=BB10_57 Depth=2
	s_or_b64 exec, exec, s[94:95]
	s_and_saveexec_b64 s[94:95], s[30:31]
	s_xor_b64 s[94:95], exec, s[94:95]
	s_cbranch_execz .LBB10_166
; %bb.165:                              ;   in Loop: Header=BB10_57 Depth=2
	v_mov_b32_e32 v0, 1
	ds_write_b32 v0, v0
	s_trap 2
.LBB10_166:                             ;   in Loop: Header=BB10_57 Depth=2
	s_or_b64 exec, exec, s[92:93]
	;;#ASMSTART
	s_wakeup
	;;#ASMEND
.LBB10_167:                             ;   in Loop: Header=BB10_57 Depth=2
	s_or_b64 exec, exec, s[90:91]
.LBB10_168:                             ;   in Loop: Header=BB10_57 Depth=2
	s_andn2_saveexec_b64 s[88:89], s[88:89]
	s_cbranch_execz .LBB10_170
; %bb.169:                              ;   in Loop: Header=BB10_57 Depth=2
	s_waitcnt vmcnt(0) lgkmcnt(0)
	buffer_wbinvl1_vol
	s_barrier
.LBB10_170:                             ;   in Loop: Header=BB10_57 Depth=2
	s_or_b64 exec, exec, s[88:89]
	s_or_b64 exec, exec, s[44:45]
                                        ; implicit-def: $vgpr0
	s_and_saveexec_b64 s[44:45], s[24:25]
	s_xor_b64 s[44:45], exec, s[44:45]
	s_cbranch_execnz .LBB10_129
.LBB10_171:                             ;   in Loop: Header=BB10_57 Depth=2
	s_andn2_saveexec_b64 s[26:27], s[44:45]
	s_cbranch_execz .LBB10_132
.LBB10_172:                             ;   in Loop: Header=BB10_57 Depth=2
	s_and_saveexec_b64 s[44:45], s[60:61]
	s_xor_b64 s[44:45], exec, s[44:45]
	s_cbranch_execz .LBB10_187
; %bb.173:                              ;   in Loop: Header=BB10_57 Depth=2
	s_and_saveexec_b64 s[88:89], s[16:17]
	s_cbranch_execz .LBB10_186
; %bb.174:                              ;   in Loop: Header=BB10_57 Depth=2
	s_mov_b64 s[92:93], exec
	v_mbcnt_lo_u32_b32 v0, s92, 0
	v_mbcnt_hi_u32_b32 v0, s93, v0
	v_cmp_eq_u32_e32 vcc, 0, v0
	;;#ASMSTART
	s_waitcnt lgkmcnt(0) vmcnt(0)
	;;#ASMEND
	s_and_saveexec_b64 s[90:91], vcc
	s_cbranch_execz .LBB10_176
; %bb.175:                              ;   in Loop: Header=BB10_57 Depth=2
	s_bcnt1_i32_b64 s79, s[92:93]
	v_mov_b32_e32 v0, s79
	v_mov_b32_e32 v1, v2
	s_waitcnt lgkmcnt(0)
	ds_add_u64 v0, v[0:1]
	s_trap 2
.LBB10_176:                             ;   in Loop: Header=BB10_57 Depth=2
	s_or_b64 exec, exec, s[90:91]
	s_trap 2
	ds_read_b64 v[0:1], v0
	s_waitcnt lgkmcnt(0)
	v_add_co_u32_e32 v46, vcc, v46, v44
	v_addc_co_u32_e32 v47, vcc, 0, v47, vcc
	v_cmp_lt_u64_e32 vcc, v[0:1], v[46:47]
	s_and_saveexec_b64 s[90:91], vcc
	s_cbranch_execz .LBB10_185
; %bb.177:                              ;   in Loop: Header=BB10_57 Depth=2
	s_mov_b32 s79, 0
	s_mov_b64 s[92:93], 0
                                        ; implicit-def: $sgpr94_sgpr95
                                        ; implicit-def: $sgpr30_sgpr31
	s_branch .LBB10_179
.LBB10_178:                             ;   in Loop: Header=BB10_179 Depth=3
	s_or_b64 exec, exec, s[36:37]
	s_and_b64 vcc, exec, vcc
	s_or_b64 s[92:93], vcc, s[92:93]
	s_andn2_b64 s[94:95], s[94:95], exec
	s_and_b64 vcc, s[30:31], exec
	s_or_b64 s[94:95], s[94:95], vcc
	s_andn2_b64 exec, exec, s[92:93]
	s_cbranch_execz .LBB10_183
.LBB10_179:                             ;   Parent Loop BB10_47 Depth=1
                                        ;     Parent Loop BB10_57 Depth=2
                                        ; =>    This Inner Loop Header: Depth=3
	s_add_i32 s79, s79, 1
	s_cmpk_lg_i32 s79, 0x2710
	s_cselect_b64 s[34:35], -1, 0
	s_and_b64 vcc, exec, s[34:35]
	s_cbranch_vccz .LBB10_181
; %bb.180:                              ;   in Loop: Header=BB10_179 Depth=3
	s_mov_b64 vcc, -1
	s_or_b64 s[30:31], s[30:31], exec
	s_and_saveexec_b64 s[36:37], s[34:35]
	s_cbranch_execz .LBB10_178
	s_branch .LBB10_182
.LBB10_181:                             ;   in Loop: Header=BB10_179 Depth=3
	s_trap 2
	ds_read_b64 v[0:1], v0
	s_andn2_b64 s[34:35], s[34:35], exec
	s_mov_b32 s79, 0
	s_waitcnt vmcnt(0) lgkmcnt(0)
	flat_load_dword v0, v[0:1] glc
	s_waitcnt vmcnt(0) lgkmcnt(0)
	buffer_wbinvl1_vol
	v_cmp_eq_u32_e32 vcc, 0, v0
	s_and_b64 vcc, vcc, exec
	s_or_b64 s[34:35], s[34:35], vcc
	s_mov_b64 vcc, -1
	s_or_b64 s[30:31], s[30:31], exec
	s_and_saveexec_b64 s[36:37], s[34:35]
	s_cbranch_execz .LBB10_178
.LBB10_182:                             ;   in Loop: Header=BB10_179 Depth=3
	s_sleep 1
	s_trap 2
	ds_read_b64 v[0:1], v0
	s_waitcnt lgkmcnt(0)
	s_andn2_b64 s[30:31], s[30:31], exec
	v_cmp_ge_u64_e32 vcc, v[0:1], v[46:47]
	s_orn2_b64 vcc, vcc, exec
	s_branch .LBB10_178
.LBB10_183:                             ;   in Loop: Header=BB10_57 Depth=2
	s_or_b64 exec, exec, s[92:93]
	s_and_saveexec_b64 s[92:93], s[94:95]
	s_xor_b64 s[92:93], exec, s[92:93]
	s_cbranch_execz .LBB10_185
; %bb.184:                              ;   in Loop: Header=BB10_57 Depth=2
	v_mov_b32_e32 v0, 1
	ds_write_b32 v0, v0
	s_trap 2
.LBB10_185:                             ;   in Loop: Header=BB10_57 Depth=2
	s_or_b64 exec, exec, s[90:91]
	;;#ASMSTART
	s_wakeup
	;;#ASMEND
.LBB10_186:                             ;   in Loop: Header=BB10_57 Depth=2
	s_or_b64 exec, exec, s[88:89]
.LBB10_187:                             ;   in Loop: Header=BB10_57 Depth=2
	s_andn2_saveexec_b64 s[44:45], s[44:45]
	s_cbranch_execz .LBB10_189
; %bb.188:                              ;   in Loop: Header=BB10_57 Depth=2
	;;#ASMSTART
	s_waitcnt lgkmcnt(0) vmcnt(0)
	;;#ASMEND
	s_waitcnt vmcnt(0) lgkmcnt(0)
	s_barrier
.LBB10_189:                             ;   in Loop: Header=BB10_57 Depth=2
	s_or_b64 exec, exec, s[44:45]
	v_and_b32_e32 v0, 16, v62
	s_or_b64 exec, exec, s[26:27]
	v_cmp_ne_u32_e32 vcc, 0, v0
	s_and_saveexec_b64 s[26:27], vcc
	s_cbranch_execz .LBB10_56
.LBB10_190:                             ;   in Loop: Header=BB10_57 Depth=2
	s_and_saveexec_b64 s[44:45], s[14:15]
	s_cbranch_execz .LBB10_55
; %bb.191:                              ;   in Loop: Header=BB10_57 Depth=2
	buffer_load_dword v0, off, s[0:3], s33 offset:92 ; 4-byte Folded Reload
	buffer_load_dword v1, off, s[0:3], s33 offset:96 ; 4-byte Folded Reload
	v_mov_b32_e32 v3, 1
	s_waitcnt vmcnt(0)
	flat_store_dword v[0:1], v3
	s_branch .LBB10_55
.LBB10_192:                             ;   in Loop: Header=BB10_47 Depth=1
	s_or_b64 exec, exec, s[40:41]
	buffer_load_dword v53, off, s[0:3], s33 offset:80 ; 4-byte Folded Reload
.LBB10_193:                             ;   in Loop: Header=BB10_47 Depth=1
	s_or_b64 exec, exec, s[28:29]
	v_cmp_gt_i32_e32 vcc, 2, v3
	s_and_saveexec_b64 s[28:29], vcc
	s_cbranch_execz .LBB10_265
; %bb.194:                              ;   in Loop: Header=BB10_47 Depth=1
	v_cmp_eq_u32_e64 s[42:43], 0, v3
	s_mov_b64 s[40:41], 0
	s_branch .LBB10_197
.LBB10_195:                             ;   in Loop: Header=BB10_197 Depth=2
	s_or_b64 exec, exec, s[42:43]
	buffer_load_dword v0, off, s[0:3], s33 offset:60 ; 4-byte Folded Reload
	buffer_load_dword v1, off, s[0:3], s33 offset:64 ; 4-byte Folded Reload
	s_waitcnt vmcnt(0)
	v_add_co_u32_e32 v0, vcc, 2, v0
	v_addc_co_u32_e32 v1, vcc, 0, v1, vcc
	buffer_store_dword v0, off, s[0:3], s33 offset:60 ; 4-byte Folded Spill
	s_nop 0
	buffer_store_dword v1, off, s[0:3], s33 offset:64 ; 4-byte Folded Spill
	flat_store_dwordx2 v[40:41], v[0:1]
.LBB10_196:                             ;   in Loop: Header=BB10_197 Depth=2
	s_or_b64 exec, exec, s[26:27]
	v_add_u32_e32 v37, v4, v37
	s_mov_b64 s[42:43], 0
	s_andn2_b64 exec, exec, s[40:41]
	s_cbranch_execz .LBB10_264
.LBB10_197:                             ;   Parent Loop BB10_47 Depth=1
                                        ; =>  This Loop Header: Depth=2
                                        ;       Child Loop BB10_203 Depth 3
                                        ;       Child Loop BB10_227 Depth 3
	;; [unrolled: 1-line block ×3, first 2 shown]
	v_sub_u32_e32 v0, v18, v37
	v_min_i32_e32 v4, v4, v0
	v_and_b32_e32 v0, 8, v62
	v_cmp_ne_u32_e32 vcc, 0, v0
	s_and_saveexec_b64 s[44:45], vcc
	s_cbranch_execz .LBB10_219
; %bb.198:                              ;   in Loop: Header=BB10_197 Depth=2
	buffer_load_dword v0, off, s[0:3], s33 offset:60 ; 4-byte Folded Reload
	buffer_load_dword v1, off, s[0:3], s33 offset:64 ; 4-byte Folded Reload
	s_waitcnt lgkmcnt(0)
	v_add_co_u32_e32 v7, vcc, 8, v56
	v_addc_co_u32_e32 v8, vcc, 0, v57, vcc
	s_waitcnt vmcnt(0)
	v_add_co_u32_e32 v0, vcc, 2, v0
	v_addc_co_u32_e32 v1, vcc, 0, v1, vcc
	v_cmp_lt_u64_e32 vcc, v[7:8], v[0:1]
	s_and_saveexec_b64 s[88:89], vcc
	s_cbranch_execz .LBB10_210
; %bb.199:                              ;   in Loop: Header=BB10_197 Depth=2
	v_and_b32_e32 v3, 64, v62
	s_mov_b32 s58, 0
	v_cmp_eq_u32_e32 vcc, 0, v3
	s_mov_b64 s[90:91], 0
                                        ; implicit-def: $sgpr92_sgpr93
                                        ; implicit-def: $sgpr94_sgpr95
                                        ; implicit-def: $sgpr30_sgpr31
	s_branch .LBB10_203
.LBB10_200:                             ;   in Loop: Header=BB10_203 Depth=3
	s_waitcnt vmcnt(0) lgkmcnt(0)
	v_add_co_u32_e64 v7, s[26:27], 8, v56
	v_addc_co_u32_e64 v8, s[26:27], 0, v57, s[26:27]
	v_cmp_ge_u64_e64 s[26:27], v[7:8], v[0:1]
	s_or_b64 s[38:39], s[38:39], exec
	s_orn2_b64 s[36:37], s[26:27], exec
.LBB10_201:                             ;   in Loop: Header=BB10_203 Depth=3
	s_or_b64 exec, exec, s[50:51]
	s_andn2_b64 s[26:27], s[30:31], exec
	s_and_b64 s[30:31], s[38:39], exec
	s_or_b64 s[30:31], s[26:27], s[30:31]
	s_andn2_b64 s[26:27], s[94:95], exec
	s_and_b64 s[94:95], s[36:37], exec
	s_or_b64 s[94:95], s[26:27], s[94:95]
.LBB10_202:                             ;   in Loop: Header=BB10_203 Depth=3
	s_or_b64 exec, exec, s[34:35]
	s_and_b64 s[26:27], exec, s[94:95]
	s_or_b64 s[90:91], s[26:27], s[90:91]
	s_andn2_b64 s[26:27], s[92:93], exec
	s_and_b64 s[92:93], s[30:31], exec
	s_or_b64 s[92:93], s[26:27], s[92:93]
	s_andn2_b64 exec, exec, s[90:91]
	s_cbranch_execz .LBB10_207
.LBB10_203:                             ;   Parent Loop BB10_47 Depth=1
                                        ;     Parent Loop BB10_197 Depth=2
                                        ; =>    This Inner Loop Header: Depth=3
	s_sleep 1
	s_waitcnt vmcnt(0) lgkmcnt(0)
	flat_load_dwordx2 v[56:57], v[40:41] glc
	s_or_b64 s[30:31], s[30:31], exec
	s_or_b64 s[94:95], s[94:95], exec
                                        ; implicit-def: $vgpr3
	s_and_saveexec_b64 s[34:35], vcc
	s_cbranch_execz .LBB10_202
; %bb.204:                              ;   in Loop: Header=BB10_203 Depth=3
	s_cmpk_lt_i32 s58, 0x270f
	s_cselect_b64 s[48:49], -1, 0
	s_cmpk_gt_i32 s58, 0x270e
	s_mov_b64 s[36:37], -1
	s_cbranch_scc0 .LBB10_206
; %bb.205:                              ;   in Loop: Header=BB10_203 Depth=3
	s_trap 2
	ds_read_b64 v[7:8], v0
	s_andn2_b64 s[48:49], s[48:49], exec
	s_mov_b32 s58, 0
	s_mov_b64 s[38:39], 0
	s_waitcnt vmcnt(0) lgkmcnt(0)
	flat_load_dword v3, v[7:8] glc
	s_waitcnt vmcnt(0) lgkmcnt(0)
	buffer_wbinvl1_vol
	v_cmp_eq_u32_e64 s[26:27], 0, v3
	s_and_b64 s[26:27], s[26:27], exec
	s_or_b64 s[48:49], s[48:49], s[26:27]
	s_and_saveexec_b64 s[50:51], s[48:49]
	s_cbranch_execz .LBB10_201
	s_branch .LBB10_200
.LBB10_206:                             ;   in Loop: Header=BB10_203 Depth=3
	s_add_i32 s58, s58, 1
	s_mov_b64 s[38:39], -1
                                        ; implicit-def: $vgpr3
	s_and_saveexec_b64 s[50:51], s[48:49]
	s_cbranch_execz .LBB10_201
	s_branch .LBB10_200
.LBB10_207:                             ;   in Loop: Header=BB10_197 Depth=2
	s_or_b64 exec, exec, s[90:91]
	s_xor_b64 s[26:27], s[92:93], -1
	s_and_saveexec_b64 s[90:91], s[26:27]
	s_xor_b64 s[26:27], exec, s[90:91]
	s_cbranch_execz .LBB10_209
; %bb.208:                              ;   in Loop: Header=BB10_197 Depth=2
	v_or_b32_e32 v62, 64, v62
	s_waitcnt lgkmcnt(0)
	ds_write_b32 v0, v3
	s_trap 2
.LBB10_209:                             ;   in Loop: Header=BB10_197 Depth=2
	s_or_b64 exec, exec, s[26:27]
.LBB10_210:                             ;   in Loop: Header=BB10_197 Depth=2
	s_or_b64 exec, exec, s[88:89]
	;;#ASMSTART
	s_wakeup
	;;#ASMEND
	buffer_load_dword v5, off, s[0:3], s33 offset:60 ; 4-byte Folded Reload
	buffer_load_dword v6, off, s[0:3], s33 offset:64 ; 4-byte Folded Reload
	v_and_b32_e32 v3, 0x100, v62
	v_cmp_ne_u32_e32 vcc, 0, v3
	s_mov_b64 s[26:27], -1
                                        ; implicit-def: $vgpr9_vgpr10
	s_waitcnt vmcnt(0)
	v_and_b32_e32 v3, 7, v5
	s_and_saveexec_b64 s[88:89], vcc
	s_cbranch_execz .LBB10_214
; %bb.211:                              ;   in Loop: Header=BB10_197 Depth=2
	v_mad_u64_u32 v[11:12], s[26:27], v3, 24, v[42:43]
	v_ashrrev_i32_e32 v5, 31, v4
	v_lshlrev_b64 v[7:8], 1, v[4:5]
	flat_load_dword v5, v[11:12]
                                        ; implicit-def: $vgpr9_vgpr10
	s_waitcnt vmcnt(0) lgkmcnt(0)
	v_cmp_ne_u32_e32 vcc, 1, v5
	v_cmp_eq_u32_e64 s[26:27], 1, v5
	flat_store_dwordx2 v[11:12], v[7:8] offset:8
	s_and_saveexec_b64 s[90:91], s[26:27]
	s_cbranch_execz .LBB10_213
; %bb.212:                              ;   in Loop: Header=BB10_197 Depth=2
	flat_load_dword v7, v[11:12] offset:4 glc
	s_waitcnt vmcnt(0) lgkmcnt(0)
	v_ashrrev_i32_e32 v8, 31, v7
	v_lshrrev_b64 v[9:10], 1, v[7:8]
.LBB10_213:                             ;   in Loop: Header=BB10_197 Depth=2
	s_or_b64 exec, exec, s[90:91]
	s_orn2_b64 s[26:27], vcc, exec
.LBB10_214:                             ;   in Loop: Header=BB10_197 Depth=2
	s_or_b64 exec, exec, s[88:89]
	s_and_saveexec_b64 s[88:89], s[26:27]
; %bb.215:                              ;   in Loop: Header=BB10_197 Depth=2
	v_mad_i64_i32 v[9:10], s[26:27], v3, v54, 0
; %bb.216:                              ;   in Loop: Header=BB10_197 Depth=2
	s_or_b64 exec, exec, s[88:89]
	buffer_load_dword v5, off, s[0:3], s33 offset:84 ; 4-byte Folded Reload
	buffer_load_dword v6, off, s[0:3], s33 offset:88 ; 4-byte Folded Reload
	v_lshlrev_b64 v[7:8], 1, v[9:10]
	v_and_b32_e32 v3, 0x2000, v62
	s_waitcnt vmcnt(0)
	v_add_co_u32_e32 v7, vcc, v5, v7
	v_addc_co_u32_e32 v8, vcc, v6, v8, vcc
	v_cmp_ne_u32_e32 vcc, 0, v3
	ds_write_b64 v0, v[7:8] offset:784
	s_and_saveexec_b64 s[26:27], vcc
	s_cbranch_execz .LBB10_218
; %bb.217:                              ;   in Loop: Header=BB10_197 Depth=2
	ds_read_b64 v[7:8], v0 offset:872
	s_waitcnt lgkmcnt(0)
	v_add_co_u32_e32 v7, vcc, 1, v7
	v_addc_co_u32_e32 v8, vcc, 0, v8, vcc
	ds_write_b64 v0, v[7:8] offset:872
.LBB10_218:                             ;   in Loop: Header=BB10_197 Depth=2
	s_or_b64 exec, exec, s[26:27]
	buffer_store_dword v0, off, s[0:3], s33 offset:60 ; 4-byte Folded Spill
	s_nop 0
	buffer_store_dword v1, off, s[0:3], s33 offset:64 ; 4-byte Folded Spill
.LBB10_219:                             ;   in Loop: Header=BB10_197 Depth=2
	s_or_b64 exec, exec, s[44:45]
	s_xor_b64 s[26:27], s[42:43], -1
	s_and_b64 s[26:27], exec, s[26:27]
	s_or_b64 s[40:41], s[26:27], s[40:41]
	s_and_saveexec_b64 s[26:27], s[10:11]
	s_cbranch_execz .LBB10_238
; %bb.220:                              ;   in Loop: Header=BB10_197 Depth=2
	s_and_saveexec_b64 s[42:43], s[60:61]
	s_xor_b64 s[42:43], exec, s[42:43]
	s_cbranch_execz .LBB10_235
; %bb.221:                              ;   in Loop: Header=BB10_197 Depth=2
	s_and_saveexec_b64 s[44:45], s[16:17]
	s_cbranch_execz .LBB10_234
; %bb.222:                              ;   in Loop: Header=BB10_197 Depth=2
	s_mov_b64 s[90:91], exec
	v_mbcnt_lo_u32_b32 v0, s90, 0
	v_mbcnt_hi_u32_b32 v0, s91, v0
	v_cmp_eq_u32_e32 vcc, 0, v0
	s_waitcnt vmcnt(0) lgkmcnt(0)
	buffer_wbinvl1_vol
	s_and_saveexec_b64 s[88:89], vcc
	s_cbranch_execz .LBB10_224
; %bb.223:                              ;   in Loop: Header=BB10_197 Depth=2
	s_bcnt1_i32_b64 s58, s[90:91]
	v_mov_b32_e32 v0, s58
	v_mov_b32_e32 v1, v2
	ds_add_u64 v0, v[0:1]
	s_trap 2
.LBB10_224:                             ;   in Loop: Header=BB10_197 Depth=2
	s_or_b64 exec, exec, s[88:89]
	s_trap 2
	ds_read_b64 v[0:1], v0
	s_waitcnt lgkmcnt(0)
	v_add_co_u32_e32 v46, vcc, v46, v44
	v_addc_co_u32_e32 v47, vcc, 0, v47, vcc
	v_cmp_lt_u64_e32 vcc, v[0:1], v[46:47]
	s_and_saveexec_b64 s[88:89], vcc
	s_cbranch_execz .LBB10_233
; %bb.225:                              ;   in Loop: Header=BB10_197 Depth=2
	s_mov_b32 s58, 0
	s_mov_b64 s[90:91], 0
                                        ; implicit-def: $sgpr92_sgpr93
                                        ; implicit-def: $sgpr94_sgpr95
	s_branch .LBB10_227
.LBB10_226:                             ;   in Loop: Header=BB10_227 Depth=3
	s_or_b64 exec, exec, s[34:35]
	s_and_b64 vcc, exec, vcc
	s_or_b64 s[90:91], vcc, s[90:91]
	s_andn2_b64 s[92:93], s[92:93], exec
	s_and_b64 vcc, s[94:95], exec
	s_or_b64 s[92:93], s[92:93], vcc
	s_andn2_b64 exec, exec, s[90:91]
	s_cbranch_execz .LBB10_231
.LBB10_227:                             ;   Parent Loop BB10_47 Depth=1
                                        ;     Parent Loop BB10_197 Depth=2
                                        ; =>    This Inner Loop Header: Depth=3
	s_add_i32 s58, s58, 1
	s_cmpk_lg_i32 s58, 0x2710
	s_cselect_b64 s[30:31], -1, 0
	s_and_b64 vcc, exec, s[30:31]
	s_cbranch_vccz .LBB10_229
; %bb.228:                              ;   in Loop: Header=BB10_227 Depth=3
	s_mov_b64 vcc, -1
	s_or_b64 s[94:95], s[94:95], exec
	s_and_saveexec_b64 s[34:35], s[30:31]
	s_cbranch_execz .LBB10_226
	s_branch .LBB10_230
.LBB10_229:                             ;   in Loop: Header=BB10_227 Depth=3
	s_trap 2
	ds_read_b64 v[0:1], v0
	s_andn2_b64 s[30:31], s[30:31], exec
	s_mov_b32 s58, 0
	s_waitcnt lgkmcnt(0)
	flat_load_dword v0, v[0:1] glc
	s_waitcnt vmcnt(0) lgkmcnt(0)
	buffer_wbinvl1_vol
	v_cmp_eq_u32_e32 vcc, 0, v0
	s_and_b64 vcc, vcc, exec
	s_or_b64 s[30:31], s[30:31], vcc
	s_mov_b64 vcc, -1
	s_or_b64 s[94:95], s[94:95], exec
	s_and_saveexec_b64 s[34:35], s[30:31]
	s_cbranch_execz .LBB10_226
.LBB10_230:                             ;   in Loop: Header=BB10_227 Depth=3
	s_sleep 1
	s_trap 2
	ds_read_b64 v[0:1], v0
	s_waitcnt lgkmcnt(0)
	s_andn2_b64 s[94:95], s[94:95], exec
	v_cmp_ge_u64_e32 vcc, v[0:1], v[46:47]
	s_orn2_b64 vcc, vcc, exec
	s_branch .LBB10_226
.LBB10_231:                             ;   in Loop: Header=BB10_197 Depth=2
	s_or_b64 exec, exec, s[90:91]
	s_and_saveexec_b64 s[90:91], s[92:93]
	s_xor_b64 s[90:91], exec, s[90:91]
	s_cbranch_execz .LBB10_233
; %bb.232:                              ;   in Loop: Header=BB10_197 Depth=2
	v_mov_b32_e32 v0, 1
	ds_write_b32 v0, v0
	s_trap 2
.LBB10_233:                             ;   in Loop: Header=BB10_197 Depth=2
	s_or_b64 exec, exec, s[88:89]
	;;#ASMSTART
	s_wakeup
	;;#ASMEND
.LBB10_234:                             ;   in Loop: Header=BB10_197 Depth=2
	s_or_b64 exec, exec, s[44:45]
.LBB10_235:                             ;   in Loop: Header=BB10_197 Depth=2
	s_andn2_saveexec_b64 s[42:43], s[42:43]
	s_cbranch_execz .LBB10_237
; %bb.236:                              ;   in Loop: Header=BB10_197 Depth=2
	s_waitcnt vmcnt(0) lgkmcnt(0)
	buffer_wbinvl1_vol
	s_barrier
.LBB10_237:                             ;   in Loop: Header=BB10_197 Depth=2
	s_or_b64 exec, exec, s[42:43]
.LBB10_238:                             ;   in Loop: Header=BB10_197 Depth=2
	s_or_b64 exec, exec, s[26:27]
                                        ; implicit-def: $vgpr0
	s_and_saveexec_b64 s[26:27], s[24:25]
	s_xor_b64 s[26:27], exec, s[26:27]
	s_cbranch_execz .LBB10_243
; %bb.239:                              ;   in Loop: Header=BB10_197 Depth=2
	s_trap 2
	ds_read_b32 v0, v0
	v_cmp_lt_i32_e32 vcc, 0, v4
	v_and_b32_e32 v1, 16, v62
	s_waitcnt lgkmcnt(0)
	v_readfirstlane_b32 s42, v0
	s_cmp_eq_u32 s42, 0
	s_cselect_b64 s[42:43], -1, 0
	s_and_b64 s[42:43], vcc, s[42:43]
	v_cmp_ne_u32_e32 vcc, 0, v1
	v_and_b32_e32 v0, 16, v62
	s_and_b64 s[44:45], vcc, s[42:43]
	s_and_saveexec_b64 s[42:43], s[44:45]
	s_cbranch_execz .LBB10_241
; %bb.240:                              ;   in Loop: Header=BB10_197 Depth=2
	v_mov_b32_e32 v0, 1
	s_waitcnt vmcnt(0)
	buffer_wbinvl1_vol
.LBB10_241:                             ;   in Loop: Header=BB10_197 Depth=2
	s_or_b64 exec, exec, s[42:43]
	s_andn2_saveexec_b64 s[26:27], s[26:27]
	s_cbranch_execnz .LBB10_244
.LBB10_242:                             ;   in Loop: Header=BB10_197 Depth=2
	s_or_b64 exec, exec, s[26:27]
	v_cmp_ne_u32_e32 vcc, 0, v0
	s_and_saveexec_b64 s[26:27], vcc
	s_cbranch_execz .LBB10_196
	s_branch .LBB10_262
.LBB10_243:                             ;   in Loop: Header=BB10_197 Depth=2
	s_andn2_saveexec_b64 s[26:27], s[26:27]
	s_cbranch_execz .LBB10_242
.LBB10_244:                             ;   in Loop: Header=BB10_197 Depth=2
	s_and_saveexec_b64 s[42:43], s[60:61]
	s_xor_b64 s[42:43], exec, s[42:43]
	s_cbranch_execz .LBB10_259
; %bb.245:                              ;   in Loop: Header=BB10_197 Depth=2
	s_and_saveexec_b64 s[44:45], s[16:17]
	s_cbranch_execz .LBB10_258
; %bb.246:                              ;   in Loop: Header=BB10_197 Depth=2
	s_mov_b64 s[90:91], exec
	v_mbcnt_lo_u32_b32 v0, s90, 0
	v_mbcnt_hi_u32_b32 v0, s91, v0
	v_cmp_eq_u32_e32 vcc, 0, v0
	;;#ASMSTART
	s_waitcnt lgkmcnt(0) vmcnt(0)
	;;#ASMEND
	s_and_saveexec_b64 s[88:89], vcc
	s_cbranch_execz .LBB10_248
; %bb.247:                              ;   in Loop: Header=BB10_197 Depth=2
	s_bcnt1_i32_b64 s58, s[90:91]
	v_mov_b32_e32 v0, s58
	v_mov_b32_e32 v1, v2
	s_waitcnt lgkmcnt(0)
	ds_add_u64 v0, v[0:1]
	s_trap 2
.LBB10_248:                             ;   in Loop: Header=BB10_197 Depth=2
	s_or_b64 exec, exec, s[88:89]
	s_trap 2
	ds_read_b64 v[0:1], v0
	s_waitcnt lgkmcnt(0)
	v_add_co_u32_e32 v46, vcc, v46, v44
	v_addc_co_u32_e32 v47, vcc, 0, v47, vcc
	v_cmp_lt_u64_e32 vcc, v[0:1], v[46:47]
	s_and_saveexec_b64 s[88:89], vcc
	s_cbranch_execz .LBB10_257
; %bb.249:                              ;   in Loop: Header=BB10_197 Depth=2
	s_mov_b32 s58, 0
	s_mov_b64 s[90:91], 0
                                        ; implicit-def: $sgpr92_sgpr93
                                        ; implicit-def: $sgpr94_sgpr95
	s_branch .LBB10_251
.LBB10_250:                             ;   in Loop: Header=BB10_251 Depth=3
	s_or_b64 exec, exec, s[34:35]
	s_and_b64 vcc, exec, vcc
	s_or_b64 s[90:91], vcc, s[90:91]
	s_andn2_b64 s[92:93], s[92:93], exec
	s_and_b64 vcc, s[94:95], exec
	s_or_b64 s[92:93], s[92:93], vcc
	s_andn2_b64 exec, exec, s[90:91]
	s_cbranch_execz .LBB10_255
.LBB10_251:                             ;   Parent Loop BB10_47 Depth=1
                                        ;     Parent Loop BB10_197 Depth=2
                                        ; =>    This Inner Loop Header: Depth=3
	s_add_i32 s58, s58, 1
	s_cmpk_lg_i32 s58, 0x2710
	s_cselect_b64 s[30:31], -1, 0
	s_and_b64 vcc, exec, s[30:31]
	s_cbranch_vccz .LBB10_253
; %bb.252:                              ;   in Loop: Header=BB10_251 Depth=3
	s_mov_b64 vcc, -1
	s_or_b64 s[94:95], s[94:95], exec
	s_and_saveexec_b64 s[34:35], s[30:31]
	s_cbranch_execz .LBB10_250
	s_branch .LBB10_254
.LBB10_253:                             ;   in Loop: Header=BB10_251 Depth=3
	s_trap 2
	ds_read_b64 v[0:1], v0
	s_andn2_b64 s[30:31], s[30:31], exec
	s_mov_b32 s58, 0
	s_waitcnt vmcnt(0) lgkmcnt(0)
	flat_load_dword v0, v[0:1] glc
	s_waitcnt vmcnt(0) lgkmcnt(0)
	buffer_wbinvl1_vol
	v_cmp_eq_u32_e32 vcc, 0, v0
	s_and_b64 vcc, vcc, exec
	s_or_b64 s[30:31], s[30:31], vcc
	s_mov_b64 vcc, -1
	s_or_b64 s[94:95], s[94:95], exec
	s_and_saveexec_b64 s[34:35], s[30:31]
	s_cbranch_execz .LBB10_250
.LBB10_254:                             ;   in Loop: Header=BB10_251 Depth=3
	s_sleep 1
	s_trap 2
	ds_read_b64 v[0:1], v0
	s_waitcnt lgkmcnt(0)
	s_andn2_b64 s[94:95], s[94:95], exec
	v_cmp_ge_u64_e32 vcc, v[0:1], v[46:47]
	s_orn2_b64 vcc, vcc, exec
	s_branch .LBB10_250
.LBB10_255:                             ;   in Loop: Header=BB10_197 Depth=2
	s_or_b64 exec, exec, s[90:91]
	s_and_saveexec_b64 s[90:91], s[92:93]
	s_xor_b64 s[90:91], exec, s[90:91]
	s_cbranch_execz .LBB10_257
; %bb.256:                              ;   in Loop: Header=BB10_197 Depth=2
	v_mov_b32_e32 v0, 1
	ds_write_b32 v0, v0
	s_trap 2
.LBB10_257:                             ;   in Loop: Header=BB10_197 Depth=2
	s_or_b64 exec, exec, s[88:89]
	;;#ASMSTART
	s_wakeup
	;;#ASMEND
.LBB10_258:                             ;   in Loop: Header=BB10_197 Depth=2
	s_or_b64 exec, exec, s[44:45]
.LBB10_259:                             ;   in Loop: Header=BB10_197 Depth=2
	s_andn2_saveexec_b64 s[42:43], s[42:43]
	s_cbranch_execz .LBB10_261
; %bb.260:                              ;   in Loop: Header=BB10_197 Depth=2
	;;#ASMSTART
	s_waitcnt lgkmcnt(0) vmcnt(0)
	;;#ASMEND
	s_waitcnt vmcnt(0) lgkmcnt(0)
	s_barrier
.LBB10_261:                             ;   in Loop: Header=BB10_197 Depth=2
	s_or_b64 exec, exec, s[42:43]
	v_and_b32_e32 v0, 16, v62
	s_or_b64 exec, exec, s[26:27]
	v_cmp_ne_u32_e32 vcc, 0, v0
	s_and_saveexec_b64 s[26:27], vcc
	s_cbranch_execz .LBB10_196
.LBB10_262:                             ;   in Loop: Header=BB10_197 Depth=2
	s_and_saveexec_b64 s[42:43], s[14:15]
	s_cbranch_execz .LBB10_195
; %bb.263:                              ;   in Loop: Header=BB10_197 Depth=2
	buffer_load_dword v0, off, s[0:3], s33 offset:92 ; 4-byte Folded Reload
	buffer_load_dword v1, off, s[0:3], s33 offset:96 ; 4-byte Folded Reload
	v_mov_b32_e32 v3, 1
	s_waitcnt vmcnt(0)
	flat_store_dword v[0:1], v3
	s_branch .LBB10_195
.LBB10_264:                             ;   in Loop: Header=BB10_47 Depth=1
	s_or_b64 exec, exec, s[40:41]
.LBB10_265:                             ;   in Loop: Header=BB10_47 Depth=1
	s_or_b64 exec, exec, s[28:29]
	v_cndmask_b32_e64 v0, 0, 1, s[72:73]
	v_cmp_ne_u32_e64 s[26:27], 1, v0
	s_andn2_b64 vcc, exec, s[72:73]
	s_cbranch_vccnz .LBB10_717
; %bb.266:                              ;   in Loop: Header=BB10_47 Depth=1
	s_mov_b32 s79, 2
	s_branch .LBB10_269
.LBB10_267:                             ;   in Loop: Header=BB10_269 Depth=2
	s_or_b64 exec, exec, s[42:43]
.LBB10_268:                             ;   in Loop: Header=BB10_269 Depth=2
	s_or_b64 exec, exec, s[40:41]
	s_add_i32 s79, s79, 1
	s_cmp_eq_u32 s79, s54
	s_cbranch_scc1 .LBB10_717
.LBB10_269:                             ;   Parent Loop BB10_47 Depth=1
                                        ; =>  This Loop Header: Depth=2
                                        ;       Child Loop BB10_272 Depth 3
                                        ;         Child Loop BB10_280 Depth 4
                                        ;         Child Loop BB10_308 Depth 4
	;; [unrolled: 1-line block ×9, first 2 shown]
                                        ;       Child Loop BB10_645 Depth 3
                                        ;         Child Loop BB10_651 Depth 4
                                        ;         Child Loop BB10_679 Depth 4
	;; [unrolled: 1-line block ×3, first 2 shown]
	buffer_load_dword v5, off, s[0:3], s33 offset:200 ; 4-byte Folded Reload
	buffer_load_dword v6, off, s[0:3], s33 offset:204 ; 4-byte Folded Reload
	s_sub_i32 s28, s81, s79
	s_cmp_ge_i32 s28, s54
	s_cselect_b32 s29, s54, 0
	s_sub_i32 s28, s28, s29
	s_ashr_i32 s40, s28, 31
	v_mov_b32_e32 v30, 0
	s_waitcnt vmcnt(0)
	v_mul_lo_u32 v4, v5, s40
	v_mul_lo_u32 v3, v6, s28
	v_mad_u64_u32 v[0:1], s[28:29], v5, s28, 0
	v_add3_u32 v1, v1, v4, v3
	buffer_load_dword v3, off, s[0:3], s33 offset:192 ; 4-byte Folded Reload
	buffer_load_dword v4, off, s[0:3], s33 offset:196 ; 4-byte Folded Reload
	s_waitcnt vmcnt(0)
	v_sub_co_u32_e32 v3, vcc, v3, v0
	v_subb_co_u32_e32 v4, vcc, v4, v1, vcc
	v_cmp_lt_i64_e32 vcc, v[5:6], v[3:4]
	v_cndmask_b32_e32 v3, v3, v5, vcc
	v_max_i32_e32 v58, 0, v3
	v_add_u32_e32 v4, 31, v58
	v_lshrrev_b32_e32 v4, 1, v4
	v_and_b32_e32 v4, 0x3ffffff0, v4
	v_cmp_lt_i32_e32 vcc, 0, v3
	v_max_i32_e32 v4, s84, v4
	s_and_b64 s[28:29], s[76:77], vcc
	v_mov_b32_e32 v3, 0
	s_and_saveexec_b64 s[42:43], s[28:29]
	s_cbranch_execz .LBB10_642
; %bb.270:                              ;   in Loop: Header=BB10_269 Depth=2
	v_lshlrev_b64 v[0:1], 1, v[0:1]
	s_mov_b32 s96, 1
	s_mov_b64 s[88:89], -1
	v_mov_b32_e32 v30, 0
	s_mov_b64 s[44:45], 0
	buffer_store_dword v0, off, s[0:3], s33 offset:144 ; 4-byte Folded Spill
	s_nop 0
	buffer_store_dword v1, off, s[0:3], s33 offset:148 ; 4-byte Folded Spill
	s_branch .LBB10_272
.LBB10_271:                             ;   in Loop: Header=BB10_272 Depth=3
	s_or_b64 exec, exec, s[28:29]
	v_add_u32_e32 v30, v4, v30
	v_cmp_ge_i32_e32 vcc, v30, v58
	s_xor_b64 s[28:29], s[88:89], -1
	s_or_b64 s[28:29], s[28:29], vcc
	s_and_b64 s[28:29], exec, s[28:29]
	s_or_b64 s[44:45], s[28:29], s[44:45]
	s_mov_b64 s[88:89], 0
	v_mov_b32_e32 v3, s96
	s_mov_b32 s96, 2
	s_andn2_b64 exec, exec, s[44:45]
	s_cbranch_execz .LBB10_641
.LBB10_272:                             ;   Parent Loop BB10_47 Depth=1
                                        ;     Parent Loop BB10_269 Depth=2
                                        ; =>    This Loop Header: Depth=3
                                        ;         Child Loop BB10_280 Depth 4
                                        ;         Child Loop BB10_308 Depth 4
	;; [unrolled: 1-line block ×9, first 2 shown]
	s_and_saveexec_b64 s[28:29], s[4:5]
	s_cbranch_execz .LBB10_274
; %bb.273:                              ;   in Loop: Header=BB10_272 Depth=3
	s_trap 2
	ds_read_b64 v[0:1], v0
	buffer_load_dword v5, off, s[0:3], s33 offset:136 ; 4-byte Folded Reload
	buffer_load_dword v6, off, s[0:3], s33 offset:140 ; 4-byte Folded Reload
	v_ashrrev_i32_e32 v31, 31, v30
	s_waitcnt vmcnt(0)
	v_lshlrev_b64 v[7:8], 1, v[5:6]
	buffer_load_dword v5, off, s[0:3], s33 offset:144 ; 4-byte Folded Reload
	buffer_load_dword v6, off, s[0:3], s33 offset:148 ; 4-byte Folded Reload
	s_waitcnt lgkmcnt(0)
	v_add_co_u32_e32 v0, vcc, v0, v7
	v_addc_co_u32_e32 v1, vcc, v1, v8, vcc
	s_waitcnt vmcnt(1)
	v_add_co_u32_e32 v3, vcc, v0, v5
	s_waitcnt vmcnt(0)
	v_addc_co_u32_e32 v5, vcc, v1, v6, vcc
	v_lshlrev_b64 v[0:1], 1, v[30:31]
	v_add_co_u32_e32 v0, vcc, v3, v0
	v_addc_co_u32_e32 v1, vcc, v5, v1, vcc
	v_mov_b32_e32 v3, v2
	ds_write_b64 v0, v[0:1]
	ds_write_b64 v0, v[2:3]
.LBB10_274:                             ;   in Loop: Header=BB10_272 Depth=3
	s_or_b64 exec, exec, s[28:29]
	v_sub_u32_e32 v0, v58, v30
	v_min_i32_e32 v4, v4, v0
	v_and_b32_e32 v0, 12, v62
	v_cmp_ne_u32_e32 vcc, 0, v0
	s_and_saveexec_b64 s[40:41], vcc
	s_cbranch_execz .LBB10_300
; %bb.275:                              ;   in Loop: Header=BB10_272 Depth=3
	buffer_load_dword v0, off, s[0:3], s33 offset:60 ; 4-byte Folded Reload
	buffer_load_dword v1, off, s[0:3], s33 offset:64 ; 4-byte Folded Reload
	v_and_b32_e32 v3, 8, v62
	s_waitcnt lgkmcnt(0)
	v_add_co_u32_e32 v7, vcc, v56, v3
	v_addc_co_u32_e32 v8, vcc, 0, v57, vcc
	s_waitcnt vmcnt(0)
	v_add_co_u32_e32 v0, vcc, 2, v0
	s_waitcnt vmcnt(0)
	v_addc_co_u32_e32 v1, vcc, 0, v1, vcc
	v_cmp_lt_u64_e32 vcc, v[7:8], v[0:1]
	s_and_saveexec_b64 s[90:91], vcc
	s_cbranch_execz .LBB10_287
; %bb.276:                              ;   in Loop: Header=BB10_272 Depth=3
	v_and_b32_e32 v5, 64, v62
	s_mov_b32 s58, 0
	v_cmp_eq_u32_e32 vcc, 0, v5
	s_mov_b64 s[92:93], 0
                                        ; implicit-def: $sgpr94_sgpr95
                                        ; implicit-def: $sgpr30_sgpr31
                                        ; implicit-def: $sgpr34_sgpr35
	s_branch .LBB10_280
.LBB10_277:                             ;   in Loop: Header=BB10_280 Depth=4
	s_waitcnt vmcnt(0) lgkmcnt(0)
	v_add_co_u32_e64 v7, s[28:29], v56, v3
	v_addc_co_u32_e64 v8, s[28:29], 0, v57, s[28:29]
	v_cmp_ge_u64_e64 s[28:29], v[7:8], v[0:1]
	s_or_b64 s[48:49], s[48:49], exec
	s_orn2_b64 s[38:39], s[28:29], exec
.LBB10_278:                             ;   in Loop: Header=BB10_280 Depth=4
	s_or_b64 exec, exec, s[52:53]
	s_andn2_b64 s[28:29], s[34:35], exec
	s_and_b64 s[34:35], s[48:49], exec
	s_or_b64 s[34:35], s[28:29], s[34:35]
	s_andn2_b64 s[28:29], s[30:31], exec
	s_and_b64 s[30:31], s[38:39], exec
	s_or_b64 s[30:31], s[28:29], s[30:31]
.LBB10_279:                             ;   in Loop: Header=BB10_280 Depth=4
	s_or_b64 exec, exec, s[36:37]
	s_and_b64 s[28:29], exec, s[30:31]
	s_or_b64 s[92:93], s[28:29], s[92:93]
	s_andn2_b64 s[28:29], s[94:95], exec
	s_and_b64 s[94:95], s[34:35], exec
	s_or_b64 s[94:95], s[28:29], s[94:95]
	s_andn2_b64 exec, exec, s[92:93]
	s_cbranch_execz .LBB10_284
.LBB10_280:                             ;   Parent Loop BB10_47 Depth=1
                                        ;     Parent Loop BB10_269 Depth=2
                                        ;       Parent Loop BB10_272 Depth=3
                                        ; =>      This Inner Loop Header: Depth=4
	s_sleep 1
	s_waitcnt vmcnt(0) lgkmcnt(0)
	flat_load_dwordx2 v[56:57], v[40:41] glc
	s_or_b64 s[34:35], s[34:35], exec
	s_or_b64 s[30:31], s[30:31], exec
                                        ; implicit-def: $vgpr5
	s_and_saveexec_b64 s[36:37], vcc
	s_cbranch_execz .LBB10_279
; %bb.281:                              ;   in Loop: Header=BB10_280 Depth=4
	s_cmpk_lt_i32 s58, 0x270f
	s_cselect_b64 s[50:51], -1, 0
	s_cmpk_gt_i32 s58, 0x270e
	s_mov_b64 s[38:39], -1
	s_cbranch_scc0 .LBB10_283
; %bb.282:                              ;   in Loop: Header=BB10_280 Depth=4
	s_trap 2
	ds_read_b64 v[7:8], v0
	s_andn2_b64 s[50:51], s[50:51], exec
	s_mov_b32 s58, 0
	s_mov_b64 s[48:49], 0
	s_waitcnt vmcnt(0) lgkmcnt(0)
	flat_load_dword v5, v[7:8] glc
	s_waitcnt vmcnt(0) lgkmcnt(0)
	buffer_wbinvl1_vol
	v_cmp_eq_u32_e64 s[28:29], 0, v5
	s_and_b64 s[28:29], s[28:29], exec
	s_or_b64 s[50:51], s[50:51], s[28:29]
	s_and_saveexec_b64 s[52:53], s[50:51]
	s_cbranch_execz .LBB10_278
	s_branch .LBB10_277
.LBB10_283:                             ;   in Loop: Header=BB10_280 Depth=4
	s_add_i32 s58, s58, 1
	s_mov_b64 s[48:49], -1
                                        ; implicit-def: $vgpr5
	s_and_saveexec_b64 s[52:53], s[50:51]
	s_cbranch_execz .LBB10_278
	s_branch .LBB10_277
.LBB10_284:                             ;   in Loop: Header=BB10_272 Depth=3
	s_or_b64 exec, exec, s[92:93]
	s_xor_b64 s[28:29], s[94:95], -1
	s_and_saveexec_b64 s[92:93], s[28:29]
	s_xor_b64 s[28:29], exec, s[92:93]
	s_cbranch_execz .LBB10_286
; %bb.285:                              ;   in Loop: Header=BB10_272 Depth=3
	v_or_b32_e32 v62, 64, v62
	s_waitcnt lgkmcnt(0)
	ds_write_b32 v0, v5
	s_trap 2
.LBB10_286:                             ;   in Loop: Header=BB10_272 Depth=3
	s_or_b64 exec, exec, s[28:29]
.LBB10_287:                             ;   in Loop: Header=BB10_272 Depth=3
	s_or_b64 exec, exec, s[90:91]
	v_and_b32_e32 v5, 0x108, v62
	v_cmp_ne_u32_e32 vcc, s67, v5
	;;#ASMSTART
	s_wakeup
	;;#ASMEND
                                        ; implicit-def: $vgpr8_vgpr9
	s_and_saveexec_b64 s[28:29], vcc
	s_xor_b64 s[28:29], exec, s[28:29]
	s_cbranch_execz .LBB10_289
; %bb.288:                              ;   in Loop: Header=BB10_272 Depth=3
	buffer_load_dword v5, off, s[0:3], s33 offset:60 ; 4-byte Folded Reload
	buffer_load_dword v6, off, s[0:3], s33 offset:64 ; 4-byte Folded Reload
	v_mov_b32_e32 v9, v2
	s_waitcnt vmcnt(0)
	v_and_b32_e32 v8, 7, v5
                                        ; implicit-def: $vgpr5_vgpr6
                                        ; kill: killed $vgpr5_vgpr6
.LBB10_289:                             ;   in Loop: Header=BB10_272 Depth=3
	s_andn2_saveexec_b64 s[28:29], s[28:29]
	s_cbranch_execz .LBB10_291
; %bb.290:                              ;   in Loop: Header=BB10_272 Depth=3
	buffer_load_dword v5, off, s[0:3], s33 offset:60 ; 4-byte Folded Reload
	buffer_load_dword v6, off, s[0:3], s33 offset:64 ; 4-byte Folded Reload
	v_mov_b32_e32 v9, v2
	s_waitcnt vmcnt(0)
	v_and_b32_e32 v8, 7, v5
	v_mad_u64_u32 v[10:11], s[90:91], v8, 24, v[42:43]
	v_ashrrev_i32_e32 v5, 31, v4
	v_lshlrev_b64 v[12:13], 1, v[4:5]
	flat_store_dwordx2 v[10:11], v[12:13] offset:8
.LBB10_291:                             ;   in Loop: Header=BB10_272 Depth=3
	s_or_b64 exec, exec, s[28:29]
	v_and_b32_e32 v5, 0x100, v62
	v_cmp_ne_u32_e32 vcc, 0, v5
	s_mov_b64 s[28:29], -1
                                        ; implicit-def: $vgpr10_vgpr11
	s_and_saveexec_b64 s[90:91], vcc
	s_cbranch_execz .LBB10_295
; %bb.292:                              ;   in Loop: Header=BB10_272 Depth=3
	v_mad_u64_u32 v[12:13], s[28:29], v8, 24, v[42:43]
	v_mov_b32_e32 v5, v13
	v_mad_u64_u32 v[10:11], s[28:29], v9, 24, v[5:6]
	v_mov_b32_e32 v13, v10
	flat_load_dword v5, v[12:13]
                                        ; implicit-def: $vgpr10_vgpr11
	s_waitcnt vmcnt(0) lgkmcnt(0)
	v_cmp_ne_u32_e32 vcc, 1, v5
	v_cmp_eq_u32_e64 s[28:29], 1, v5
	s_and_saveexec_b64 s[92:93], s[28:29]
	s_cbranch_execz .LBB10_294
; %bb.293:                              ;   in Loop: Header=BB10_272 Depth=3
	flat_load_dword v10, v[12:13] offset:4 glc
	s_waitcnt vmcnt(0) lgkmcnt(0)
	v_ashrrev_i32_e32 v11, 31, v10
	v_lshrrev_b64 v[10:11], 1, v[10:11]
.LBB10_294:                             ;   in Loop: Header=BB10_272 Depth=3
	s_or_b64 exec, exec, s[92:93]
	s_orn2_b64 s[28:29], vcc, exec
.LBB10_295:                             ;   in Loop: Header=BB10_272 Depth=3
	s_or_b64 exec, exec, s[90:91]
	s_and_saveexec_b64 s[90:91], s[28:29]
	s_cbranch_execz .LBB10_297
; %bb.296:                              ;   in Loop: Header=BB10_272 Depth=3
	buffer_load_dword v7, off, s[0:3], s33 offset:160 ; 4-byte Folded Reload
	v_mul_lo_u32 v6, v8, v59
	s_waitcnt vmcnt(0)
	v_mul_lo_u32 v5, v9, v7
	v_mad_u64_u32 v[10:11], s[28:29], v8, v7, 0
	v_add3_u32 v11, v11, v6, v5
.LBB10_297:                             ;   in Loop: Header=BB10_272 Depth=3
	s_or_b64 exec, exec, s[90:91]
	v_cmp_eq_u32_e32 vcc, 0, v3
	v_mov_b32_e32 v3, 0xc8
	v_mov_b32_e32 v5, 0x90
	v_cndmask_b32_e32 v3, v3, v5, vcc
	buffer_load_dword v5, off, s[0:3], s33 offset:84 ; 4-byte Folded Reload
	buffer_load_dword v6, off, s[0:3], s33 offset:88 ; 4-byte Folded Reload
	v_lshlrev_b64 v[7:8], 1, v[10:11]
	v_add_u32_e32 v3, v0, v3
	s_waitcnt vmcnt(0)
	v_add_co_u32_e32 v7, vcc, v5, v7
	v_addc_co_u32_e32 v8, vcc, v6, v8, vcc
	ds_write_b64 v3, v[7:8] offset:584
	v_and_b32_e32 v3, 0x2000, v62
	v_cmp_ne_u32_e32 vcc, 0, v3
	s_and_saveexec_b64 s[28:29], vcc
	s_cbranch_execz .LBB10_299
; %bb.298:                              ;   in Loop: Header=BB10_272 Depth=3
	ds_read_b64 v[7:8], v0 offset:872
	s_waitcnt lgkmcnt(0)
	v_add_co_u32_e32 v7, vcc, 1, v7
	v_addc_co_u32_e32 v8, vcc, 0, v8, vcc
	ds_write_b64 v0, v[7:8] offset:872
.LBB10_299:                             ;   in Loop: Header=BB10_272 Depth=3
	s_or_b64 exec, exec, s[28:29]
	buffer_store_dword v0, off, s[0:3], s33 offset:60 ; 4-byte Folded Spill
	s_nop 0
	buffer_store_dword v1, off, s[0:3], s33 offset:64 ; 4-byte Folded Spill
.LBB10_300:                             ;   in Loop: Header=BB10_272 Depth=3
	s_or_b64 exec, exec, s[40:41]
	s_and_saveexec_b64 s[28:29], s[10:11]
	s_cbranch_execz .LBB10_319
; %bb.301:                              ;   in Loop: Header=BB10_272 Depth=3
	s_and_saveexec_b64 s[40:41], s[60:61]
	s_xor_b64 s[40:41], exec, s[40:41]
	s_cbranch_execz .LBB10_316
; %bb.302:                              ;   in Loop: Header=BB10_272 Depth=3
	s_and_saveexec_b64 s[90:91], s[16:17]
	s_cbranch_execz .LBB10_315
; %bb.303:                              ;   in Loop: Header=BB10_272 Depth=3
	s_mov_b64 s[94:95], exec
	v_mbcnt_lo_u32_b32 v0, s94, 0
	v_mbcnt_hi_u32_b32 v0, s95, v0
	v_cmp_eq_u32_e32 vcc, 0, v0
	s_waitcnt vmcnt(0) lgkmcnt(0)
	buffer_wbinvl1_vol
	s_and_saveexec_b64 s[92:93], vcc
	s_cbranch_execz .LBB10_305
; %bb.304:                              ;   in Loop: Header=BB10_272 Depth=3
	s_bcnt1_i32_b64 s58, s[94:95]
	v_mov_b32_e32 v0, s58
	v_mov_b32_e32 v1, v2
	ds_add_u64 v0, v[0:1]
	s_trap 2
.LBB10_305:                             ;   in Loop: Header=BB10_272 Depth=3
	s_or_b64 exec, exec, s[92:93]
	s_trap 2
	ds_read_b64 v[0:1], v0
	s_waitcnt lgkmcnt(0)
	buffer_load_dword v3, off, s[0:3], s33 offset:68 ; 4-byte Folded Reload
	s_waitcnt vmcnt(0)
	v_add_co_u32_e32 v46, vcc, v46, v3
	v_addc_co_u32_e32 v47, vcc, 0, v47, vcc
	v_cmp_lt_u64_e32 vcc, v[0:1], v[46:47]
	s_and_saveexec_b64 s[92:93], vcc
	s_cbranch_execz .LBB10_314
; %bb.306:                              ;   in Loop: Header=BB10_272 Depth=3
	s_mov_b32 s58, 0
	s_mov_b64 s[94:95], 0
                                        ; implicit-def: $sgpr30_sgpr31
                                        ; implicit-def: $sgpr34_sgpr35
	s_branch .LBB10_308
.LBB10_307:                             ;   in Loop: Header=BB10_308 Depth=4
	s_or_b64 exec, exec, s[38:39]
	s_and_b64 vcc, exec, vcc
	s_or_b64 s[94:95], vcc, s[94:95]
	s_andn2_b64 vcc, s[30:31], exec
	s_and_b64 s[30:31], s[34:35], exec
	s_or_b64 s[30:31], vcc, s[30:31]
	s_andn2_b64 exec, exec, s[94:95]
	s_cbranch_execz .LBB10_312
.LBB10_308:                             ;   Parent Loop BB10_47 Depth=1
                                        ;     Parent Loop BB10_269 Depth=2
                                        ;       Parent Loop BB10_272 Depth=3
                                        ; =>      This Inner Loop Header: Depth=4
	s_add_i32 s58, s58, 1
	s_cmpk_lg_i32 s58, 0x2710
	s_cselect_b64 s[36:37], -1, 0
	s_and_b64 vcc, exec, s[36:37]
	s_cbranch_vccz .LBB10_310
; %bb.309:                              ;   in Loop: Header=BB10_308 Depth=4
	s_mov_b64 vcc, -1
	s_or_b64 s[34:35], s[34:35], exec
	s_and_saveexec_b64 s[38:39], s[36:37]
	s_cbranch_execz .LBB10_307
	s_branch .LBB10_311
.LBB10_310:                             ;   in Loop: Header=BB10_308 Depth=4
	s_trap 2
	ds_read_b64 v[0:1], v0
	s_andn2_b64 s[36:37], s[36:37], exec
	s_mov_b32 s58, 0
	s_waitcnt lgkmcnt(0)
	flat_load_dword v0, v[0:1] glc
	s_waitcnt vmcnt(0) lgkmcnt(0)
	buffer_wbinvl1_vol
	v_cmp_eq_u32_e32 vcc, 0, v0
	s_and_b64 vcc, vcc, exec
	s_or_b64 s[36:37], s[36:37], vcc
	s_mov_b64 vcc, -1
	s_or_b64 s[34:35], s[34:35], exec
	s_and_saveexec_b64 s[38:39], s[36:37]
	s_cbranch_execz .LBB10_307
.LBB10_311:                             ;   in Loop: Header=BB10_308 Depth=4
	s_sleep 1
	s_trap 2
	ds_read_b64 v[0:1], v0
	s_waitcnt lgkmcnt(0)
	s_andn2_b64 s[34:35], s[34:35], exec
	v_cmp_ge_u64_e32 vcc, v[0:1], v[46:47]
	s_orn2_b64 vcc, vcc, exec
	s_branch .LBB10_307
.LBB10_312:                             ;   in Loop: Header=BB10_272 Depth=3
	s_or_b64 exec, exec, s[94:95]
	s_and_saveexec_b64 s[94:95], s[30:31]
	s_xor_b64 s[94:95], exec, s[94:95]
	s_cbranch_execz .LBB10_314
; %bb.313:                              ;   in Loop: Header=BB10_272 Depth=3
	v_mov_b32_e32 v0, 1
	ds_write_b32 v0, v0
	s_trap 2
.LBB10_314:                             ;   in Loop: Header=BB10_272 Depth=3
	s_or_b64 exec, exec, s[92:93]
	;;#ASMSTART
	s_wakeup
	;;#ASMEND
.LBB10_315:                             ;   in Loop: Header=BB10_272 Depth=3
	s_or_b64 exec, exec, s[90:91]
.LBB10_316:                             ;   in Loop: Header=BB10_272 Depth=3
	s_andn2_saveexec_b64 s[40:41], s[40:41]
	s_cbranch_execz .LBB10_318
; %bb.317:                              ;   in Loop: Header=BB10_272 Depth=3
	s_waitcnt vmcnt(0) lgkmcnt(0)
	buffer_wbinvl1_vol
	s_barrier
.LBB10_318:                             ;   in Loop: Header=BB10_272 Depth=3
	s_or_b64 exec, exec, s[40:41]
.LBB10_319:                             ;   in Loop: Header=BB10_272 Depth=3
	s_or_b64 exec, exec, s[28:29]
	s_trap 2
	ds_read_b32 v0, v0
	v_and_b32_e32 v1, 0x4000, v62
	v_cmp_ne_u32_e32 vcc, 0, v1
	s_xor_b64 s[28:29], s[6:7], -1
	s_and_b64 s[40:41], s[28:29], vcc
	s_and_saveexec_b64 s[28:29], s[40:41]
	s_cbranch_execz .LBB10_338
; %bb.320:                              ;   in Loop: Header=BB10_272 Depth=3
	s_and_saveexec_b64 s[40:41], s[60:61]
	s_xor_b64 s[40:41], exec, s[40:41]
	s_cbranch_execz .LBB10_335
; %bb.321:                              ;   in Loop: Header=BB10_272 Depth=3
	s_and_saveexec_b64 s[90:91], s[16:17]
	s_cbranch_execz .LBB10_334
; %bb.322:                              ;   in Loop: Header=BB10_272 Depth=3
	s_mov_b64 s[94:95], exec
	v_mbcnt_lo_u32_b32 v1, s94, 0
	v_mbcnt_hi_u32_b32 v1, s95, v1
	v_cmp_eq_u32_e32 vcc, 0, v1
	s_waitcnt vmcnt(0) lgkmcnt(0)
	buffer_wbinvl1_vol
	s_and_saveexec_b64 s[92:93], vcc
	s_cbranch_execz .LBB10_324
; %bb.323:                              ;   in Loop: Header=BB10_272 Depth=3
	s_bcnt1_i32_b64 s58, s[94:95]
	v_mov_b32_e32 v7, s58
	v_mov_b32_e32 v8, v2
	ds_add_u64 v0, v[7:8]
	s_trap 2
.LBB10_324:                             ;   in Loop: Header=BB10_272 Depth=3
	s_or_b64 exec, exec, s[92:93]
	s_trap 2
	ds_read_b64 v[7:8], v0
	s_waitcnt lgkmcnt(0)
	buffer_load_dword v1, off, s[0:3], s33 offset:68 ; 4-byte Folded Reload
	s_waitcnt vmcnt(0)
	v_add_co_u32_e32 v46, vcc, v46, v1
	v_addc_co_u32_e32 v47, vcc, 0, v47, vcc
	v_cmp_lt_u64_e32 vcc, v[7:8], v[46:47]
	s_and_saveexec_b64 s[92:93], vcc
	s_cbranch_execz .LBB10_333
; %bb.325:                              ;   in Loop: Header=BB10_272 Depth=3
	s_mov_b32 s58, 0
	s_mov_b64 s[94:95], 0
                                        ; implicit-def: $sgpr30_sgpr31
                                        ; implicit-def: $sgpr34_sgpr35
	s_branch .LBB10_327
.LBB10_326:                             ;   in Loop: Header=BB10_327 Depth=4
	s_or_b64 exec, exec, s[38:39]
	s_and_b64 vcc, exec, vcc
	s_or_b64 s[94:95], vcc, s[94:95]
	s_andn2_b64 vcc, s[30:31], exec
	s_and_b64 s[30:31], s[34:35], exec
	s_or_b64 s[30:31], vcc, s[30:31]
	s_andn2_b64 exec, exec, s[94:95]
	s_cbranch_execz .LBB10_331
.LBB10_327:                             ;   Parent Loop BB10_47 Depth=1
                                        ;     Parent Loop BB10_269 Depth=2
                                        ;       Parent Loop BB10_272 Depth=3
                                        ; =>      This Inner Loop Header: Depth=4
	s_add_i32 s58, s58, 1
	s_cmpk_lg_i32 s58, 0x2710
	s_cselect_b64 s[36:37], -1, 0
	s_and_b64 vcc, exec, s[36:37]
	s_cbranch_vccz .LBB10_329
; %bb.328:                              ;   in Loop: Header=BB10_327 Depth=4
	s_mov_b64 vcc, -1
	s_or_b64 s[34:35], s[34:35], exec
	s_and_saveexec_b64 s[38:39], s[36:37]
	s_cbranch_execz .LBB10_326
	s_branch .LBB10_330
.LBB10_329:                             ;   in Loop: Header=BB10_327 Depth=4
	s_trap 2
	ds_read_b64 v[7:8], v0
	s_andn2_b64 s[36:37], s[36:37], exec
	s_mov_b32 s58, 0
	s_waitcnt lgkmcnt(0)
	flat_load_dword v1, v[7:8] glc
	s_waitcnt vmcnt(0) lgkmcnt(0)
	buffer_wbinvl1_vol
	v_cmp_eq_u32_e32 vcc, 0, v1
	s_and_b64 vcc, vcc, exec
	s_or_b64 s[36:37], s[36:37], vcc
	s_mov_b64 vcc, -1
	s_or_b64 s[34:35], s[34:35], exec
	s_and_saveexec_b64 s[38:39], s[36:37]
	s_cbranch_execz .LBB10_326
.LBB10_330:                             ;   in Loop: Header=BB10_327 Depth=4
	s_sleep 1
	s_trap 2
	ds_read_b64 v[7:8], v0
	s_waitcnt lgkmcnt(0)
	s_andn2_b64 s[34:35], s[34:35], exec
	v_cmp_ge_u64_e32 vcc, v[7:8], v[46:47]
	s_orn2_b64 vcc, vcc, exec
	s_branch .LBB10_326
.LBB10_331:                             ;   in Loop: Header=BB10_272 Depth=3
	s_or_b64 exec, exec, s[94:95]
	s_and_saveexec_b64 s[94:95], s[30:31]
	s_xor_b64 s[94:95], exec, s[94:95]
	s_cbranch_execz .LBB10_333
; %bb.332:                              ;   in Loop: Header=BB10_272 Depth=3
	v_mov_b32_e32 v1, 1
	ds_write_b32 v0, v1
	s_trap 2
.LBB10_333:                             ;   in Loop: Header=BB10_272 Depth=3
	s_or_b64 exec, exec, s[92:93]
	;;#ASMSTART
	s_wakeup
	;;#ASMEND
.LBB10_334:                             ;   in Loop: Header=BB10_272 Depth=3
	s_or_b64 exec, exec, s[90:91]
.LBB10_335:                             ;   in Loop: Header=BB10_272 Depth=3
	s_andn2_saveexec_b64 s[40:41], s[40:41]
	s_cbranch_execz .LBB10_337
; %bb.336:                              ;   in Loop: Header=BB10_272 Depth=3
	s_waitcnt vmcnt(0) lgkmcnt(0)
	buffer_wbinvl1_vol
	s_barrier
.LBB10_337:                             ;   in Loop: Header=BB10_272 Depth=3
	s_or_b64 exec, exec, s[40:41]
.LBB10_338:                             ;   in Loop: Header=BB10_272 Depth=3
	s_or_b64 exec, exec, s[28:29]
	s_trap 2
	s_waitcnt lgkmcnt(0)
	ds_read_b64 v[60:61], v0
	s_waitcnt lgkmcnt(0)
	v_cmp_eq_u64_e32 vcc, 0, v[60:61]
	s_cbranch_vccnz .LBB10_346
; %bb.339:                              ;   in Loop: Header=BB10_272 Depth=3
	s_trap 2
	s_waitcnt vmcnt(0)
	ds_read_b64 v[52:53], v0
	s_waitcnt lgkmcnt(0)
	v_cmp_eq_u64_e32 vcc, 0, v[52:53]
	s_cbranch_vccnz .LBB10_351
; %bb.340:                              ;   in Loop: Header=BB10_272 Depth=3
	s_trap 2
	ds_read_b64 v[7:8], v0
	s_mov_b64 s[40:41], -1
	s_waitcnt lgkmcnt(0)
	v_readfirstlane_b32 s34, v7
	s_and_saveexec_b64 s[28:29], s[22:23]
	s_cbranch_execz .LBB10_342
; %bb.341:                              ;   in Loop: Header=BB10_272 Depth=3
	ds_read_b32 v1, v0 offset:720
	s_waitcnt lgkmcnt(0)
	v_and_b32_e32 v1, 15, v1
	v_cmp_eq_u32_e32 vcc, 0, v1
	s_orn2_b64 s[40:41], vcc, exec
.LBB10_342:                             ;   in Loop: Header=BB10_272 Depth=3
	s_or_b64 exec, exec, s[28:29]
	s_and_saveexec_b64 s[28:29], s[20:21]
	s_cbranch_execz .LBB10_344
; %bb.343:                              ;   in Loop: Header=BB10_272 Depth=3
	ds_read_b32 v1, v0 offset:784
	s_waitcnt lgkmcnt(0)
	v_and_b32_e32 v1, 15, v1
	v_cmp_eq_u32_e32 vcc, 0, v1
	s_and_b64 s[90:91], s[40:41], vcc
	s_andn2_b64 s[40:41], s[40:41], exec
	s_and_b64 s[90:91], s[90:91], exec
	s_or_b64 s[40:41], s[40:41], s[90:91]
.LBB10_344:                             ;   in Loop: Header=BB10_272 Depth=3
	s_or_b64 exec, exec, s[28:29]
	v_cmp_eq_u32_e32 vcc, 0, v0
	v_cndmask_b32_e32 v0, 0, v4, vcc
	s_xor_b64 s[40:41], s[40:41], -1
	v_mov_b32_e32 v54, v0
	v_lshlrev_b32_e32 v5, 1, v0
	v_cndmask_b32_e64 v0, 0, 1, s[40:41]
	s_mov_b64 s[28:29], -1
	v_cmp_ne_u32_e32 vcc, 0, v0
	v_mov_b32_e32 v12, 0
	s_cbranch_vccz .LBB10_352
; %bb.345:                              ;   in Loop: Header=BB10_272 Depth=3
	buffer_load_dword v13, off, s[0:3], s33 offset:164 ; 4-byte Folded Reload
	s_and_saveexec_b64 s[40:41], s[28:29]
	s_cbranch_execnz .LBB10_523
	s_branch .LBB10_599
.LBB10_346:                             ;   in Loop: Header=BB10_272 Depth=3
	s_mov_b64 s[28:29], 0
	s_and_saveexec_b64 s[40:41], s[10:11]
	s_cbranch_execnz .LBB10_600
.LBB10_347:                             ;   in Loop: Header=BB10_272 Depth=3
	s_or_b64 exec, exec, s[40:41]
                                        ; implicit-def: $vgpr0
	s_and_saveexec_b64 s[40:41], s[24:25]
	s_xor_b64 s[40:41], exec, s[40:41]
	s_cbranch_execz .LBB10_618
.LBB10_348:                             ;   in Loop: Header=BB10_272 Depth=3
	v_and_b32_e32 v1, 16, v62
	v_cmp_ne_u32_e32 vcc, 0, v1
	v_and_b32_e32 v0, 16, v62
	s_and_b64 s[90:91], vcc, s[28:29]
	s_and_saveexec_b64 s[28:29], s[90:91]
	s_cbranch_execz .LBB10_350
; %bb.349:                              ;   in Loop: Header=BB10_272 Depth=3
	v_mov_b32_e32 v0, 1
	s_waitcnt vmcnt(0) lgkmcnt(0)
	buffer_wbinvl1_vol
.LBB10_350:                             ;   in Loop: Header=BB10_272 Depth=3
	s_or_b64 exec, exec, s[28:29]
	s_andn2_saveexec_b64 s[28:29], s[40:41]
	s_cbranch_execz .LBB10_637
	s_branch .LBB10_619
.LBB10_351:                             ;   in Loop: Header=BB10_272 Depth=3
	s_mov_b64 s[28:29], 0
	buffer_load_dword v53, off, s[0:3], s33 offset:80 ; 4-byte Folded Reload
	s_and_saveexec_b64 s[40:41], s[10:11]
	s_cbranch_execnz .LBB10_600
	s_branch .LBB10_347
.LBB10_352:                             ;   in Loop: Header=BB10_272 Depth=3
	v_ashrrev_i32_e32 v0, 31, v5
	v_lshrrev_b32_e32 v0, 20, v0
	v_add_u32_e32 v0, v5, v0
	v_ashrrev_i32_e32 v59, 12, v0
	buffer_load_dword v0, off, s[0:3], s33 offset:152 ; 4-byte Folded Reload
	s_waitcnt vmcnt(0)
	v_sub_u32_e32 v31, v59, v0
	v_cmp_lt_i32_e32 vcc, 0, v31
	s_and_saveexec_b64 s[40:41], vcc
	s_cbranch_execz .LBB10_484
; %bb.353:                              ;   in Loop: Header=BB10_272 Depth=3
	s_trap 2
	buffer_load_dword v3, off, s[0:3], s33 offset:184 ; 4-byte Folded Reload
	ds_read_b64 v[7:8], v0
	s_and_b32 s58, s34, 1
	s_cmp_eq_u64 s[58:59], 0
	s_mov_b64 s[90:91], 0
	s_waitcnt vmcnt(0)
	v_add_co_u32_e32 v0, vcc, v60, v3
	v_addc_co_u32_e32 v1, vcc, 0, v61, vcc
	s_waitcnt lgkmcnt(0)
	v_add_co_u32_e32 v28, vcc, v7, v3
	v_addc_co_u32_e32 v29, vcc, 0, v8, vcc
	v_add_co_u32_e32 v44, vcc, v52, v3
	v_addc_co_u32_e32 v45, vcc, 0, v53, vcc
	s_cselect_b64 vcc, -1, 0
	s_branch .LBB10_355
.LBB10_354:                             ;   in Loop: Header=BB10_355 Depth=4
	s_or_b64 exec, exec, s[92:93]
	v_lshrrev_b32_e32 v3, 16, v20
	v_and_or_b32 v17, v17, s70, v3
	v_lshrrev_b32_e32 v3, 16, v35
	v_and_or_b32 v16, v16, s70, v3
	;; [unrolled: 2-line block ×16, first 2 shown]
	global_store_dwordx4 v[44:45], v[32:35], off glc slc
	global_store_dwordx4 v[44:45], v[24:27], off offset:1024 glc slc
	global_store_dwordx4 v[44:45], v[16:19], off offset:2048 glc slc
	;; [unrolled: 1-line block ×3, first 2 shown]
	buffer_load_dword v6, off, s[0:3], s33 offset:72 ; 4-byte Folded Reload
	buffer_load_dword v3, off, s[0:3], s33 offset:68 ; 4-byte Folded Reload
	s_waitcnt vmcnt(1)
	v_add_co_u32_e64 v0, s[28:29], v0, v6
	v_addc_co_u32_e64 v1, s[28:29], 0, v1, s[28:29]
	v_add_co_u32_e64 v28, s[28:29], v28, v6
	v_addc_co_u32_e64 v29, s[28:29], 0, v29, s[28:29]
	s_waitcnt vmcnt(0)
	v_sub_u32_e32 v31, v31, v3
	v_cmp_gt_i32_e64 s[28:29], 1, v31
	s_or_b64 s[90:91], s[28:29], s[90:91]
	v_add_co_u32_e64 v44, s[28:29], v44, v6
	v_addc_co_u32_e64 v45, s[28:29], 0, v45, s[28:29]
	s_andn2_b64 exec, exec, s[90:91]
	s_cbranch_execz .LBB10_483
.LBB10_355:                             ;   Parent Loop BB10_47 Depth=1
                                        ;     Parent Loop BB10_269 Depth=2
                                        ;       Parent Loop BB10_272 Depth=3
                                        ; =>      This Inner Loop Header: Depth=4
	global_load_dwordx4 v[36:39], v[0:1], off glc slc
	global_load_dwordx4 v[48:51], v[28:29], off glc slc
	global_load_dwordx4 v[24:27], v[0:1], off offset:1024 glc slc
	global_load_dwordx4 v[16:19], v[0:1], off offset:2048 glc slc
	;; [unrolled: 1-line block ×6, first 2 shown]
                                        ; implicit-def: $vgpr43
	s_waitcnt vmcnt(7)
	v_lshlrev_b32_e32 v3, 16, v36
	s_waitcnt vmcnt(6)
	v_lshlrev_b32_e32 v6, 16, v48
	v_max_f32_e32 v6, v6, v6
	v_max_f32_e32 v3, v3, v3
	v_min_f32_e32 v7, v3, v6
	v_max_f32_e32 v3, v3, v6
	v_cndmask_b32_e32 v7, v3, v7, vcc
	v_and_b32_e32 v3, 0x7f800000, v7
	v_cmp_ne_u32_e64 s[28:29], s68, v3
	s_and_saveexec_b64 s[92:93], s[28:29]
	s_xor_b64 s[28:29], exec, s[92:93]
; %bb.356:                              ;   in Loop: Header=BB10_355 Depth=4
	v_bfe_u32 v3, v7, 16, 1
	v_add3_u32 v43, v7, v3, s69
                                        ; implicit-def: $vgpr7
; %bb.357:                              ;   in Loop: Header=BB10_355 Depth=4
	s_andn2_saveexec_b64 s[92:93], s[28:29]
; %bb.358:                              ;   in Loop: Header=BB10_355 Depth=4
	v_or_b32_e32 v3, 0x10000, v7
	v_cmp_eq_u32_sdwa s[28:29], v7, v2 src0_sel:WORD_0 src1_sel:DWORD
	v_cndmask_b32_e64 v43, v3, v7, s[28:29]
; %bb.359:                              ;   in Loop: Header=BB10_355 Depth=4
	s_or_b64 exec, exec, s[92:93]
	v_and_b32_e32 v3, 0xffff0000, v36
	v_and_b32_e32 v6, 0xffff0000, v48
	v_max_f32_e32 v6, v6, v6
	v_max_f32_e32 v3, v3, v3
	v_min_f32_e32 v7, v3, v6
	v_max_f32_e32 v3, v3, v6
	v_cndmask_b32_e32 v7, v3, v7, vcc
	v_and_b32_e32 v3, 0x7f800000, v7
	v_cmp_ne_u32_e64 s[28:29], s68, v3
                                        ; implicit-def: $vgpr36
	s_and_saveexec_b64 s[92:93], s[28:29]
	s_xor_b64 s[28:29], exec, s[92:93]
; %bb.360:                              ;   in Loop: Header=BB10_355 Depth=4
	v_bfe_u32 v3, v7, 16, 1
	v_add3_u32 v36, v7, v3, s69
                                        ; implicit-def: $vgpr7
; %bb.361:                              ;   in Loop: Header=BB10_355 Depth=4
	s_andn2_saveexec_b64 s[92:93], s[28:29]
; %bb.362:                              ;   in Loop: Header=BB10_355 Depth=4
	v_or_b32_e32 v3, 0x10000, v7
	v_cmp_eq_u32_sdwa s[28:29], v7, v2 src0_sel:WORD_0 src1_sel:DWORD
	v_cndmask_b32_e64 v36, v3, v7, s[28:29]
; %bb.363:                              ;   in Loop: Header=BB10_355 Depth=4
	s_or_b64 exec, exec, s[92:93]
	v_lshlrev_b32_e32 v3, 16, v37
	v_lshlrev_b32_e32 v6, 16, v49
	v_max_f32_e32 v6, v6, v6
	v_max_f32_e32 v3, v3, v3
	v_min_f32_e32 v7, v3, v6
	v_max_f32_e32 v3, v3, v6
	v_cndmask_b32_e32 v7, v3, v7, vcc
	v_and_b32_e32 v3, 0x7f800000, v7
	v_cmp_ne_u32_e64 s[28:29], s68, v3
                                        ; implicit-def: $vgpr48
	s_and_saveexec_b64 s[92:93], s[28:29]
	s_xor_b64 s[28:29], exec, s[92:93]
; %bb.364:                              ;   in Loop: Header=BB10_355 Depth=4
	v_bfe_u32 v3, v7, 16, 1
	v_add3_u32 v48, v7, v3, s69
                                        ; implicit-def: $vgpr7
; %bb.365:                              ;   in Loop: Header=BB10_355 Depth=4
	s_andn2_saveexec_b64 s[92:93], s[28:29]
; %bb.366:                              ;   in Loop: Header=BB10_355 Depth=4
	v_or_b32_e32 v3, 0x10000, v7
	v_cmp_eq_u32_sdwa s[28:29], v7, v2 src0_sel:WORD_0 src1_sel:DWORD
	v_cndmask_b32_e64 v48, v3, v7, s[28:29]
; %bb.367:                              ;   in Loop: Header=BB10_355 Depth=4
	s_or_b64 exec, exec, s[92:93]
	v_and_b32_e32 v3, 0xffff0000, v37
	v_and_b32_e32 v6, 0xffff0000, v49
	v_max_f32_e32 v6, v6, v6
	v_max_f32_e32 v3, v3, v3
	v_min_f32_e32 v7, v3, v6
	v_max_f32_e32 v3, v3, v6
	v_cndmask_b32_e32 v7, v3, v7, vcc
	v_and_b32_e32 v3, 0x7f800000, v7
	v_cmp_ne_u32_e64 s[28:29], s68, v3
                                        ; implicit-def: $vgpr37
	s_and_saveexec_b64 s[92:93], s[28:29]
	s_xor_b64 s[28:29], exec, s[92:93]
; %bb.368:                              ;   in Loop: Header=BB10_355 Depth=4
	v_bfe_u32 v3, v7, 16, 1
	v_add3_u32 v37, v7, v3, s69
                                        ; implicit-def: $vgpr7
; %bb.369:                              ;   in Loop: Header=BB10_355 Depth=4
	s_andn2_saveexec_b64 s[92:93], s[28:29]
; %bb.370:                              ;   in Loop: Header=BB10_355 Depth=4
	v_or_b32_e32 v3, 0x10000, v7
	v_cmp_eq_u32_sdwa s[28:29], v7, v2 src0_sel:WORD_0 src1_sel:DWORD
	v_cndmask_b32_e64 v37, v3, v7, s[28:29]
; %bb.371:                              ;   in Loop: Header=BB10_355 Depth=4
	s_or_b64 exec, exec, s[92:93]
	v_lshlrev_b32_e32 v3, 16, v38
	v_lshlrev_b32_e32 v6, 16, v50
	v_max_f32_e32 v6, v6, v6
	v_max_f32_e32 v3, v3, v3
	v_min_f32_e32 v7, v3, v6
	v_max_f32_e32 v3, v3, v6
	v_cndmask_b32_e32 v7, v3, v7, vcc
	v_and_b32_e32 v3, 0x7f800000, v7
	v_cmp_ne_u32_e64 s[28:29], s68, v3
                                        ; implicit-def: $vgpr49
	s_and_saveexec_b64 s[92:93], s[28:29]
	s_xor_b64 s[28:29], exec, s[92:93]
; %bb.372:                              ;   in Loop: Header=BB10_355 Depth=4
	v_bfe_u32 v3, v7, 16, 1
	v_add3_u32 v49, v7, v3, s69
                                        ; implicit-def: $vgpr7
; %bb.373:                              ;   in Loop: Header=BB10_355 Depth=4
	s_andn2_saveexec_b64 s[92:93], s[28:29]
; %bb.374:                              ;   in Loop: Header=BB10_355 Depth=4
	v_or_b32_e32 v3, 0x10000, v7
	v_cmp_eq_u32_sdwa s[28:29], v7, v2 src0_sel:WORD_0 src1_sel:DWORD
	v_cndmask_b32_e64 v49, v3, v7, s[28:29]
; %bb.375:                              ;   in Loop: Header=BB10_355 Depth=4
	s_or_b64 exec, exec, s[92:93]
	v_and_b32_e32 v3, 0xffff0000, v38
	v_and_b32_e32 v6, 0xffff0000, v50
	v_max_f32_e32 v6, v6, v6
	v_max_f32_e32 v3, v3, v3
	v_min_f32_e32 v7, v3, v6
	v_max_f32_e32 v3, v3, v6
	v_cndmask_b32_e32 v7, v3, v7, vcc
	v_and_b32_e32 v3, 0x7f800000, v7
	v_cmp_ne_u32_e64 s[28:29], s68, v3
                                        ; implicit-def: $vgpr38
	s_and_saveexec_b64 s[92:93], s[28:29]
	s_xor_b64 s[28:29], exec, s[92:93]
; %bb.376:                              ;   in Loop: Header=BB10_355 Depth=4
	v_bfe_u32 v3, v7, 16, 1
	v_add3_u32 v38, v7, v3, s69
                                        ; implicit-def: $vgpr7
; %bb.377:                              ;   in Loop: Header=BB10_355 Depth=4
	s_andn2_saveexec_b64 s[92:93], s[28:29]
; %bb.378:                              ;   in Loop: Header=BB10_355 Depth=4
	v_or_b32_e32 v3, 0x10000, v7
	v_cmp_eq_u32_sdwa s[28:29], v7, v2 src0_sel:WORD_0 src1_sel:DWORD
	v_cndmask_b32_e64 v38, v3, v7, s[28:29]
; %bb.379:                              ;   in Loop: Header=BB10_355 Depth=4
	s_or_b64 exec, exec, s[92:93]
	v_lshlrev_b32_e32 v3, 16, v39
	v_lshlrev_b32_e32 v6, 16, v51
	v_max_f32_e32 v6, v6, v6
	v_max_f32_e32 v3, v3, v3
	v_min_f32_e32 v7, v3, v6
	v_max_f32_e32 v3, v3, v6
	v_cndmask_b32_e32 v7, v3, v7, vcc
	v_and_b32_e32 v3, 0x7f800000, v7
	v_cmp_ne_u32_e64 s[28:29], s68, v3
                                        ; implicit-def: $vgpr50
	s_and_saveexec_b64 s[92:93], s[28:29]
	s_xor_b64 s[28:29], exec, s[92:93]
; %bb.380:                              ;   in Loop: Header=BB10_355 Depth=4
	v_bfe_u32 v3, v7, 16, 1
	v_add3_u32 v50, v7, v3, s69
                                        ; implicit-def: $vgpr7
; %bb.381:                              ;   in Loop: Header=BB10_355 Depth=4
	s_andn2_saveexec_b64 s[92:93], s[28:29]
; %bb.382:                              ;   in Loop: Header=BB10_355 Depth=4
	v_or_b32_e32 v3, 0x10000, v7
	v_cmp_eq_u32_sdwa s[28:29], v7, v2 src0_sel:WORD_0 src1_sel:DWORD
	v_cndmask_b32_e64 v50, v3, v7, s[28:29]
; %bb.383:                              ;   in Loop: Header=BB10_355 Depth=4
	s_or_b64 exec, exec, s[92:93]
	v_and_b32_e32 v3, 0xffff0000, v39
	v_and_b32_e32 v6, 0xffff0000, v51
	v_max_f32_e32 v6, v6, v6
	v_max_f32_e32 v3, v3, v3
	v_min_f32_e32 v7, v3, v6
	v_max_f32_e32 v3, v3, v6
	v_cndmask_b32_e32 v7, v3, v7, vcc
	v_and_b32_e32 v3, 0x7f800000, v7
	v_cmp_ne_u32_e64 s[28:29], s68, v3
                                        ; implicit-def: $vgpr39
	s_and_saveexec_b64 s[92:93], s[28:29]
	s_xor_b64 s[28:29], exec, s[92:93]
; %bb.384:                              ;   in Loop: Header=BB10_355 Depth=4
	v_bfe_u32 v3, v7, 16, 1
	v_add3_u32 v39, v7, v3, s69
                                        ; implicit-def: $vgpr7
; %bb.385:                              ;   in Loop: Header=BB10_355 Depth=4
	s_andn2_saveexec_b64 s[92:93], s[28:29]
; %bb.386:                              ;   in Loop: Header=BB10_355 Depth=4
	v_or_b32_e32 v3, 0x10000, v7
	v_cmp_eq_u32_sdwa s[28:29], v7, v2 src0_sel:WORD_0 src1_sel:DWORD
	v_cndmask_b32_e64 v39, v3, v7, s[28:29]
; %bb.387:                              ;   in Loop: Header=BB10_355 Depth=4
	s_or_b64 exec, exec, s[92:93]
	s_waitcnt vmcnt(5)
	v_lshlrev_b32_e32 v3, 16, v24
	s_waitcnt vmcnt(2)
	v_lshlrev_b32_e32 v6, 16, v32
	v_max_f32_e32 v6, v6, v6
	v_max_f32_e32 v3, v3, v3
	v_min_f32_e32 v7, v3, v6
	v_max_f32_e32 v3, v3, v6
	v_cndmask_b32_e32 v7, v3, v7, vcc
	v_and_b32_e32 v3, 0x7f800000, v7
	v_cmp_ne_u32_e64 s[28:29], s68, v3
                                        ; implicit-def: $vgpr51
	s_and_saveexec_b64 s[92:93], s[28:29]
	s_xor_b64 s[28:29], exec, s[92:93]
; %bb.388:                              ;   in Loop: Header=BB10_355 Depth=4
	v_bfe_u32 v3, v7, 16, 1
	v_add3_u32 v51, v7, v3, s69
                                        ; implicit-def: $vgpr7
; %bb.389:                              ;   in Loop: Header=BB10_355 Depth=4
	s_andn2_saveexec_b64 s[92:93], s[28:29]
; %bb.390:                              ;   in Loop: Header=BB10_355 Depth=4
	v_or_b32_e32 v3, 0x10000, v7
	v_cmp_eq_u32_sdwa s[28:29], v7, v2 src0_sel:WORD_0 src1_sel:DWORD
	v_cndmask_b32_e64 v51, v3, v7, s[28:29]
; %bb.391:                              ;   in Loop: Header=BB10_355 Depth=4
	s_or_b64 exec, exec, s[92:93]
	v_and_b32_e32 v3, 0xffff0000, v24
	v_and_b32_e32 v6, 0xffff0000, v32
	v_max_f32_e32 v6, v6, v6
	v_max_f32_e32 v3, v3, v3
	v_min_f32_e32 v7, v3, v6
	v_max_f32_e32 v3, v3, v6
	v_cndmask_b32_e32 v7, v3, v7, vcc
	v_and_b32_e32 v3, 0x7f800000, v7
	v_cmp_ne_u32_e64 s[28:29], s68, v3
                                        ; implicit-def: $vgpr24
	s_and_saveexec_b64 s[92:93], s[28:29]
	s_xor_b64 s[28:29], exec, s[92:93]
; %bb.392:                              ;   in Loop: Header=BB10_355 Depth=4
	v_bfe_u32 v3, v7, 16, 1
	v_add3_u32 v24, v7, v3, s69
                                        ; implicit-def: $vgpr7
; %bb.393:                              ;   in Loop: Header=BB10_355 Depth=4
	s_andn2_saveexec_b64 s[92:93], s[28:29]
; %bb.394:                              ;   in Loop: Header=BB10_355 Depth=4
	v_or_b32_e32 v3, 0x10000, v7
	v_cmp_eq_u32_sdwa s[28:29], v7, v2 src0_sel:WORD_0 src1_sel:DWORD
	v_cndmask_b32_e64 v24, v3, v7, s[28:29]
; %bb.395:                              ;   in Loop: Header=BB10_355 Depth=4
	s_or_b64 exec, exec, s[92:93]
	v_lshlrev_b32_e32 v3, 16, v25
	v_lshlrev_b32_e32 v6, 16, v33
	v_max_f32_e32 v6, v6, v6
	v_max_f32_e32 v3, v3, v3
	v_min_f32_e32 v7, v3, v6
	v_max_f32_e32 v3, v3, v6
	v_cndmask_b32_e32 v7, v3, v7, vcc
	v_and_b32_e32 v3, 0x7f800000, v7
	v_cmp_ne_u32_e64 s[28:29], s68, v3
                                        ; implicit-def: $vgpr32
	s_and_saveexec_b64 s[92:93], s[28:29]
	s_xor_b64 s[28:29], exec, s[92:93]
; %bb.396:                              ;   in Loop: Header=BB10_355 Depth=4
	v_bfe_u32 v3, v7, 16, 1
	v_add3_u32 v32, v7, v3, s69
                                        ; implicit-def: $vgpr7
; %bb.397:                              ;   in Loop: Header=BB10_355 Depth=4
	s_andn2_saveexec_b64 s[92:93], s[28:29]
; %bb.398:                              ;   in Loop: Header=BB10_355 Depth=4
	v_or_b32_e32 v3, 0x10000, v7
	v_cmp_eq_u32_sdwa s[28:29], v7, v2 src0_sel:WORD_0 src1_sel:DWORD
	v_cndmask_b32_e64 v32, v3, v7, s[28:29]
; %bb.399:                              ;   in Loop: Header=BB10_355 Depth=4
	s_or_b64 exec, exec, s[92:93]
	v_and_b32_e32 v3, 0xffff0000, v25
	v_and_b32_e32 v6, 0xffff0000, v33
	v_max_f32_e32 v6, v6, v6
	v_max_f32_e32 v3, v3, v3
	v_min_f32_e32 v7, v3, v6
	v_max_f32_e32 v3, v3, v6
	v_cndmask_b32_e32 v7, v3, v7, vcc
	v_and_b32_e32 v3, 0x7f800000, v7
	v_cmp_ne_u32_e64 s[28:29], s68, v3
                                        ; implicit-def: $vgpr25
	s_and_saveexec_b64 s[92:93], s[28:29]
	s_xor_b64 s[28:29], exec, s[92:93]
; %bb.400:                              ;   in Loop: Header=BB10_355 Depth=4
	v_bfe_u32 v3, v7, 16, 1
	v_add3_u32 v25, v7, v3, s69
                                        ; implicit-def: $vgpr7
; %bb.401:                              ;   in Loop: Header=BB10_355 Depth=4
	s_andn2_saveexec_b64 s[92:93], s[28:29]
; %bb.402:                              ;   in Loop: Header=BB10_355 Depth=4
	v_or_b32_e32 v3, 0x10000, v7
	v_cmp_eq_u32_sdwa s[28:29], v7, v2 src0_sel:WORD_0 src1_sel:DWORD
	v_cndmask_b32_e64 v25, v3, v7, s[28:29]
; %bb.403:                              ;   in Loop: Header=BB10_355 Depth=4
	s_or_b64 exec, exec, s[92:93]
	v_lshlrev_b32_e32 v3, 16, v26
	v_lshlrev_b32_e32 v6, 16, v34
	v_max_f32_e32 v6, v6, v6
	v_max_f32_e32 v3, v3, v3
	v_min_f32_e32 v7, v3, v6
	v_max_f32_e32 v3, v3, v6
	v_cndmask_b32_e32 v7, v3, v7, vcc
	v_and_b32_e32 v3, 0x7f800000, v7
	v_cmp_ne_u32_e64 s[28:29], s68, v3
                                        ; implicit-def: $vgpr33
	s_and_saveexec_b64 s[92:93], s[28:29]
	s_xor_b64 s[28:29], exec, s[92:93]
; %bb.404:                              ;   in Loop: Header=BB10_355 Depth=4
	v_bfe_u32 v3, v7, 16, 1
	v_add3_u32 v33, v7, v3, s69
                                        ; implicit-def: $vgpr7
; %bb.405:                              ;   in Loop: Header=BB10_355 Depth=4
	s_andn2_saveexec_b64 s[92:93], s[28:29]
; %bb.406:                              ;   in Loop: Header=BB10_355 Depth=4
	v_or_b32_e32 v3, 0x10000, v7
	v_cmp_eq_u32_sdwa s[28:29], v7, v2 src0_sel:WORD_0 src1_sel:DWORD
	v_cndmask_b32_e64 v33, v3, v7, s[28:29]
; %bb.407:                              ;   in Loop: Header=BB10_355 Depth=4
	s_or_b64 exec, exec, s[92:93]
	v_and_b32_e32 v3, 0xffff0000, v26
	v_and_b32_e32 v6, 0xffff0000, v34
	v_max_f32_e32 v6, v6, v6
	v_max_f32_e32 v3, v3, v3
	v_min_f32_e32 v7, v3, v6
	v_max_f32_e32 v3, v3, v6
	v_cndmask_b32_e32 v7, v3, v7, vcc
	v_and_b32_e32 v3, 0x7f800000, v7
	v_cmp_ne_u32_e64 s[28:29], s68, v3
                                        ; implicit-def: $vgpr26
	s_and_saveexec_b64 s[92:93], s[28:29]
	s_xor_b64 s[28:29], exec, s[92:93]
; %bb.408:                              ;   in Loop: Header=BB10_355 Depth=4
	v_bfe_u32 v3, v7, 16, 1
	v_add3_u32 v26, v7, v3, s69
                                        ; implicit-def: $vgpr7
; %bb.409:                              ;   in Loop: Header=BB10_355 Depth=4
	s_andn2_saveexec_b64 s[92:93], s[28:29]
; %bb.410:                              ;   in Loop: Header=BB10_355 Depth=4
	v_or_b32_e32 v3, 0x10000, v7
	v_cmp_eq_u32_sdwa s[28:29], v7, v2 src0_sel:WORD_0 src1_sel:DWORD
	v_cndmask_b32_e64 v26, v3, v7, s[28:29]
; %bb.411:                              ;   in Loop: Header=BB10_355 Depth=4
	s_or_b64 exec, exec, s[92:93]
	v_lshlrev_b32_e32 v3, 16, v27
	v_lshlrev_b32_e32 v6, 16, v35
	v_max_f32_e32 v6, v6, v6
	v_max_f32_e32 v3, v3, v3
	v_min_f32_e32 v7, v3, v6
	v_max_f32_e32 v3, v3, v6
	v_cndmask_b32_e32 v7, v3, v7, vcc
	v_and_b32_e32 v3, 0x7f800000, v7
	v_cmp_ne_u32_e64 s[28:29], s68, v3
                                        ; implicit-def: $vgpr34
	s_and_saveexec_b64 s[92:93], s[28:29]
	s_xor_b64 s[28:29], exec, s[92:93]
; %bb.412:                              ;   in Loop: Header=BB10_355 Depth=4
	v_bfe_u32 v3, v7, 16, 1
	v_add3_u32 v34, v7, v3, s69
                                        ; implicit-def: $vgpr7
; %bb.413:                              ;   in Loop: Header=BB10_355 Depth=4
	s_andn2_saveexec_b64 s[92:93], s[28:29]
; %bb.414:                              ;   in Loop: Header=BB10_355 Depth=4
	v_or_b32_e32 v3, 0x10000, v7
	v_cmp_eq_u32_sdwa s[28:29], v7, v2 src0_sel:WORD_0 src1_sel:DWORD
	v_cndmask_b32_e64 v34, v3, v7, s[28:29]
; %bb.415:                              ;   in Loop: Header=BB10_355 Depth=4
	s_or_b64 exec, exec, s[92:93]
	v_and_b32_e32 v3, 0xffff0000, v27
	v_and_b32_e32 v6, 0xffff0000, v35
	v_max_f32_e32 v6, v6, v6
	v_max_f32_e32 v3, v3, v3
	v_min_f32_e32 v7, v3, v6
	v_max_f32_e32 v3, v3, v6
	v_cndmask_b32_e32 v7, v3, v7, vcc
	v_and_b32_e32 v3, 0x7f800000, v7
	v_cmp_ne_u32_e64 s[28:29], s68, v3
                                        ; implicit-def: $vgpr27
	s_and_saveexec_b64 s[92:93], s[28:29]
	s_xor_b64 s[28:29], exec, s[92:93]
; %bb.416:                              ;   in Loop: Header=BB10_355 Depth=4
	v_bfe_u32 v3, v7, 16, 1
	v_add3_u32 v27, v7, v3, s69
                                        ; implicit-def: $vgpr7
; %bb.417:                              ;   in Loop: Header=BB10_355 Depth=4
	s_andn2_saveexec_b64 s[92:93], s[28:29]
; %bb.418:                              ;   in Loop: Header=BB10_355 Depth=4
	v_or_b32_e32 v3, 0x10000, v7
	v_cmp_eq_u32_sdwa s[28:29], v7, v2 src0_sel:WORD_0 src1_sel:DWORD
	v_cndmask_b32_e64 v27, v3, v7, s[28:29]
; %bb.419:                              ;   in Loop: Header=BB10_355 Depth=4
	s_or_b64 exec, exec, s[92:93]
	v_lshlrev_b32_e32 v3, 16, v16
	s_waitcnt vmcnt(1)
	v_lshlrev_b32_e32 v6, 16, v20
	v_max_f32_e32 v6, v6, v6
	v_max_f32_e32 v3, v3, v3
	v_min_f32_e32 v7, v3, v6
	v_max_f32_e32 v3, v3, v6
	v_cndmask_b32_e32 v7, v3, v7, vcc
	v_and_b32_e32 v3, 0x7f800000, v7
	v_cmp_ne_u32_e64 s[28:29], s68, v3
                                        ; implicit-def: $vgpr35
	s_and_saveexec_b64 s[92:93], s[28:29]
	s_xor_b64 s[28:29], exec, s[92:93]
; %bb.420:                              ;   in Loop: Header=BB10_355 Depth=4
	v_bfe_u32 v3, v7, 16, 1
	v_add3_u32 v35, v7, v3, s69
                                        ; implicit-def: $vgpr7
; %bb.421:                              ;   in Loop: Header=BB10_355 Depth=4
	s_andn2_saveexec_b64 s[92:93], s[28:29]
; %bb.422:                              ;   in Loop: Header=BB10_355 Depth=4
	v_or_b32_e32 v3, 0x10000, v7
	v_cmp_eq_u32_sdwa s[28:29], v7, v2 src0_sel:WORD_0 src1_sel:DWORD
	v_cndmask_b32_e64 v35, v3, v7, s[28:29]
; %bb.423:                              ;   in Loop: Header=BB10_355 Depth=4
	s_or_b64 exec, exec, s[92:93]
	v_and_b32_e32 v3, 0xffff0000, v16
	v_and_b32_e32 v6, 0xffff0000, v20
	v_max_f32_e32 v6, v6, v6
	v_max_f32_e32 v3, v3, v3
	v_min_f32_e32 v7, v3, v6
	v_max_f32_e32 v3, v3, v6
	v_cndmask_b32_e32 v7, v3, v7, vcc
	v_and_b32_e32 v3, 0x7f800000, v7
	v_cmp_ne_u32_e64 s[28:29], s68, v3
                                        ; implicit-def: $vgpr16
	s_and_saveexec_b64 s[92:93], s[28:29]
	s_xor_b64 s[28:29], exec, s[92:93]
; %bb.424:                              ;   in Loop: Header=BB10_355 Depth=4
	v_bfe_u32 v3, v7, 16, 1
	v_add3_u32 v16, v7, v3, s69
                                        ; implicit-def: $vgpr7
; %bb.425:                              ;   in Loop: Header=BB10_355 Depth=4
	s_andn2_saveexec_b64 s[92:93], s[28:29]
; %bb.426:                              ;   in Loop: Header=BB10_355 Depth=4
	v_or_b32_e32 v3, 0x10000, v7
	v_cmp_eq_u32_sdwa s[28:29], v7, v2 src0_sel:WORD_0 src1_sel:DWORD
	v_cndmask_b32_e64 v16, v3, v7, s[28:29]
; %bb.427:                              ;   in Loop: Header=BB10_355 Depth=4
	s_or_b64 exec, exec, s[92:93]
	v_lshlrev_b32_e32 v3, 16, v17
	v_lshlrev_b32_e32 v6, 16, v21
	v_max_f32_e32 v6, v6, v6
	v_max_f32_e32 v3, v3, v3
	v_min_f32_e32 v7, v3, v6
	v_max_f32_e32 v3, v3, v6
	v_cndmask_b32_e32 v7, v3, v7, vcc
	v_and_b32_e32 v3, 0x7f800000, v7
	v_cmp_ne_u32_e64 s[28:29], s68, v3
                                        ; implicit-def: $vgpr20
	s_and_saveexec_b64 s[92:93], s[28:29]
	s_xor_b64 s[28:29], exec, s[92:93]
; %bb.428:                              ;   in Loop: Header=BB10_355 Depth=4
	v_bfe_u32 v3, v7, 16, 1
	v_add3_u32 v20, v7, v3, s69
                                        ; implicit-def: $vgpr7
; %bb.429:                              ;   in Loop: Header=BB10_355 Depth=4
	s_andn2_saveexec_b64 s[92:93], s[28:29]
; %bb.430:                              ;   in Loop: Header=BB10_355 Depth=4
	v_or_b32_e32 v3, 0x10000, v7
	v_cmp_eq_u32_sdwa s[28:29], v7, v2 src0_sel:WORD_0 src1_sel:DWORD
	v_cndmask_b32_e64 v20, v3, v7, s[28:29]
; %bb.431:                              ;   in Loop: Header=BB10_355 Depth=4
	s_or_b64 exec, exec, s[92:93]
	v_and_b32_e32 v3, 0xffff0000, v17
	v_and_b32_e32 v6, 0xffff0000, v21
	v_max_f32_e32 v6, v6, v6
	v_max_f32_e32 v3, v3, v3
	v_min_f32_e32 v7, v3, v6
	v_max_f32_e32 v3, v3, v6
	v_cndmask_b32_e32 v7, v3, v7, vcc
	v_and_b32_e32 v3, 0x7f800000, v7
	v_cmp_ne_u32_e64 s[28:29], s68, v3
                                        ; implicit-def: $vgpr17
	s_and_saveexec_b64 s[92:93], s[28:29]
	s_xor_b64 s[28:29], exec, s[92:93]
; %bb.432:                              ;   in Loop: Header=BB10_355 Depth=4
	v_bfe_u32 v3, v7, 16, 1
	v_add3_u32 v17, v7, v3, s69
                                        ; implicit-def: $vgpr7
; %bb.433:                              ;   in Loop: Header=BB10_355 Depth=4
	s_andn2_saveexec_b64 s[92:93], s[28:29]
; %bb.434:                              ;   in Loop: Header=BB10_355 Depth=4
	v_or_b32_e32 v3, 0x10000, v7
	v_cmp_eq_u32_sdwa s[28:29], v7, v2 src0_sel:WORD_0 src1_sel:DWORD
	v_cndmask_b32_e64 v17, v3, v7, s[28:29]
; %bb.435:                              ;   in Loop: Header=BB10_355 Depth=4
	s_or_b64 exec, exec, s[92:93]
	v_lshlrev_b32_e32 v3, 16, v18
	v_lshlrev_b32_e32 v6, 16, v22
	v_max_f32_e32 v6, v6, v6
	v_max_f32_e32 v3, v3, v3
	v_min_f32_e32 v7, v3, v6
	v_max_f32_e32 v3, v3, v6
	v_cndmask_b32_e32 v7, v3, v7, vcc
	v_and_b32_e32 v3, 0x7f800000, v7
	v_cmp_ne_u32_e64 s[28:29], s68, v3
                                        ; implicit-def: $vgpr21
	s_and_saveexec_b64 s[92:93], s[28:29]
	s_xor_b64 s[28:29], exec, s[92:93]
; %bb.436:                              ;   in Loop: Header=BB10_355 Depth=4
	v_bfe_u32 v3, v7, 16, 1
	v_add3_u32 v21, v7, v3, s69
                                        ; implicit-def: $vgpr7
; %bb.437:                              ;   in Loop: Header=BB10_355 Depth=4
	s_andn2_saveexec_b64 s[92:93], s[28:29]
; %bb.438:                              ;   in Loop: Header=BB10_355 Depth=4
	v_or_b32_e32 v3, 0x10000, v7
	v_cmp_eq_u32_sdwa s[28:29], v7, v2 src0_sel:WORD_0 src1_sel:DWORD
	v_cndmask_b32_e64 v21, v3, v7, s[28:29]
; %bb.439:                              ;   in Loop: Header=BB10_355 Depth=4
	s_or_b64 exec, exec, s[92:93]
	v_and_b32_e32 v3, 0xffff0000, v18
	v_and_b32_e32 v6, 0xffff0000, v22
	v_max_f32_e32 v6, v6, v6
	v_max_f32_e32 v3, v3, v3
	v_min_f32_e32 v7, v3, v6
	v_max_f32_e32 v3, v3, v6
	v_cndmask_b32_e32 v7, v3, v7, vcc
	v_and_b32_e32 v3, 0x7f800000, v7
	v_cmp_ne_u32_e64 s[28:29], s68, v3
                                        ; implicit-def: $vgpr18
	s_and_saveexec_b64 s[92:93], s[28:29]
	s_xor_b64 s[28:29], exec, s[92:93]
; %bb.440:                              ;   in Loop: Header=BB10_355 Depth=4
	v_bfe_u32 v3, v7, 16, 1
	v_add3_u32 v18, v7, v3, s69
                                        ; implicit-def: $vgpr7
; %bb.441:                              ;   in Loop: Header=BB10_355 Depth=4
	s_andn2_saveexec_b64 s[92:93], s[28:29]
; %bb.442:                              ;   in Loop: Header=BB10_355 Depth=4
	v_or_b32_e32 v3, 0x10000, v7
	v_cmp_eq_u32_sdwa s[28:29], v7, v2 src0_sel:WORD_0 src1_sel:DWORD
	v_cndmask_b32_e64 v18, v3, v7, s[28:29]
; %bb.443:                              ;   in Loop: Header=BB10_355 Depth=4
	s_or_b64 exec, exec, s[92:93]
	v_lshlrev_b32_e32 v3, 16, v19
	v_lshlrev_b32_e32 v6, 16, v23
	v_max_f32_e32 v6, v6, v6
	v_max_f32_e32 v3, v3, v3
	v_min_f32_e32 v7, v3, v6
	v_max_f32_e32 v3, v3, v6
	v_cndmask_b32_e32 v7, v3, v7, vcc
	v_and_b32_e32 v3, 0x7f800000, v7
	v_cmp_ne_u32_e64 s[28:29], s68, v3
                                        ; implicit-def: $vgpr22
	s_and_saveexec_b64 s[92:93], s[28:29]
	s_xor_b64 s[28:29], exec, s[92:93]
; %bb.444:                              ;   in Loop: Header=BB10_355 Depth=4
	v_bfe_u32 v3, v7, 16, 1
	v_add3_u32 v22, v7, v3, s69
                                        ; implicit-def: $vgpr7
; %bb.445:                              ;   in Loop: Header=BB10_355 Depth=4
	s_andn2_saveexec_b64 s[92:93], s[28:29]
; %bb.446:                              ;   in Loop: Header=BB10_355 Depth=4
	v_or_b32_e32 v3, 0x10000, v7
	v_cmp_eq_u32_sdwa s[28:29], v7, v2 src0_sel:WORD_0 src1_sel:DWORD
	v_cndmask_b32_e64 v22, v3, v7, s[28:29]
; %bb.447:                              ;   in Loop: Header=BB10_355 Depth=4
	s_or_b64 exec, exec, s[92:93]
	v_and_b32_e32 v3, 0xffff0000, v19
	v_and_b32_e32 v6, 0xffff0000, v23
	v_max_f32_e32 v6, v6, v6
	v_max_f32_e32 v3, v3, v3
	v_min_f32_e32 v7, v3, v6
	v_max_f32_e32 v3, v3, v6
	v_cndmask_b32_e32 v7, v3, v7, vcc
	v_and_b32_e32 v3, 0x7f800000, v7
	v_cmp_ne_u32_e64 s[28:29], s68, v3
                                        ; implicit-def: $vgpr19
	s_and_saveexec_b64 s[92:93], s[28:29]
	s_xor_b64 s[28:29], exec, s[92:93]
; %bb.448:                              ;   in Loop: Header=BB10_355 Depth=4
	v_bfe_u32 v3, v7, 16, 1
	v_add3_u32 v19, v7, v3, s69
                                        ; implicit-def: $vgpr7
; %bb.449:                              ;   in Loop: Header=BB10_355 Depth=4
	s_andn2_saveexec_b64 s[92:93], s[28:29]
; %bb.450:                              ;   in Loop: Header=BB10_355 Depth=4
	v_or_b32_e32 v3, 0x10000, v7
	v_cmp_eq_u32_sdwa s[28:29], v7, v2 src0_sel:WORD_0 src1_sel:DWORD
	v_cndmask_b32_e64 v19, v3, v7, s[28:29]
; %bb.451:                              ;   in Loop: Header=BB10_355 Depth=4
	s_or_b64 exec, exec, s[92:93]
	v_lshlrev_b32_e32 v3, 16, v8
	s_waitcnt vmcnt(0)
	v_lshlrev_b32_e32 v6, 16, v12
	v_max_f32_e32 v6, v6, v6
	v_max_f32_e32 v3, v3, v3
	v_min_f32_e32 v7, v3, v6
	v_max_f32_e32 v3, v3, v6
	v_cndmask_b32_e32 v7, v3, v7, vcc
	v_and_b32_e32 v3, 0x7f800000, v7
	v_cmp_ne_u32_e64 s[28:29], s68, v3
                                        ; implicit-def: $vgpr23
	s_and_saveexec_b64 s[92:93], s[28:29]
	s_xor_b64 s[28:29], exec, s[92:93]
; %bb.452:                              ;   in Loop: Header=BB10_355 Depth=4
	v_bfe_u32 v3, v7, 16, 1
	v_add3_u32 v23, v7, v3, s69
                                        ; implicit-def: $vgpr7
; %bb.453:                              ;   in Loop: Header=BB10_355 Depth=4
	s_andn2_saveexec_b64 s[92:93], s[28:29]
; %bb.454:                              ;   in Loop: Header=BB10_355 Depth=4
	v_or_b32_e32 v3, 0x10000, v7
	v_cmp_eq_u32_sdwa s[28:29], v7, v2 src0_sel:WORD_0 src1_sel:DWORD
	v_cndmask_b32_e64 v23, v3, v7, s[28:29]
; %bb.455:                              ;   in Loop: Header=BB10_355 Depth=4
	s_or_b64 exec, exec, s[92:93]
	v_and_b32_e32 v3, 0xffff0000, v8
	v_and_b32_e32 v6, 0xffff0000, v12
	v_max_f32_e32 v6, v6, v6
	v_max_f32_e32 v3, v3, v3
	v_min_f32_e32 v7, v3, v6
	v_max_f32_e32 v3, v3, v6
	v_cndmask_b32_e32 v7, v3, v7, vcc
	v_and_b32_e32 v3, 0x7f800000, v7
	v_cmp_ne_u32_e64 s[28:29], s68, v3
                                        ; implicit-def: $vgpr8
	s_and_saveexec_b64 s[92:93], s[28:29]
	s_xor_b64 s[28:29], exec, s[92:93]
; %bb.456:                              ;   in Loop: Header=BB10_355 Depth=4
	v_bfe_u32 v3, v7, 16, 1
	v_add3_u32 v8, v7, v3, s69
                                        ; implicit-def: $vgpr7
; %bb.457:                              ;   in Loop: Header=BB10_355 Depth=4
	s_andn2_saveexec_b64 s[92:93], s[28:29]
; %bb.458:                              ;   in Loop: Header=BB10_355 Depth=4
	v_or_b32_e32 v3, 0x10000, v7
	v_cmp_eq_u32_sdwa s[28:29], v7, v2 src0_sel:WORD_0 src1_sel:DWORD
	v_cndmask_b32_e64 v8, v3, v7, s[28:29]
; %bb.459:                              ;   in Loop: Header=BB10_355 Depth=4
	s_or_b64 exec, exec, s[92:93]
	v_lshlrev_b32_e32 v3, 16, v9
	v_lshlrev_b32_e32 v6, 16, v13
	v_max_f32_e32 v6, v6, v6
	v_max_f32_e32 v3, v3, v3
	v_min_f32_e32 v7, v3, v6
	v_max_f32_e32 v3, v3, v6
	v_cndmask_b32_e32 v7, v3, v7, vcc
	v_and_b32_e32 v3, 0x7f800000, v7
	v_cmp_ne_u32_e64 s[28:29], s68, v3
                                        ; implicit-def: $vgpr12
	s_and_saveexec_b64 s[92:93], s[28:29]
	s_xor_b64 s[28:29], exec, s[92:93]
; %bb.460:                              ;   in Loop: Header=BB10_355 Depth=4
	v_bfe_u32 v3, v7, 16, 1
	v_add3_u32 v12, v7, v3, s69
                                        ; implicit-def: $vgpr7
; %bb.461:                              ;   in Loop: Header=BB10_355 Depth=4
	s_andn2_saveexec_b64 s[92:93], s[28:29]
; %bb.462:                              ;   in Loop: Header=BB10_355 Depth=4
	v_or_b32_e32 v3, 0x10000, v7
	v_cmp_eq_u32_sdwa s[28:29], v7, v2 src0_sel:WORD_0 src1_sel:DWORD
	v_cndmask_b32_e64 v12, v3, v7, s[28:29]
; %bb.463:                              ;   in Loop: Header=BB10_355 Depth=4
	s_or_b64 exec, exec, s[92:93]
	v_and_b32_e32 v3, 0xffff0000, v9
	v_and_b32_e32 v6, 0xffff0000, v13
	v_max_f32_e32 v6, v6, v6
	v_max_f32_e32 v3, v3, v3
	v_min_f32_e32 v7, v3, v6
	v_max_f32_e32 v3, v3, v6
	v_cndmask_b32_e32 v7, v3, v7, vcc
	v_and_b32_e32 v3, 0x7f800000, v7
	v_cmp_ne_u32_e64 s[28:29], s68, v3
                                        ; implicit-def: $vgpr9
	s_and_saveexec_b64 s[92:93], s[28:29]
	s_xor_b64 s[28:29], exec, s[92:93]
; %bb.464:                              ;   in Loop: Header=BB10_355 Depth=4
	v_bfe_u32 v3, v7, 16, 1
	v_add3_u32 v9, v7, v3, s69
                                        ; implicit-def: $vgpr7
; %bb.465:                              ;   in Loop: Header=BB10_355 Depth=4
	s_andn2_saveexec_b64 s[92:93], s[28:29]
; %bb.466:                              ;   in Loop: Header=BB10_355 Depth=4
	v_or_b32_e32 v3, 0x10000, v7
	v_cmp_eq_u32_sdwa s[28:29], v7, v2 src0_sel:WORD_0 src1_sel:DWORD
	v_cndmask_b32_e64 v9, v3, v7, s[28:29]
; %bb.467:                              ;   in Loop: Header=BB10_355 Depth=4
	s_or_b64 exec, exec, s[92:93]
	v_lshlrev_b32_e32 v3, 16, v10
	v_lshlrev_b32_e32 v6, 16, v14
	v_max_f32_e32 v6, v6, v6
	v_max_f32_e32 v3, v3, v3
	v_min_f32_e32 v7, v3, v6
	v_max_f32_e32 v3, v3, v6
	v_cndmask_b32_e32 v7, v3, v7, vcc
	v_and_b32_e32 v3, 0x7f800000, v7
	v_cmp_ne_u32_e64 s[28:29], s68, v3
                                        ; implicit-def: $vgpr13
	s_and_saveexec_b64 s[92:93], s[28:29]
	s_xor_b64 s[28:29], exec, s[92:93]
; %bb.468:                              ;   in Loop: Header=BB10_355 Depth=4
	v_bfe_u32 v3, v7, 16, 1
	v_add3_u32 v13, v7, v3, s69
                                        ; implicit-def: $vgpr7
; %bb.469:                              ;   in Loop: Header=BB10_355 Depth=4
	s_andn2_saveexec_b64 s[92:93], s[28:29]
; %bb.470:                              ;   in Loop: Header=BB10_355 Depth=4
	v_or_b32_e32 v3, 0x10000, v7
	v_cmp_eq_u32_sdwa s[28:29], v7, v2 src0_sel:WORD_0 src1_sel:DWORD
	v_cndmask_b32_e64 v13, v3, v7, s[28:29]
; %bb.471:                              ;   in Loop: Header=BB10_355 Depth=4
	s_or_b64 exec, exec, s[92:93]
	v_and_b32_e32 v3, 0xffff0000, v10
	v_and_b32_e32 v6, 0xffff0000, v14
	v_max_f32_e32 v6, v6, v6
	v_max_f32_e32 v3, v3, v3
	v_min_f32_e32 v7, v3, v6
	v_max_f32_e32 v3, v3, v6
	v_cndmask_b32_e32 v7, v3, v7, vcc
	v_and_b32_e32 v3, 0x7f800000, v7
	v_cmp_ne_u32_e64 s[28:29], s68, v3
                                        ; implicit-def: $vgpr10
	s_and_saveexec_b64 s[92:93], s[28:29]
	s_xor_b64 s[28:29], exec, s[92:93]
; %bb.472:                              ;   in Loop: Header=BB10_355 Depth=4
	v_bfe_u32 v3, v7, 16, 1
	v_add3_u32 v10, v7, v3, s69
                                        ; implicit-def: $vgpr7
; %bb.473:                              ;   in Loop: Header=BB10_355 Depth=4
	s_andn2_saveexec_b64 s[92:93], s[28:29]
; %bb.474:                              ;   in Loop: Header=BB10_355 Depth=4
	v_or_b32_e32 v3, 0x10000, v7
	v_cmp_eq_u32_sdwa s[28:29], v7, v2 src0_sel:WORD_0 src1_sel:DWORD
	v_cndmask_b32_e64 v10, v3, v7, s[28:29]
; %bb.475:                              ;   in Loop: Header=BB10_355 Depth=4
	s_or_b64 exec, exec, s[92:93]
	v_lshlrev_b32_e32 v3, 16, v11
	v_lshlrev_b32_e32 v6, 16, v15
	v_max_f32_e32 v6, v6, v6
	v_max_f32_e32 v3, v3, v3
	v_min_f32_e32 v7, v3, v6
	v_max_f32_e32 v3, v3, v6
	v_cndmask_b32_e32 v7, v3, v7, vcc
	v_and_b32_e32 v3, 0x7f800000, v7
	v_cmp_ne_u32_e64 s[28:29], s68, v3
                                        ; implicit-def: $vgpr14
	s_and_saveexec_b64 s[92:93], s[28:29]
	s_xor_b64 s[28:29], exec, s[92:93]
; %bb.476:                              ;   in Loop: Header=BB10_355 Depth=4
	v_bfe_u32 v3, v7, 16, 1
	v_add3_u32 v14, v7, v3, s69
                                        ; implicit-def: $vgpr7
; %bb.477:                              ;   in Loop: Header=BB10_355 Depth=4
	s_andn2_saveexec_b64 s[92:93], s[28:29]
; %bb.478:                              ;   in Loop: Header=BB10_355 Depth=4
	v_or_b32_e32 v3, 0x10000, v7
	v_cmp_eq_u32_sdwa s[28:29], v7, v2 src0_sel:WORD_0 src1_sel:DWORD
	v_cndmask_b32_e64 v14, v3, v7, s[28:29]
; %bb.479:                              ;   in Loop: Header=BB10_355 Depth=4
	s_or_b64 exec, exec, s[92:93]
	v_and_b32_e32 v3, 0xffff0000, v11
	v_and_b32_e32 v6, 0xffff0000, v15
	v_max_f32_e32 v6, v6, v6
	v_max_f32_e32 v3, v3, v3
	v_min_f32_e32 v7, v3, v6
	v_max_f32_e32 v3, v3, v6
	v_cndmask_b32_e32 v11, v3, v7, vcc
	v_and_b32_e32 v3, 0x7f800000, v11
	v_cmp_ne_u32_e64 s[28:29], s68, v3
                                        ; implicit-def: $vgpr7
	s_and_saveexec_b64 s[92:93], s[28:29]
	s_xor_b64 s[28:29], exec, s[92:93]
; %bb.480:                              ;   in Loop: Header=BB10_355 Depth=4
	v_bfe_u32 v3, v11, 16, 1
	v_add3_u32 v7, v11, v3, s69
                                        ; implicit-def: $vgpr11
; %bb.481:                              ;   in Loop: Header=BB10_355 Depth=4
	s_andn2_saveexec_b64 s[92:93], s[28:29]
	s_cbranch_execz .LBB10_354
; %bb.482:                              ;   in Loop: Header=BB10_355 Depth=4
	v_or_b32_e32 v3, 0x10000, v11
	v_cmp_eq_u32_sdwa s[28:29], v11, v2 src0_sel:WORD_0 src1_sel:DWORD
	v_cndmask_b32_e64 v7, v3, v11, s[28:29]
	s_branch .LBB10_354
.LBB10_483:                             ;   in Loop: Header=BB10_272 Depth=3
	s_or_b64 exec, exec, s[90:91]
	buffer_load_dword v42, off, s[0:3], s33 offset:168 ; 4-byte Folded Reload
	buffer_load_dword v43, off, s[0:3], s33 offset:172 ; 4-byte Folded Reload
	;; [unrolled: 1-line block ×4, first 2 shown]
.LBB10_484:                             ;   in Loop: Header=BB10_272 Depth=3
	s_or_b64 exec, exec, s[40:41]
	v_lshlrev_b32_e32 v20, 12, v59
	s_mov_b64 s[28:29], 0
	v_mov_b32_e32 v12, 0
	v_cmp_ne_u32_e32 vcc, v5, v20
                                        ; implicit-def: $vgpr13
	s_mov_b64 s[90:91], exec
	buffer_load_dword v59, off, s[0:3], s33 offset:156 ; 4-byte Folded Reload
	s_and_b64 s[40:41], s[90:91], vcc
	s_mov_b64 exec, s[40:41]
	s_cbranch_execz .LBB10_522
; %bb.485:                              ;   in Loop: Header=BB10_272 Depth=3
	buffer_load_dword v3, off, s[0:3], s33 offset:188 ; 4-byte Folded Reload
	v_lshlrev_b32_e32 v0, 6, v31
	v_sub_u32_e32 v1, v5, v20
	s_waitcnt vmcnt(0)
	v_sub_u32_e32 v0, v3, v0
	v_ashrrev_i32_e32 v3, 31, v0
	v_lshrrev_b32_e32 v3, 26, v3
	v_add_u32_e32 v3, v0, v3
	v_ashrrev_i32_e32 v6, 6, v3
	v_and_b32_e32 v3, 0xffffffc0, v3
	v_sub_u32_e32 v21, v0, v3
	v_ashrrev_i32_e32 v3, 31, v1
	v_lshrrev_b32_e32 v3, 22, v3
	v_add_u32_e32 v3, v1, v3
	v_and_b32_e32 v22, 0xfffffc00, v3
	v_lshlrev_b32_e32 v0, 4, v21
	v_sub_u32_e32 v23, v1, v22
	v_lshl_add_u32 v0, v6, 10, v0
	v_ashrrev_i32_e32 v7, 10, v3
	v_cmp_lt_i32_e32 vcc, 15, v23
	v_sub_u32_e32 v25, v1, v0
	v_addc_co_u32_e64 v1, s[28:29], 0, v7, vcc
	v_sub_u32_e32 v24, v1, v6
	v_cmp_lt_i32_e64 s[28:29], 15, v25
	s_and_saveexec_b64 s[92:93], s[28:29]
	s_cbranch_execz .LBB10_521
; %bb.486:                              ;   in Loop: Header=BB10_272 Depth=3
	s_trap 2
	ds_read_b64 v[7:8], v0
	v_add_u32_e32 v3, v0, v20
	v_ashrrev_i32_e32 v6, 31, v3
	v_add_co_u32_e64 v0, s[28:29], v3, v60
	v_addc_co_u32_e64 v1, s[28:29], v6, v61, s[28:29]
	s_waitcnt lgkmcnt(0)
	v_add_co_u32_e64 v16, s[28:29], v7, v3
	v_addc_co_u32_e64 v17, s[28:29], v8, v6, s[28:29]
	v_add_co_u32_e64 v18, s[28:29], v3, v52
	s_and_b32 s58, s34, 1
	v_addc_co_u32_e64 v19, s[28:29], v6, v53, s[28:29]
	s_cmp_eq_u64 s[58:59], 0
	s_mov_b64 s[94:95], 0
	s_cselect_b64 s[28:29], -1, 0
	s_branch .LBB10_488
.LBB10_487:                             ;   in Loop: Header=BB10_488 Depth=4
	s_or_b64 exec, exec, s[30:31]
	v_lshrrev_b32_e32 v3, 16, v12
	v_and_or_b32 v9, v9, s70, v3
	v_lshrrev_b32_e32 v3, 16, v26
	v_and_or_b32 v8, v8, s70, v3
	;; [unrolled: 2-line block ×4, first 2 shown]
	buffer_load_dword v3, off, s[0:3], s33 offset:100 ; 4-byte Folded Reload
	s_waitcnt vmcnt(0)
	v_add_co_u32_e64 v0, s[40:41], v0, v3
	v_addc_co_u32_e64 v1, s[40:41], 0, v1, s[40:41]
	v_add_co_u32_e64 v16, s[40:41], v16, v3
	v_addc_co_u32_e64 v17, s[40:41], 0, v17, s[40:41]
	global_store_dwordx4 v[18:19], v[8:11], off glc slc
	v_add_co_u32_e64 v18, s[40:41], v18, v3
	v_sub_u32_e32 v25, v25, v3
	buffer_load_dword v3, off, s[0:3], s33 offset:68 ; 4-byte Folded Reload
	v_addc_co_u32_e64 v19, s[40:41], 0, v19, s[40:41]
	v_cmp_gt_i32_e64 s[40:41], 16, v25
	s_or_b64 s[94:95], s[40:41], s[94:95]
	s_waitcnt vmcnt(0)
	v_sub_u32_e32 v24, v24, v3
	s_andn2_b64 exec, exec, s[94:95]
	s_cbranch_execz .LBB10_520
.LBB10_488:                             ;   Parent Loop BB10_47 Depth=1
                                        ;     Parent Loop BB10_269 Depth=2
                                        ;       Parent Loop BB10_272 Depth=3
                                        ; =>      This Inner Loop Header: Depth=4
	global_load_dwordx4 v[8:11], v[16:17], off glc slc
	global_load_dwordx4 v[12:15], v[0:1], off glc slc
                                        ; implicit-def: $vgpr26
	s_waitcnt vmcnt(1)
	v_lshlrev_b32_e32 v3, 16, v8
	s_waitcnt vmcnt(0)
	v_lshlrev_b32_e32 v6, 16, v12
	v_max_f32_e32 v3, v3, v3
	v_max_f32_e32 v6, v6, v6
	v_min_f32_e32 v7, v6, v3
	v_max_f32_e32 v3, v6, v3
	v_cndmask_b32_e64 v7, v3, v7, s[28:29]
	v_and_b32_e32 v3, 0x7f800000, v7
	v_cmp_ne_u32_e64 s[40:41], s68, v3
	s_and_saveexec_b64 s[30:31], s[40:41]
	s_xor_b64 s[40:41], exec, s[30:31]
; %bb.489:                              ;   in Loop: Header=BB10_488 Depth=4
	v_bfe_u32 v3, v7, 16, 1
	v_add3_u32 v26, v7, v3, s69
                                        ; implicit-def: $vgpr7
; %bb.490:                              ;   in Loop: Header=BB10_488 Depth=4
	s_andn2_saveexec_b64 s[30:31], s[40:41]
; %bb.491:                              ;   in Loop: Header=BB10_488 Depth=4
	v_or_b32_e32 v3, 0x10000, v7
	v_cmp_eq_u32_sdwa s[40:41], v7, v2 src0_sel:WORD_0 src1_sel:DWORD
	v_cndmask_b32_e64 v26, v3, v7, s[40:41]
; %bb.492:                              ;   in Loop: Header=BB10_488 Depth=4
	s_or_b64 exec, exec, s[30:31]
	v_and_b32_e32 v3, 0xffff0000, v8
	v_and_b32_e32 v6, 0xffff0000, v12
	v_max_f32_e32 v3, v3, v3
	v_max_f32_e32 v6, v6, v6
	v_min_f32_e32 v7, v6, v3
	v_max_f32_e32 v3, v6, v3
	v_cndmask_b32_e64 v7, v3, v7, s[28:29]
	v_and_b32_e32 v3, 0x7f800000, v7
	v_cmp_ne_u32_e64 s[40:41], s68, v3
                                        ; implicit-def: $vgpr8
	s_and_saveexec_b64 s[30:31], s[40:41]
	s_xor_b64 s[40:41], exec, s[30:31]
; %bb.493:                              ;   in Loop: Header=BB10_488 Depth=4
	v_bfe_u32 v3, v7, 16, 1
	v_add3_u32 v8, v7, v3, s69
                                        ; implicit-def: $vgpr7
; %bb.494:                              ;   in Loop: Header=BB10_488 Depth=4
	s_andn2_saveexec_b64 s[30:31], s[40:41]
; %bb.495:                              ;   in Loop: Header=BB10_488 Depth=4
	v_or_b32_e32 v3, 0x10000, v7
	v_cmp_eq_u32_sdwa s[40:41], v7, v2 src0_sel:WORD_0 src1_sel:DWORD
	v_cndmask_b32_e64 v8, v3, v7, s[40:41]
; %bb.496:                              ;   in Loop: Header=BB10_488 Depth=4
	s_or_b64 exec, exec, s[30:31]
	v_lshlrev_b32_e32 v3, 16, v9
	v_lshlrev_b32_e32 v6, 16, v13
	v_max_f32_e32 v3, v3, v3
	v_max_f32_e32 v6, v6, v6
	v_min_f32_e32 v7, v6, v3
	v_max_f32_e32 v3, v6, v3
	v_cndmask_b32_e64 v7, v3, v7, s[28:29]
	v_and_b32_e32 v3, 0x7f800000, v7
	v_cmp_ne_u32_e64 s[40:41], s68, v3
                                        ; implicit-def: $vgpr12
	s_and_saveexec_b64 s[30:31], s[40:41]
	s_xor_b64 s[40:41], exec, s[30:31]
; %bb.497:                              ;   in Loop: Header=BB10_488 Depth=4
	v_bfe_u32 v3, v7, 16, 1
	v_add3_u32 v12, v7, v3, s69
                                        ; implicit-def: $vgpr7
; %bb.498:                              ;   in Loop: Header=BB10_488 Depth=4
	s_andn2_saveexec_b64 s[30:31], s[40:41]
; %bb.499:                              ;   in Loop: Header=BB10_488 Depth=4
	v_or_b32_e32 v3, 0x10000, v7
	v_cmp_eq_u32_sdwa s[40:41], v7, v2 src0_sel:WORD_0 src1_sel:DWORD
	v_cndmask_b32_e64 v12, v3, v7, s[40:41]
; %bb.500:                              ;   in Loop: Header=BB10_488 Depth=4
	s_or_b64 exec, exec, s[30:31]
	v_and_b32_e32 v3, 0xffff0000, v13
	v_and_b32_e32 v6, 0xffff0000, v9
	v_max_f32_e32 v6, v6, v6
	v_max_f32_e32 v3, v3, v3
	v_min_f32_e32 v7, v3, v6
	v_max_f32_e32 v3, v3, v6
	v_cndmask_b32_e64 v7, v3, v7, s[28:29]
	v_and_b32_e32 v3, 0x7f800000, v7
	v_cmp_ne_u32_e64 s[40:41], s68, v3
                                        ; implicit-def: $vgpr9
	s_and_saveexec_b64 s[30:31], s[40:41]
	s_xor_b64 s[40:41], exec, s[30:31]
; %bb.501:                              ;   in Loop: Header=BB10_488 Depth=4
	v_bfe_u32 v3, v7, 16, 1
	v_add3_u32 v9, v7, v3, s69
                                        ; implicit-def: $vgpr7
; %bb.502:                              ;   in Loop: Header=BB10_488 Depth=4
	s_andn2_saveexec_b64 s[30:31], s[40:41]
; %bb.503:                              ;   in Loop: Header=BB10_488 Depth=4
	v_or_b32_e32 v3, 0x10000, v7
	v_cmp_eq_u32_sdwa s[40:41], v7, v2 src0_sel:WORD_0 src1_sel:DWORD
	v_cndmask_b32_e64 v9, v3, v7, s[40:41]
; %bb.504:                              ;   in Loop: Header=BB10_488 Depth=4
	s_or_b64 exec, exec, s[30:31]
	v_lshlrev_b32_e32 v3, 16, v10
	v_lshlrev_b32_e32 v6, 16, v14
	v_max_f32_e32 v3, v3, v3
	v_max_f32_e32 v6, v6, v6
	v_min_f32_e32 v7, v6, v3
	v_max_f32_e32 v3, v6, v3
	v_cndmask_b32_e64 v7, v3, v7, s[28:29]
	v_and_b32_e32 v3, 0x7f800000, v7
	v_cmp_ne_u32_e64 s[40:41], s68, v3
                                        ; implicit-def: $vgpr13
	s_and_saveexec_b64 s[30:31], s[40:41]
	s_xor_b64 s[40:41], exec, s[30:31]
; %bb.505:                              ;   in Loop: Header=BB10_488 Depth=4
	v_bfe_u32 v3, v7, 16, 1
	v_add3_u32 v13, v7, v3, s69
                                        ; implicit-def: $vgpr7
; %bb.506:                              ;   in Loop: Header=BB10_488 Depth=4
	s_andn2_saveexec_b64 s[30:31], s[40:41]
; %bb.507:                              ;   in Loop: Header=BB10_488 Depth=4
	v_or_b32_e32 v3, 0x10000, v7
	v_cmp_eq_u32_sdwa s[40:41], v7, v2 src0_sel:WORD_0 src1_sel:DWORD
	v_cndmask_b32_e64 v13, v3, v7, s[40:41]
; %bb.508:                              ;   in Loop: Header=BB10_488 Depth=4
	s_or_b64 exec, exec, s[30:31]
	v_and_b32_e32 v3, 0xffff0000, v14
	v_and_b32_e32 v6, 0xffff0000, v10
	v_max_f32_e32 v6, v6, v6
	v_max_f32_e32 v3, v3, v3
	v_min_f32_e32 v7, v3, v6
	v_max_f32_e32 v3, v3, v6
	v_cndmask_b32_e64 v7, v3, v7, s[28:29]
	v_and_b32_e32 v3, 0x7f800000, v7
	v_cmp_ne_u32_e64 s[40:41], s68, v3
                                        ; implicit-def: $vgpr10
	s_and_saveexec_b64 s[30:31], s[40:41]
	s_xor_b64 s[40:41], exec, s[30:31]
; %bb.509:                              ;   in Loop: Header=BB10_488 Depth=4
	v_bfe_u32 v3, v7, 16, 1
	v_add3_u32 v10, v7, v3, s69
                                        ; implicit-def: $vgpr7
; %bb.510:                              ;   in Loop: Header=BB10_488 Depth=4
	s_andn2_saveexec_b64 s[30:31], s[40:41]
; %bb.511:                              ;   in Loop: Header=BB10_488 Depth=4
	v_or_b32_e32 v3, 0x10000, v7
	v_cmp_eq_u32_sdwa s[40:41], v7, v2 src0_sel:WORD_0 src1_sel:DWORD
	v_cndmask_b32_e64 v10, v3, v7, s[40:41]
; %bb.512:                              ;   in Loop: Header=BB10_488 Depth=4
	s_or_b64 exec, exec, s[30:31]
	v_lshlrev_b32_e32 v3, 16, v11
	v_lshlrev_b32_e32 v6, 16, v15
	v_max_f32_e32 v3, v3, v3
	v_max_f32_e32 v6, v6, v6
	v_min_f32_e32 v7, v6, v3
	v_max_f32_e32 v3, v6, v3
	v_cndmask_b32_e64 v7, v3, v7, s[28:29]
	v_and_b32_e32 v3, 0x7f800000, v7
	v_cmp_ne_u32_e64 s[40:41], s68, v3
                                        ; implicit-def: $vgpr14
	s_and_saveexec_b64 s[30:31], s[40:41]
	s_xor_b64 s[40:41], exec, s[30:31]
; %bb.513:                              ;   in Loop: Header=BB10_488 Depth=4
	v_bfe_u32 v3, v7, 16, 1
	v_add3_u32 v14, v7, v3, s69
                                        ; implicit-def: $vgpr7
; %bb.514:                              ;   in Loop: Header=BB10_488 Depth=4
	s_andn2_saveexec_b64 s[30:31], s[40:41]
; %bb.515:                              ;   in Loop: Header=BB10_488 Depth=4
	v_or_b32_e32 v3, 0x10000, v7
	v_cmp_eq_u32_sdwa s[40:41], v7, v2 src0_sel:WORD_0 src1_sel:DWORD
	v_cndmask_b32_e64 v14, v3, v7, s[40:41]
; %bb.516:                              ;   in Loop: Header=BB10_488 Depth=4
	s_or_b64 exec, exec, s[30:31]
	v_and_b32_e32 v3, 0xffff0000, v15
	v_and_b32_e32 v6, 0xffff0000, v11
	v_max_f32_e32 v6, v6, v6
	v_max_f32_e32 v3, v3, v3
	v_min_f32_e32 v7, v3, v6
	v_max_f32_e32 v3, v3, v6
	v_cndmask_b32_e64 v11, v3, v7, s[28:29]
	v_and_b32_e32 v3, 0x7f800000, v11
	v_cmp_ne_u32_e64 s[40:41], s68, v3
                                        ; implicit-def: $vgpr7
	s_and_saveexec_b64 s[30:31], s[40:41]
	s_xor_b64 s[40:41], exec, s[30:31]
; %bb.517:                              ;   in Loop: Header=BB10_488 Depth=4
	v_bfe_u32 v3, v11, 16, 1
	v_add3_u32 v7, v11, v3, s69
                                        ; implicit-def: $vgpr11
; %bb.518:                              ;   in Loop: Header=BB10_488 Depth=4
	s_andn2_saveexec_b64 s[30:31], s[40:41]
	s_cbranch_execz .LBB10_487
; %bb.519:                              ;   in Loop: Header=BB10_488 Depth=4
	v_or_b32_e32 v3, 0x10000, v11
	v_cmp_eq_u32_sdwa s[40:41], v11, v2 src0_sel:WORD_0 src1_sel:DWORD
	v_cndmask_b32_e64 v7, v3, v11, s[40:41]
	s_branch .LBB10_487
.LBB10_520:                             ;   in Loop: Header=BB10_272 Depth=3
	s_or_b64 exec, exec, s[94:95]
.LBB10_521:                             ;   in Loop: Header=BB10_272 Depth=3
	s_or_b64 exec, exec, s[92:93]
	v_and_b32_e32 v0, 14, v5
	v_sub_u32_e32 v1, v23, v0
	v_cndmask_b32_e32 v5, v23, v0, vcc
	buffer_load_dword v0, off, s[0:3], s33 offset:68 ; 4-byte Folded Reload
	v_cndmask_b32_e32 v1, 0, v1, vcc
	v_cmp_lt_i32_e32 vcc, 0, v24
	v_add3_u32 v12, v22, v20, v1
	s_waitcnt vmcnt(0)
	v_cndmask_b32_e32 v0, 0, v0, vcc
	v_sub_u32_e32 v0, v0, v24
	v_cmp_ne_u32_e32 vcc, 0, v5
	v_lshl_add_u32 v13, v0, 6, v21
	s_and_b64 s[28:29], vcc, exec
.LBB10_522:                             ;   in Loop: Header=BB10_272 Depth=3
	s_or_b64 exec, exec, s[90:91]
	s_and_saveexec_b64 s[40:41], s[28:29]
	s_cbranch_execz .LBB10_599
.LBB10_523:                             ;   in Loop: Header=BB10_272 Depth=3
	s_waitcnt vmcnt(0)
	v_ashrrev_i32_e32 v0, 31, v13
	v_ashrrev_i32_e32 v1, 31, v5
	v_lshrrev_b32_e32 v0, 26, v0
	v_lshrrev_b32_e32 v1, 21, v1
	v_add_u32_e32 v0, v13, v0
	v_add_u32_e32 v1, v5, v1
	v_ashrrev_i32_e32 v14, 6, v0
	v_ashrrev_i32_e32 v16, 11, v1
	v_sub_u32_e32 v15, v16, v14
	v_cmp_lt_i32_e32 vcc, 0, v15
	s_and_saveexec_b64 s[90:91], vcc
	s_cbranch_execz .LBB10_591
; %bb.524:                              ;   in Loop: Header=BB10_272 Depth=3
	v_and_b32_e32 v0, 0x7fffffc0, v0
	v_sub_u32_e32 v0, v13, v0
	v_lshlrev_b32_e32 v0, 1, v0
	s_trap 2
	ds_read_b64 v[8:9], v0
	v_lshlrev_b32_e32 v1, 11, v14
	v_add3_u32 v3, v0, v12, v1
	v_ashrrev_i32_e32 v6, 31, v3
	v_add_co_u32_e32 v0, vcc, v3, v60
	v_addc_co_u32_e32 v1, vcc, v6, v61, vcc
	s_waitcnt lgkmcnt(0)
	v_add_co_u32_e32 v8, vcc, v8, v3
	v_addc_co_u32_e32 v9, vcc, v9, v6, vcc
	v_add_co_u32_e32 v7, vcc, 0x780, v52
	s_and_b32 s58, s34, 1
	v_addc_co_u32_e32 v11, vcc, 0, v53, vcc
	s_cmp_eq_u64 s[58:59], 0
	v_add_co_u32_e32 v10, vcc, v7, v3
	s_mov_b64 s[92:93], 0
	s_cselect_b64 s[28:29], -1, 0
	v_addc_co_u32_e32 v11, vcc, v11, v6, vcc
	s_branch .LBB10_526
.LBB10_525:                             ;   in Loop: Header=BB10_526 Depth=4
	s_or_b64 exec, exec, s[94:95]
	v_add_co_u32_e32 v48, vcc, 0xfffff880, v10
	v_addc_co_u32_e32 v49, vcc, -1, v11, vcc
	flat_store_short_d16_hi v[48:49], v18 glc slc
	v_add_co_u32_e32 v48, vcc, 0xfffff900, v10
	v_addc_co_u32_e32 v49, vcc, -1, v11, vcc
	v_add_co_u32_e32 v20, vcc, 0xfffff980, v10
	flat_store_short_d16_hi v[48:49], v21 glc slc
	v_addc_co_u32_e32 v21, vcc, -1, v11, vcc
	flat_store_short_d16_hi v[20:21], v22 glc slc
	v_add_co_u32_e32 v20, vcc, 0xfffffa00, v10
	v_addc_co_u32_e32 v21, vcc, -1, v11, vcc
	flat_store_short_d16_hi v[20:21], v25 glc slc
	v_add_co_u32_e32 v20, vcc, 0xfffffa80, v10
	;; [unrolled: 3-line block ×12, first 2 shown]
	v_addc_co_u32_e32 v21, vcc, -1, v11, vcc
	flat_store_short_d16_hi v[20:21], v19 glc slc
	flat_store_short_d16_hi v[10:11], v17 glc slc
	buffer_load_dword v6, off, s[0:3], s33 offset:76 ; 4-byte Folded Reload
	buffer_load_dword v3, off, s[0:3], s33 offset:68 ; 4-byte Folded Reload
	s_waitcnt vmcnt(0)
	v_add_co_u32_e32 v0, vcc, v0, v6
	v_addc_co_u32_e32 v1, vcc, 0, v1, vcc
	v_add_co_u32_e32 v8, vcc, v8, v6
	v_addc_co_u32_e32 v9, vcc, 0, v9, vcc
	v_sub_u32_e32 v15, v15, v3
	v_cmp_gt_i32_e32 vcc, 1, v15
	s_or_b64 s[92:93], vcc, s[92:93]
	v_add_co_u32_e32 v10, vcc, v10, v6
	v_addc_co_u32_e32 v11, vcc, 0, v11, vcc
	s_andn2_b64 exec, exec, s[92:93]
	s_cbranch_execz .LBB10_590
.LBB10_526:                             ;   Parent Loop BB10_47 Depth=1
                                        ;     Parent Loop BB10_269 Depth=2
                                        ;       Parent Loop BB10_272 Depth=3
                                        ; =>      This Inner Loop Header: Depth=4
	flat_load_ushort v39, v[0:1] offset:1024 glc slc
	flat_load_ushort v37, v[0:1] offset:1152 glc slc
	;; [unrolled: 1-line block ×15, first 2 shown]
	flat_load_ushort v3, v[0:1] glc slc
	flat_load_ushort v7, v[8:9] offset:128 glc slc
	flat_load_ushort v59, v[8:9] offset:256 glc slc
	;; [unrolled: 1-line block ×7, first 2 shown]
	flat_load_ushort v6, v[8:9] glc slc
	flat_load_ushort v49, v[8:9] offset:1024 glc slc
	flat_load_ushort v48, v[8:9] offset:1152 glc slc
	;; [unrolled: 1-line block ×8, first 2 shown]
	s_waitcnt vmcnt(0) lgkmcnt(0)
	v_lshlrev_b32_e32 v3, 16, v3
	v_max_f32_e32 v3, v3, v3
	v_lshlrev_b32_e32 v6, 16, v6
	v_max_f32_e32 v6, v6, v6
	v_min_f32_e32 v18, v3, v6
	v_max_f32_e32 v3, v3, v6
	v_cndmask_b32_e64 v3, v3, v18, s[28:29]
	v_and_b32_e32 v6, 0x7f800000, v3
	v_cmp_ne_u32_e32 vcc, s68, v6
                                        ; implicit-def: $vgpr18
	s_and_saveexec_b64 s[94:95], vcc
	s_xor_b64 s[94:95], exec, s[94:95]
; %bb.527:                              ;   in Loop: Header=BB10_526 Depth=4
	v_bfe_u32 v6, v3, 16, 1
	v_add3_u32 v18, v3, v6, s69
                                        ; implicit-def: $vgpr3
; %bb.528:                              ;   in Loop: Header=BB10_526 Depth=4
	s_andn2_saveexec_b64 s[94:95], s[94:95]
; %bb.529:                              ;   in Loop: Header=BB10_526 Depth=4
	v_or_b32_e32 v6, 0x10000, v3
	v_cmp_eq_u32_sdwa vcc, v3, v2 src0_sel:WORD_0 src1_sel:DWORD
	v_cndmask_b32_e32 v18, v6, v3, vcc
; %bb.530:                              ;   in Loop: Header=BB10_526 Depth=4
	s_or_b64 exec, exec, s[94:95]
	v_lshlrev_b32_e32 v3, 16, v21
	v_lshlrev_b32_e32 v6, 16, v7
	v_max_f32_e32 v6, v6, v6
	v_max_f32_e32 v3, v3, v3
	v_min_f32_e32 v7, v3, v6
	v_max_f32_e32 v3, v3, v6
	v_cndmask_b32_e64 v3, v3, v7, s[28:29]
	v_and_b32_e32 v6, 0x7f800000, v3
	v_cmp_ne_u32_e32 vcc, s68, v6
                                        ; implicit-def: $vgpr21
	s_and_saveexec_b64 s[94:95], vcc
	s_xor_b64 s[94:95], exec, s[94:95]
; %bb.531:                              ;   in Loop: Header=BB10_526 Depth=4
	v_bfe_u32 v6, v3, 16, 1
	v_add3_u32 v21, v3, v6, s69
                                        ; implicit-def: $vgpr3
; %bb.532:                              ;   in Loop: Header=BB10_526 Depth=4
	s_andn2_saveexec_b64 s[94:95], s[94:95]
; %bb.533:                              ;   in Loop: Header=BB10_526 Depth=4
	v_or_b32_e32 v6, 0x10000, v3
	v_cmp_eq_u32_sdwa vcc, v3, v2 src0_sel:WORD_0 src1_sel:DWORD
	v_cndmask_b32_e32 v21, v6, v3, vcc
; %bb.534:                              ;   in Loop: Header=BB10_526 Depth=4
	s_or_b64 exec, exec, s[94:95]
	v_lshlrev_b32_e32 v3, 16, v22
	v_lshlrev_b32_e32 v6, 16, v59
	v_max_f32_e32 v6, v6, v6
	v_max_f32_e32 v3, v3, v3
	v_min_f32_e32 v7, v3, v6
	v_max_f32_e32 v3, v3, v6
	v_cndmask_b32_e64 v3, v3, v7, s[28:29]
	v_and_b32_e32 v6, 0x7f800000, v3
	v_cmp_ne_u32_e32 vcc, s68, v6
                                        ; implicit-def: $vgpr22
	s_and_saveexec_b64 s[94:95], vcc
	s_xor_b64 s[94:95], exec, s[94:95]
; %bb.535:                              ;   in Loop: Header=BB10_526 Depth=4
	v_bfe_u32 v6, v3, 16, 1
	v_add3_u32 v22, v3, v6, s69
                                        ; implicit-def: $vgpr3
; %bb.536:                              ;   in Loop: Header=BB10_526 Depth=4
	s_andn2_saveexec_b64 s[94:95], s[94:95]
; %bb.537:                              ;   in Loop: Header=BB10_526 Depth=4
	v_or_b32_e32 v6, 0x10000, v3
	v_cmp_eq_u32_sdwa vcc, v3, v2 src0_sel:WORD_0 src1_sel:DWORD
	v_cndmask_b32_e32 v22, v6, v3, vcc
; %bb.538:                              ;   in Loop: Header=BB10_526 Depth=4
	s_or_b64 exec, exec, s[94:95]
	v_lshlrev_b32_e32 v3, 16, v25
	v_lshlrev_b32_e32 v6, 16, v45
	v_max_f32_e32 v6, v6, v6
	v_max_f32_e32 v3, v3, v3
	v_min_f32_e32 v7, v3, v6
	v_max_f32_e32 v3, v3, v6
	v_cndmask_b32_e64 v3, v3, v7, s[28:29]
	v_and_b32_e32 v6, 0x7f800000, v3
	v_cmp_ne_u32_e32 vcc, s68, v6
                                        ; implicit-def: $vgpr25
	s_and_saveexec_b64 s[94:95], vcc
	s_xor_b64 s[94:95], exec, s[94:95]
; %bb.539:                              ;   in Loop: Header=BB10_526 Depth=4
	v_bfe_u32 v6, v3, 16, 1
	v_add3_u32 v25, v3, v6, s69
                                        ; implicit-def: $vgpr3
; %bb.540:                              ;   in Loop: Header=BB10_526 Depth=4
	s_andn2_saveexec_b64 s[94:95], s[94:95]
; %bb.541:                              ;   in Loop: Header=BB10_526 Depth=4
	v_or_b32_e32 v6, 0x10000, v3
	v_cmp_eq_u32_sdwa vcc, v3, v2 src0_sel:WORD_0 src1_sel:DWORD
	v_cndmask_b32_e32 v25, v6, v3, vcc
; %bb.542:                              ;   in Loop: Header=BB10_526 Depth=4
	s_or_b64 exec, exec, s[94:95]
	v_lshlrev_b32_e32 v3, 16, v28
	v_lshlrev_b32_e32 v6, 16, v44
	v_max_f32_e32 v6, v6, v6
	v_max_f32_e32 v3, v3, v3
	v_min_f32_e32 v7, v3, v6
	v_max_f32_e32 v3, v3, v6
	v_cndmask_b32_e64 v3, v3, v7, s[28:29]
	v_and_b32_e32 v6, 0x7f800000, v3
	v_cmp_ne_u32_e32 vcc, s68, v6
                                        ; implicit-def: $vgpr28
	s_and_saveexec_b64 s[94:95], vcc
	s_xor_b64 s[94:95], exec, s[94:95]
; %bb.543:                              ;   in Loop: Header=BB10_526 Depth=4
	v_bfe_u32 v6, v3, 16, 1
	v_add3_u32 v28, v3, v6, s69
                                        ; implicit-def: $vgpr3
; %bb.544:                              ;   in Loop: Header=BB10_526 Depth=4
	s_andn2_saveexec_b64 s[94:95], s[94:95]
; %bb.545:                              ;   in Loop: Header=BB10_526 Depth=4
	v_or_b32_e32 v6, 0x10000, v3
	v_cmp_eq_u32_sdwa vcc, v3, v2 src0_sel:WORD_0 src1_sel:DWORD
	v_cndmask_b32_e32 v28, v6, v3, vcc
; %bb.546:                              ;   in Loop: Header=BB10_526 Depth=4
	s_or_b64 exec, exec, s[94:95]
	v_lshlrev_b32_e32 v3, 16, v32
	v_lshlrev_b32_e32 v6, 16, v43
	v_max_f32_e32 v6, v6, v6
	v_max_f32_e32 v3, v3, v3
	v_min_f32_e32 v7, v3, v6
	v_max_f32_e32 v3, v3, v6
	v_cndmask_b32_e64 v3, v3, v7, s[28:29]
	v_and_b32_e32 v6, 0x7f800000, v3
	v_cmp_ne_u32_e32 vcc, s68, v6
                                        ; implicit-def: $vgpr32
	s_and_saveexec_b64 s[94:95], vcc
	s_xor_b64 s[94:95], exec, s[94:95]
; %bb.547:                              ;   in Loop: Header=BB10_526 Depth=4
	v_bfe_u32 v6, v3, 16, 1
	v_add3_u32 v32, v3, v6, s69
                                        ; implicit-def: $vgpr3
; %bb.548:                              ;   in Loop: Header=BB10_526 Depth=4
	s_andn2_saveexec_b64 s[94:95], s[94:95]
; %bb.549:                              ;   in Loop: Header=BB10_526 Depth=4
	v_or_b32_e32 v6, 0x10000, v3
	v_cmp_eq_u32_sdwa vcc, v3, v2 src0_sel:WORD_0 src1_sel:DWORD
	v_cndmask_b32_e32 v32, v6, v3, vcc
; %bb.550:                              ;   in Loop: Header=BB10_526 Depth=4
	s_or_b64 exec, exec, s[94:95]
	v_lshlrev_b32_e32 v3, 16, v35
	v_lshlrev_b32_e32 v6, 16, v51
	v_max_f32_e32 v6, v6, v6
	v_max_f32_e32 v3, v3, v3
	v_min_f32_e32 v7, v3, v6
	v_max_f32_e32 v3, v3, v6
	v_cndmask_b32_e64 v3, v3, v7, s[28:29]
	v_and_b32_e32 v6, 0x7f800000, v3
	v_cmp_ne_u32_e32 vcc, s68, v6
                                        ; implicit-def: $vgpr35
	s_and_saveexec_b64 s[94:95], vcc
	s_xor_b64 s[94:95], exec, s[94:95]
; %bb.551:                              ;   in Loop: Header=BB10_526 Depth=4
	v_bfe_u32 v6, v3, 16, 1
	v_add3_u32 v35, v3, v6, s69
                                        ; implicit-def: $vgpr3
; %bb.552:                              ;   in Loop: Header=BB10_526 Depth=4
	s_andn2_saveexec_b64 s[94:95], s[94:95]
; %bb.553:                              ;   in Loop: Header=BB10_526 Depth=4
	v_or_b32_e32 v6, 0x10000, v3
	v_cmp_eq_u32_sdwa vcc, v3, v2 src0_sel:WORD_0 src1_sel:DWORD
	v_cndmask_b32_e32 v35, v6, v3, vcc
; %bb.554:                              ;   in Loop: Header=BB10_526 Depth=4
	s_or_b64 exec, exec, s[94:95]
	v_lshlrev_b32_e32 v3, 16, v36
	v_lshlrev_b32_e32 v6, 16, v50
	v_max_f32_e32 v6, v6, v6
	v_max_f32_e32 v3, v3, v3
	v_min_f32_e32 v7, v3, v6
	v_max_f32_e32 v3, v3, v6
	v_cndmask_b32_e64 v3, v3, v7, s[28:29]
	v_and_b32_e32 v6, 0x7f800000, v3
	v_cmp_ne_u32_e32 vcc, s68, v6
                                        ; implicit-def: $vgpr36
	s_and_saveexec_b64 s[94:95], vcc
	s_xor_b64 s[94:95], exec, s[94:95]
; %bb.555:                              ;   in Loop: Header=BB10_526 Depth=4
	v_bfe_u32 v6, v3, 16, 1
	v_add3_u32 v36, v3, v6, s69
                                        ; implicit-def: $vgpr3
; %bb.556:                              ;   in Loop: Header=BB10_526 Depth=4
	s_andn2_saveexec_b64 s[94:95], s[94:95]
; %bb.557:                              ;   in Loop: Header=BB10_526 Depth=4
	v_or_b32_e32 v6, 0x10000, v3
	v_cmp_eq_u32_sdwa vcc, v3, v2 src0_sel:WORD_0 src1_sel:DWORD
	v_cndmask_b32_e32 v36, v6, v3, vcc
; %bb.558:                              ;   in Loop: Header=BB10_526 Depth=4
	s_or_b64 exec, exec, s[94:95]
	v_lshlrev_b32_e32 v3, 16, v39
	v_lshlrev_b32_e32 v6, 16, v49
	v_max_f32_e32 v6, v6, v6
	v_max_f32_e32 v3, v3, v3
	v_min_f32_e32 v7, v3, v6
	v_max_f32_e32 v3, v3, v6
	v_cndmask_b32_e64 v3, v3, v7, s[28:29]
	v_and_b32_e32 v6, 0x7f800000, v3
	v_cmp_ne_u32_e32 vcc, s68, v6
                                        ; implicit-def: $vgpr39
	s_and_saveexec_b64 s[94:95], vcc
	s_xor_b64 s[94:95], exec, s[94:95]
; %bb.559:                              ;   in Loop: Header=BB10_526 Depth=4
	v_bfe_u32 v6, v3, 16, 1
	v_add3_u32 v39, v3, v6, s69
                                        ; implicit-def: $vgpr3
; %bb.560:                              ;   in Loop: Header=BB10_526 Depth=4
	s_andn2_saveexec_b64 s[94:95], s[94:95]
; %bb.561:                              ;   in Loop: Header=BB10_526 Depth=4
	v_or_b32_e32 v6, 0x10000, v3
	v_cmp_eq_u32_sdwa vcc, v3, v2 src0_sel:WORD_0 src1_sel:DWORD
	v_cndmask_b32_e32 v39, v6, v3, vcc
; %bb.562:                              ;   in Loop: Header=BB10_526 Depth=4
	s_or_b64 exec, exec, s[94:95]
	v_lshlrev_b32_e32 v3, 16, v37
	v_lshlrev_b32_e32 v6, 16, v48
	v_max_f32_e32 v6, v6, v6
	v_max_f32_e32 v3, v3, v3
	v_min_f32_e32 v7, v3, v6
	v_max_f32_e32 v3, v3, v6
	v_cndmask_b32_e64 v3, v3, v7, s[28:29]
	v_and_b32_e32 v6, 0x7f800000, v3
	v_cmp_ne_u32_e32 vcc, s68, v6
                                        ; implicit-def: $vgpr37
	s_and_saveexec_b64 s[94:95], vcc
	s_xor_b64 s[94:95], exec, s[94:95]
; %bb.563:                              ;   in Loop: Header=BB10_526 Depth=4
	v_bfe_u32 v6, v3, 16, 1
	v_add3_u32 v37, v3, v6, s69
                                        ; implicit-def: $vgpr3
; %bb.564:                              ;   in Loop: Header=BB10_526 Depth=4
	s_andn2_saveexec_b64 s[94:95], s[94:95]
; %bb.565:                              ;   in Loop: Header=BB10_526 Depth=4
	v_or_b32_e32 v6, 0x10000, v3
	v_cmp_eq_u32_sdwa vcc, v3, v2 src0_sel:WORD_0 src1_sel:DWORD
	v_cndmask_b32_e32 v37, v6, v3, vcc
; %bb.566:                              ;   in Loop: Header=BB10_526 Depth=4
	s_or_b64 exec, exec, s[94:95]
	v_lshlrev_b32_e32 v3, 16, v33
	v_lshlrev_b32_e32 v6, 16, v38
	v_max_f32_e32 v6, v6, v6
	v_max_f32_e32 v3, v3, v3
	v_min_f32_e32 v7, v3, v6
	v_max_f32_e32 v3, v3, v6
	v_cndmask_b32_e64 v3, v3, v7, s[28:29]
	v_and_b32_e32 v6, 0x7f800000, v3
	v_cmp_ne_u32_e32 vcc, s68, v6
                                        ; implicit-def: $vgpr33
	s_and_saveexec_b64 s[94:95], vcc
	s_xor_b64 s[94:95], exec, s[94:95]
; %bb.567:                              ;   in Loop: Header=BB10_526 Depth=4
	v_bfe_u32 v6, v3, 16, 1
	v_add3_u32 v33, v3, v6, s69
                                        ; implicit-def: $vgpr3
; %bb.568:                              ;   in Loop: Header=BB10_526 Depth=4
	s_andn2_saveexec_b64 s[94:95], s[94:95]
; %bb.569:                              ;   in Loop: Header=BB10_526 Depth=4
	v_or_b32_e32 v6, 0x10000, v3
	v_cmp_eq_u32_sdwa vcc, v3, v2 src0_sel:WORD_0 src1_sel:DWORD
	v_cndmask_b32_e32 v33, v6, v3, vcc
; %bb.570:                              ;   in Loop: Header=BB10_526 Depth=4
	s_or_b64 exec, exec, s[94:95]
	v_lshlrev_b32_e32 v3, 16, v29
	v_lshlrev_b32_e32 v6, 16, v34
	v_max_f32_e32 v6, v6, v6
	v_max_f32_e32 v3, v3, v3
	v_min_f32_e32 v7, v3, v6
	v_max_f32_e32 v3, v3, v6
	v_cndmask_b32_e64 v3, v3, v7, s[28:29]
	v_and_b32_e32 v6, 0x7f800000, v3
	v_cmp_ne_u32_e32 vcc, s68, v6
                                        ; implicit-def: $vgpr29
	s_and_saveexec_b64 s[94:95], vcc
	s_xor_b64 s[94:95], exec, s[94:95]
; %bb.571:                              ;   in Loop: Header=BB10_526 Depth=4
	v_bfe_u32 v6, v3, 16, 1
	v_add3_u32 v29, v3, v6, s69
                                        ; implicit-def: $vgpr3
; %bb.572:                              ;   in Loop: Header=BB10_526 Depth=4
	s_andn2_saveexec_b64 s[94:95], s[94:95]
; %bb.573:                              ;   in Loop: Header=BB10_526 Depth=4
	v_or_b32_e32 v6, 0x10000, v3
	v_cmp_eq_u32_sdwa vcc, v3, v2 src0_sel:WORD_0 src1_sel:DWORD
	v_cndmask_b32_e32 v29, v6, v3, vcc
; %bb.574:                              ;   in Loop: Header=BB10_526 Depth=4
	s_or_b64 exec, exec, s[94:95]
	v_lshlrev_b32_e32 v3, 16, v26
	v_lshlrev_b32_e32 v6, 16, v31
	v_max_f32_e32 v6, v6, v6
	v_max_f32_e32 v3, v3, v3
	v_min_f32_e32 v7, v3, v6
	v_max_f32_e32 v3, v3, v6
	v_cndmask_b32_e64 v3, v3, v7, s[28:29]
	v_and_b32_e32 v6, 0x7f800000, v3
	v_cmp_ne_u32_e32 vcc, s68, v6
                                        ; implicit-def: $vgpr26
	s_and_saveexec_b64 s[94:95], vcc
	s_xor_b64 s[94:95], exec, s[94:95]
; %bb.575:                              ;   in Loop: Header=BB10_526 Depth=4
	v_bfe_u32 v6, v3, 16, 1
	v_add3_u32 v26, v3, v6, s69
                                        ; implicit-def: $vgpr3
; %bb.576:                              ;   in Loop: Header=BB10_526 Depth=4
	s_andn2_saveexec_b64 s[94:95], s[94:95]
; %bb.577:                              ;   in Loop: Header=BB10_526 Depth=4
	v_or_b32_e32 v6, 0x10000, v3
	v_cmp_eq_u32_sdwa vcc, v3, v2 src0_sel:WORD_0 src1_sel:DWORD
	v_cndmask_b32_e32 v26, v6, v3, vcc
; %bb.578:                              ;   in Loop: Header=BB10_526 Depth=4
	s_or_b64 exec, exec, s[94:95]
	v_lshlrev_b32_e32 v3, 16, v23
	v_lshlrev_b32_e32 v6, 16, v27
	v_max_f32_e32 v6, v6, v6
	v_max_f32_e32 v3, v3, v3
	v_min_f32_e32 v7, v3, v6
	v_max_f32_e32 v3, v3, v6
	v_cndmask_b32_e64 v3, v3, v7, s[28:29]
	v_and_b32_e32 v6, 0x7f800000, v3
	v_cmp_ne_u32_e32 vcc, s68, v6
                                        ; implicit-def: $vgpr23
	s_and_saveexec_b64 s[94:95], vcc
	s_xor_b64 s[94:95], exec, s[94:95]
; %bb.579:                              ;   in Loop: Header=BB10_526 Depth=4
	v_bfe_u32 v6, v3, 16, 1
	v_add3_u32 v23, v3, v6, s69
                                        ; implicit-def: $vgpr3
; %bb.580:                              ;   in Loop: Header=BB10_526 Depth=4
	s_andn2_saveexec_b64 s[94:95], s[94:95]
; %bb.581:                              ;   in Loop: Header=BB10_526 Depth=4
	v_or_b32_e32 v6, 0x10000, v3
	v_cmp_eq_u32_sdwa vcc, v3, v2 src0_sel:WORD_0 src1_sel:DWORD
	v_cndmask_b32_e32 v23, v6, v3, vcc
; %bb.582:                              ;   in Loop: Header=BB10_526 Depth=4
	s_or_b64 exec, exec, s[94:95]
	v_lshlrev_b32_e32 v3, 16, v19
	v_lshlrev_b32_e32 v6, 16, v24
	v_max_f32_e32 v6, v6, v6
	v_max_f32_e32 v3, v3, v3
	v_min_f32_e32 v7, v3, v6
	v_max_f32_e32 v3, v3, v6
	v_cndmask_b32_e64 v3, v3, v7, s[28:29]
	v_and_b32_e32 v6, 0x7f800000, v3
	v_cmp_ne_u32_e32 vcc, s68, v6
                                        ; implicit-def: $vgpr19
	s_and_saveexec_b64 s[94:95], vcc
	s_xor_b64 s[94:95], exec, s[94:95]
; %bb.583:                              ;   in Loop: Header=BB10_526 Depth=4
	v_bfe_u32 v6, v3, 16, 1
	v_add3_u32 v19, v3, v6, s69
                                        ; implicit-def: $vgpr3
; %bb.584:                              ;   in Loop: Header=BB10_526 Depth=4
	s_andn2_saveexec_b64 s[94:95], s[94:95]
; %bb.585:                              ;   in Loop: Header=BB10_526 Depth=4
	v_or_b32_e32 v6, 0x10000, v3
	v_cmp_eq_u32_sdwa vcc, v3, v2 src0_sel:WORD_0 src1_sel:DWORD
	v_cndmask_b32_e32 v19, v6, v3, vcc
; %bb.586:                              ;   in Loop: Header=BB10_526 Depth=4
	s_or_b64 exec, exec, s[94:95]
	v_lshlrev_b32_e32 v3, 16, v17
	v_lshlrev_b32_e32 v6, 16, v20
	v_max_f32_e32 v6, v6, v6
	v_max_f32_e32 v3, v3, v3
	v_min_f32_e32 v7, v3, v6
	v_max_f32_e32 v3, v3, v6
	v_cndmask_b32_e64 v3, v3, v7, s[28:29]
	v_and_b32_e32 v6, 0x7f800000, v3
	v_cmp_ne_u32_e32 vcc, s68, v6
                                        ; implicit-def: $vgpr17
	s_and_saveexec_b64 s[94:95], vcc
	s_xor_b64 s[94:95], exec, s[94:95]
; %bb.587:                              ;   in Loop: Header=BB10_526 Depth=4
	v_bfe_u32 v6, v3, 16, 1
	v_add3_u32 v17, v3, v6, s69
                                        ; implicit-def: $vgpr3
; %bb.588:                              ;   in Loop: Header=BB10_526 Depth=4
	s_andn2_saveexec_b64 s[94:95], s[94:95]
	s_cbranch_execz .LBB10_525
; %bb.589:                              ;   in Loop: Header=BB10_526 Depth=4
	v_or_b32_e32 v6, 0x10000, v3
	v_cmp_eq_u32_sdwa vcc, v3, v2 src0_sel:WORD_0 src1_sel:DWORD
	v_cndmask_b32_e32 v17, v6, v3, vcc
	s_branch .LBB10_525
.LBB10_590:                             ;   in Loop: Header=BB10_272 Depth=3
	s_or_b64 exec, exec, s[92:93]
	buffer_load_dword v42, off, s[0:3], s33 offset:168 ; 4-byte Folded Reload
	buffer_load_dword v43, off, s[0:3], s33 offset:172 ; 4-byte Folded Reload
	;; [unrolled: 1-line block ×5, first 2 shown]
.LBB10_591:                             ;   in Loop: Header=BB10_272 Depth=3
	s_or_b64 exec, exec, s[90:91]
	v_lshlrev_b32_e32 v0, 11, v16
	v_cmp_ne_u32_e32 vcc, v5, v0
	s_and_b64 exec, exec, vcc
	s_cbranch_execz .LBB10_599
; %bb.592:                              ;   in Loop: Header=BB10_272 Depth=3
	v_lshlrev_b32_e32 v1, 6, v14
	v_sub_u32_e32 v1, v13, v1
	v_lshlrev_b32_e32 v3, 6, v15
	v_sub_u32_e32 v1, v1, v3
	v_ashrrev_i32_e32 v3, 31, v1
	v_lshrrev_b32_e32 v3, 26, v3
	v_add_u32_e32 v3, v1, v3
	v_and_b32_e32 v6, 0x7fffffc0, v3
	v_sub_u32_e32 v1, v1, v6
	v_lshlrev_b32_e32 v3, 1, v3
	v_and_b32_e32 v3, 0xffffff80, v3
	v_lshlrev_b32_e32 v1, 1, v1
	v_add3_u32 v0, v3, v1, v0
	v_sub_u32_e32 v5, v5, v0
	v_cmp_lt_i32_e32 vcc, 1, v5
	s_and_b64 exec, exec, vcc
	s_cbranch_execz .LBB10_599
; %bb.593:                              ;   in Loop: Header=BB10_272 Depth=3
	s_trap 2
	ds_read_b64 v[8:9], v0
	v_add_u32_e32 v3, v0, v12
	v_ashrrev_i32_e32 v6, 31, v3
	v_add_co_u32_e32 v0, vcc, v3, v60
	v_addc_co_u32_e32 v1, vcc, v6, v61, vcc
	s_waitcnt lgkmcnt(0)
	v_add_co_u32_e32 v8, vcc, v8, v3
	v_addc_co_u32_e32 v9, vcc, v9, v6, vcc
	v_add_co_u32_e32 v10, vcc, v3, v52
	s_and_b32 s58, s34, 1
	v_addc_co_u32_e32 v11, vcc, v6, v53, vcc
	s_cmp_eq_u64 s[58:59], 0
	s_mov_b64 s[90:91], 0
	s_cselect_b64 vcc, -1, 0
	s_branch .LBB10_595
.LBB10_594:                             ;   in Loop: Header=BB10_595 Depth=4
	s_or_b64 exec, exec, s[92:93]
	s_waitcnt vmcnt(0)
	v_add_co_u32_e64 v0, s[28:29], v0, v12
	v_addc_co_u32_e64 v1, s[28:29], 0, v1, s[28:29]
	v_add_co_u32_e64 v8, s[28:29], v8, v12
	v_addc_co_u32_e64 v9, s[28:29], 0, v9, s[28:29]
	v_sub_u32_e32 v5, v5, v12
	v_cmp_gt_i32_e64 s[28:29], 2, v5
	flat_store_short_d16_hi v[10:11], v7 glc slc
	s_or_b64 s[90:91], s[28:29], s[90:91]
	v_add_co_u32_e64 v10, s[28:29], v10, v12
	v_addc_co_u32_e64 v11, s[28:29], 0, v11, s[28:29]
	s_andn2_b64 exec, exec, s[90:91]
	s_cbranch_execz .LBB10_599
.LBB10_595:                             ;   Parent Loop BB10_47 Depth=1
                                        ;     Parent Loop BB10_269 Depth=2
                                        ;       Parent Loop BB10_272 Depth=3
                                        ; =>      This Inner Loop Header: Depth=4
	flat_load_ushort v3, v[8:9] glc slc
	flat_load_ushort v6, v[0:1] glc slc
	s_waitcnt vmcnt(0) lgkmcnt(0)
	v_lshlrev_b32_e32 v3, 16, v3
	v_lshlrev_b32_e32 v6, 16, v6
	v_max_f32_e32 v3, v3, v3
	v_max_f32_e32 v6, v6, v6
	v_min_f32_e32 v7, v6, v3
	v_max_f32_e32 v3, v6, v3
	v_cndmask_b32_e32 v3, v3, v7, vcc
	v_and_b32_e32 v6, 0x7f800000, v3
	v_cmp_ne_u32_e64 s[28:29], s68, v6
                                        ; implicit-def: $vgpr7
	s_and_saveexec_b64 s[92:93], s[28:29]
	s_xor_b64 s[28:29], exec, s[92:93]
; %bb.596:                              ;   in Loop: Header=BB10_595 Depth=4
	v_bfe_u32 v6, v3, 16, 1
	v_add3_u32 v7, v3, v6, s69
                                        ; implicit-def: $vgpr3
; %bb.597:                              ;   in Loop: Header=BB10_595 Depth=4
	s_or_saveexec_b64 s[92:93], s[28:29]
	buffer_load_dword v12, off, s[0:3], s33 offset:80 ; 4-byte Folded Reload
	s_xor_b64 exec, exec, s[92:93]
	s_cbranch_execz .LBB10_594
; %bb.598:                              ;   in Loop: Header=BB10_595 Depth=4
	v_or_b32_e32 v6, 0x10000, v3
	v_cmp_eq_u32_sdwa s[28:29], v3, v2 src0_sel:WORD_0 src1_sel:DWORD
	v_cndmask_b32_e64 v7, v6, v3, s[28:29]
	s_branch .LBB10_594
.LBB10_599:                             ;   in Loop: Header=BB10_272 Depth=3
	s_or_b64 exec, exec, s[40:41]
	v_cmp_lt_i32_e64 s[28:29], 0, v54
	buffer_load_dword v53, off, s[0:3], s33 offset:80 ; 4-byte Folded Reload
	s_and_saveexec_b64 s[40:41], s[10:11]
	s_cbranch_execz .LBB10_347
.LBB10_600:                             ;   in Loop: Header=BB10_272 Depth=3
	s_and_saveexec_b64 s[90:91], s[60:61]
	s_xor_b64 s[90:91], exec, s[90:91]
	s_cbranch_execz .LBB10_615
; %bb.601:                              ;   in Loop: Header=BB10_272 Depth=3
	s_and_saveexec_b64 s[92:93], s[16:17]
	s_cbranch_execz .LBB10_614
; %bb.602:                              ;   in Loop: Header=BB10_272 Depth=3
	s_mov_b64 s[30:31], exec
	v_mbcnt_lo_u32_b32 v0, s30, 0
	v_mbcnt_hi_u32_b32 v0, s31, v0
	v_cmp_eq_u32_e32 vcc, 0, v0
	s_waitcnt vmcnt(0) lgkmcnt(0)
	buffer_wbinvl1_vol
	s_and_saveexec_b64 s[94:95], vcc
	s_cbranch_execz .LBB10_604
; %bb.603:                              ;   in Loop: Header=BB10_272 Depth=3
	s_bcnt1_i32_b64 s58, s[30:31]
	v_mov_b32_e32 v0, s58
	v_mov_b32_e32 v1, v2
	ds_add_u64 v0, v[0:1]
	s_trap 2
.LBB10_604:                             ;   in Loop: Header=BB10_272 Depth=3
	s_or_b64 exec, exec, s[94:95]
	s_trap 2
	ds_read_b64 v[0:1], v0
	s_waitcnt lgkmcnt(0)
	buffer_load_dword v3, off, s[0:3], s33 offset:68 ; 4-byte Folded Reload
	s_waitcnt vmcnt(0)
	v_add_co_u32_e32 v46, vcc, v46, v3
	v_addc_co_u32_e32 v47, vcc, 0, v47, vcc
	v_cmp_lt_u64_e32 vcc, v[0:1], v[46:47]
	s_and_saveexec_b64 s[94:95], vcc
	s_cbranch_execz .LBB10_613
; %bb.605:                              ;   in Loop: Header=BB10_272 Depth=3
	s_mov_b32 s58, 0
	s_mov_b64 s[30:31], 0
                                        ; implicit-def: $sgpr34_sgpr35
                                        ; implicit-def: $sgpr36_sgpr37
	s_branch .LBB10_607
.LBB10_606:                             ;   in Loop: Header=BB10_607 Depth=4
	s_or_b64 exec, exec, s[48:49]
	s_and_b64 vcc, exec, vcc
	s_or_b64 s[30:31], vcc, s[30:31]
	s_andn2_b64 vcc, s[34:35], exec
	s_and_b64 s[34:35], s[36:37], exec
	s_or_b64 s[34:35], vcc, s[34:35]
	s_andn2_b64 exec, exec, s[30:31]
	s_cbranch_execz .LBB10_611
.LBB10_607:                             ;   Parent Loop BB10_47 Depth=1
                                        ;     Parent Loop BB10_269 Depth=2
                                        ;       Parent Loop BB10_272 Depth=3
                                        ; =>      This Inner Loop Header: Depth=4
	s_add_i32 s58, s58, 1
	s_cmpk_lg_i32 s58, 0x2710
	s_cselect_b64 s[38:39], -1, 0
	s_and_b64 vcc, exec, s[38:39]
	s_cbranch_vccz .LBB10_609
; %bb.608:                              ;   in Loop: Header=BB10_607 Depth=4
	s_mov_b64 vcc, -1
	s_or_b64 s[36:37], s[36:37], exec
	s_and_saveexec_b64 s[48:49], s[38:39]
	s_cbranch_execz .LBB10_606
	s_branch .LBB10_610
.LBB10_609:                             ;   in Loop: Header=BB10_607 Depth=4
	s_trap 2
	ds_read_b64 v[0:1], v0
	s_andn2_b64 s[38:39], s[38:39], exec
	s_mov_b32 s58, 0
	s_waitcnt lgkmcnt(0)
	flat_load_dword v0, v[0:1] glc
	s_waitcnt vmcnt(0) lgkmcnt(0)
	buffer_wbinvl1_vol
	v_cmp_eq_u32_e32 vcc, 0, v0
	s_and_b64 vcc, vcc, exec
	s_or_b64 s[38:39], s[38:39], vcc
	s_mov_b64 vcc, -1
	s_or_b64 s[36:37], s[36:37], exec
	s_and_saveexec_b64 s[48:49], s[38:39]
	s_cbranch_execz .LBB10_606
.LBB10_610:                             ;   in Loop: Header=BB10_607 Depth=4
	s_sleep 1
	s_trap 2
	ds_read_b64 v[0:1], v0
	s_waitcnt lgkmcnt(0)
	s_andn2_b64 s[36:37], s[36:37], exec
	v_cmp_ge_u64_e32 vcc, v[0:1], v[46:47]
	s_orn2_b64 vcc, vcc, exec
	s_branch .LBB10_606
.LBB10_611:                             ;   in Loop: Header=BB10_272 Depth=3
	s_or_b64 exec, exec, s[30:31]
	s_and_saveexec_b64 vcc, s[34:35]
	s_xor_b64 vcc, exec, vcc
	s_cbranch_execz .LBB10_613
; %bb.612:                              ;   in Loop: Header=BB10_272 Depth=3
	v_mov_b32_e32 v0, 1
	ds_write_b32 v0, v0
	s_trap 2
.LBB10_613:                             ;   in Loop: Header=BB10_272 Depth=3
	s_or_b64 exec, exec, s[94:95]
	;;#ASMSTART
	s_wakeup
	;;#ASMEND
.LBB10_614:                             ;   in Loop: Header=BB10_272 Depth=3
	s_or_b64 exec, exec, s[92:93]
.LBB10_615:                             ;   in Loop: Header=BB10_272 Depth=3
	s_andn2_saveexec_b64 s[90:91], s[90:91]
	s_cbranch_execz .LBB10_617
; %bb.616:                              ;   in Loop: Header=BB10_272 Depth=3
	s_waitcnt vmcnt(0) lgkmcnt(0)
	buffer_wbinvl1_vol
	s_barrier
.LBB10_617:                             ;   in Loop: Header=BB10_272 Depth=3
	s_or_b64 exec, exec, s[90:91]
	s_or_b64 exec, exec, s[40:41]
                                        ; implicit-def: $vgpr0
	s_and_saveexec_b64 s[40:41], s[24:25]
	s_xor_b64 s[40:41], exec, s[40:41]
	s_cbranch_execnz .LBB10_348
.LBB10_618:                             ;   in Loop: Header=BB10_272 Depth=3
	s_andn2_saveexec_b64 s[28:29], s[40:41]
	s_cbranch_execz .LBB10_637
.LBB10_619:                             ;   in Loop: Header=BB10_272 Depth=3
	s_and_saveexec_b64 s[40:41], s[60:61]
	s_xor_b64 s[40:41], exec, s[40:41]
	s_cbranch_execz .LBB10_634
; %bb.620:                              ;   in Loop: Header=BB10_272 Depth=3
	s_and_saveexec_b64 s[90:91], s[16:17]
	s_cbranch_execz .LBB10_633
; %bb.621:                              ;   in Loop: Header=BB10_272 Depth=3
	s_mov_b64 s[94:95], exec
	v_mbcnt_lo_u32_b32 v0, s94, 0
	v_mbcnt_hi_u32_b32 v0, s95, v0
	v_cmp_eq_u32_e32 vcc, 0, v0
	;;#ASMSTART
	s_waitcnt lgkmcnt(0) vmcnt(0)
	;;#ASMEND
	s_and_saveexec_b64 s[92:93], vcc
	s_cbranch_execz .LBB10_623
; %bb.622:                              ;   in Loop: Header=BB10_272 Depth=3
	s_bcnt1_i32_b64 s58, s[94:95]
	v_mov_b32_e32 v0, s58
	v_mov_b32_e32 v1, v2
	s_waitcnt lgkmcnt(0)
	ds_add_u64 v0, v[0:1]
	s_trap 2
.LBB10_623:                             ;   in Loop: Header=BB10_272 Depth=3
	s_or_b64 exec, exec, s[92:93]
	s_trap 2
	ds_read_b64 v[0:1], v0
	s_waitcnt lgkmcnt(0)
	buffer_load_dword v3, off, s[0:3], s33 offset:68 ; 4-byte Folded Reload
	s_waitcnt vmcnt(0)
	v_add_co_u32_e32 v46, vcc, v46, v3
	v_addc_co_u32_e32 v47, vcc, 0, v47, vcc
	v_cmp_lt_u64_e32 vcc, v[0:1], v[46:47]
	s_and_saveexec_b64 s[92:93], vcc
	s_cbranch_execz .LBB10_632
; %bb.624:                              ;   in Loop: Header=BB10_272 Depth=3
	s_mov_b32 s58, 0
	s_mov_b64 s[94:95], 0
                                        ; implicit-def: $sgpr30_sgpr31
                                        ; implicit-def: $sgpr34_sgpr35
	s_branch .LBB10_626
.LBB10_625:                             ;   in Loop: Header=BB10_626 Depth=4
	s_or_b64 exec, exec, s[38:39]
	s_and_b64 vcc, exec, vcc
	s_or_b64 s[94:95], vcc, s[94:95]
	s_andn2_b64 vcc, s[30:31], exec
	s_and_b64 s[30:31], s[34:35], exec
	s_or_b64 s[30:31], vcc, s[30:31]
	s_andn2_b64 exec, exec, s[94:95]
	s_cbranch_execz .LBB10_630
.LBB10_626:                             ;   Parent Loop BB10_47 Depth=1
                                        ;     Parent Loop BB10_269 Depth=2
                                        ;       Parent Loop BB10_272 Depth=3
                                        ; =>      This Inner Loop Header: Depth=4
	s_add_i32 s58, s58, 1
	s_cmpk_lg_i32 s58, 0x2710
	s_cselect_b64 s[36:37], -1, 0
	s_and_b64 vcc, exec, s[36:37]
	s_cbranch_vccz .LBB10_628
; %bb.627:                              ;   in Loop: Header=BB10_626 Depth=4
	s_mov_b64 vcc, -1
	s_or_b64 s[34:35], s[34:35], exec
	s_and_saveexec_b64 s[38:39], s[36:37]
	s_cbranch_execz .LBB10_625
	s_branch .LBB10_629
.LBB10_628:                             ;   in Loop: Header=BB10_626 Depth=4
	s_trap 2
	ds_read_b64 v[0:1], v0
	s_andn2_b64 s[36:37], s[36:37], exec
	s_mov_b32 s58, 0
	s_waitcnt lgkmcnt(0)
	flat_load_dword v0, v[0:1] glc
	s_waitcnt vmcnt(0) lgkmcnt(0)
	buffer_wbinvl1_vol
	v_cmp_eq_u32_e32 vcc, 0, v0
	s_and_b64 vcc, vcc, exec
	s_or_b64 s[36:37], s[36:37], vcc
	s_mov_b64 vcc, -1
	s_or_b64 s[34:35], s[34:35], exec
	s_and_saveexec_b64 s[38:39], s[36:37]
	s_cbranch_execz .LBB10_625
.LBB10_629:                             ;   in Loop: Header=BB10_626 Depth=4
	s_sleep 1
	s_trap 2
	ds_read_b64 v[0:1], v0
	s_waitcnt lgkmcnt(0)
	s_andn2_b64 s[34:35], s[34:35], exec
	v_cmp_ge_u64_e32 vcc, v[0:1], v[46:47]
	s_orn2_b64 vcc, vcc, exec
	s_branch .LBB10_625
.LBB10_630:                             ;   in Loop: Header=BB10_272 Depth=3
	s_or_b64 exec, exec, s[94:95]
	s_and_saveexec_b64 s[94:95], s[30:31]
	s_xor_b64 s[94:95], exec, s[94:95]
	s_cbranch_execz .LBB10_632
; %bb.631:                              ;   in Loop: Header=BB10_272 Depth=3
	v_mov_b32_e32 v0, 1
	ds_write_b32 v0, v0
	s_trap 2
.LBB10_632:                             ;   in Loop: Header=BB10_272 Depth=3
	s_or_b64 exec, exec, s[92:93]
	;;#ASMSTART
	s_wakeup
	;;#ASMEND
.LBB10_633:                             ;   in Loop: Header=BB10_272 Depth=3
	s_or_b64 exec, exec, s[90:91]
.LBB10_634:                             ;   in Loop: Header=BB10_272 Depth=3
	s_andn2_saveexec_b64 s[40:41], s[40:41]
	s_cbranch_execz .LBB10_636
; %bb.635:                              ;   in Loop: Header=BB10_272 Depth=3
	;;#ASMSTART
	s_waitcnt lgkmcnt(0) vmcnt(0)
	;;#ASMEND
	s_waitcnt vmcnt(0) lgkmcnt(0)
	s_barrier
.LBB10_636:                             ;   in Loop: Header=BB10_272 Depth=3
	s_or_b64 exec, exec, s[40:41]
	v_and_b32_e32 v0, 16, v62
.LBB10_637:                             ;   in Loop: Header=BB10_272 Depth=3
	s_or_b64 exec, exec, s[28:29]
	v_cmp_ne_u32_e32 vcc, 0, v0
	s_xor_b64 s[28:29], s[12:13], -1
	s_and_b64 s[40:41], vcc, s[28:29]
	s_and_saveexec_b64 s[28:29], s[40:41]
	s_cbranch_execz .LBB10_639
; %bb.638:                              ;   in Loop: Header=BB10_272 Depth=3
	buffer_load_dword v0, off, s[0:3], s33 offset:92 ; 4-byte Folded Reload
	buffer_load_dword v1, off, s[0:3], s33 offset:96 ; 4-byte Folded Reload
	v_mov_b32_e32 v3, 1
	s_waitcnt vmcnt(0)
	flat_store_dword v[0:1], v3
.LBB10_639:                             ;   in Loop: Header=BB10_272 Depth=3
	s_or_b64 exec, exec, s[28:29]
	v_and_b32_e32 v0, 48, v62
	v_cmp_ne_u32_e32 vcc, 0, v0
	s_and_saveexec_b64 s[28:29], vcc
	s_cbranch_execz .LBB10_271
; %bb.640:                              ;   in Loop: Header=BB10_272 Depth=3
	buffer_load_dword v0, off, s[0:3], s33 offset:60 ; 4-byte Folded Reload
	buffer_load_dword v1, off, s[0:3], s33 offset:64 ; 4-byte Folded Reload
	s_waitcnt vmcnt(0)
	v_add_co_u32_e32 v0, vcc, 2, v0
	v_addc_co_u32_e32 v1, vcc, 0, v1, vcc
	buffer_store_dword v0, off, s[0:3], s33 offset:60 ; 4-byte Folded Spill
	s_nop 0
	buffer_store_dword v1, off, s[0:3], s33 offset:64 ; 4-byte Folded Spill
	flat_store_dwordx2 v[40:41], v[0:1]
	s_branch .LBB10_271
.LBB10_641:                             ;   in Loop: Header=BB10_269 Depth=2
	s_or_b64 exec, exec, s[44:45]
	buffer_load_dword v55, off, s[0:3], s33 offset:164 ; 4-byte Folded Reload
	buffer_load_dword v54, off, s[0:3], s33 offset:160 ; 4-byte Folded Reload
.LBB10_642:                             ;   in Loop: Header=BB10_269 Depth=2
	s_or_b64 exec, exec, s[42:43]
	v_cmp_gt_i32_e32 vcc, 2, v3
	s_and_saveexec_b64 s[40:41], vcc
	s_cbranch_execz .LBB10_268
; %bb.643:                              ;   in Loop: Header=BB10_269 Depth=2
	v_cmp_eq_u32_e64 s[44:45], 0, v3
	s_mov_b64 s[42:43], 0
	s_branch .LBB10_645
.LBB10_644:                             ;   in Loop: Header=BB10_645 Depth=3
	s_or_b64 exec, exec, s[28:29]
	v_add_u32_e32 v30, v4, v30
	s_mov_b64 s[44:45], 0
	s_andn2_b64 exec, exec, s[42:43]
	s_cbranch_execz .LBB10_267
.LBB10_645:                             ;   Parent Loop BB10_47 Depth=1
                                        ;     Parent Loop BB10_269 Depth=2
                                        ; =>    This Loop Header: Depth=3
                                        ;         Child Loop BB10_651 Depth 4
                                        ;         Child Loop BB10_679 Depth 4
	;; [unrolled: 1-line block ×3, first 2 shown]
	v_sub_u32_e32 v0, v58, v30
	v_min_i32_e32 v4, v4, v0
	v_and_b32_e32 v0, 12, v62
	v_cmp_ne_u32_e32 vcc, 0, v0
	s_and_saveexec_b64 s[88:89], vcc
	s_cbranch_execz .LBB10_671
; %bb.646:                              ;   in Loop: Header=BB10_645 Depth=3
	buffer_load_dword v0, off, s[0:3], s33 offset:60 ; 4-byte Folded Reload
	buffer_load_dword v1, off, s[0:3], s33 offset:64 ; 4-byte Folded Reload
	v_and_b32_e32 v3, 8, v62
	s_waitcnt lgkmcnt(0)
	v_add_co_u32_e32 v7, vcc, v56, v3
	v_addc_co_u32_e32 v8, vcc, 0, v57, vcc
	s_waitcnt vmcnt(0)
	v_add_co_u32_e32 v0, vcc, 2, v0
	v_addc_co_u32_e32 v1, vcc, 0, v1, vcc
	v_cmp_lt_u64_e32 vcc, v[7:8], v[0:1]
	s_and_saveexec_b64 s[90:91], vcc
	s_cbranch_execz .LBB10_658
; %bb.647:                              ;   in Loop: Header=BB10_645 Depth=3
	v_and_b32_e32 v5, 64, v62
	s_mov_b32 s58, 0
	v_cmp_eq_u32_e32 vcc, 0, v5
	s_mov_b64 s[92:93], 0
                                        ; implicit-def: $sgpr94_sgpr95
                                        ; implicit-def: $sgpr30_sgpr31
                                        ; implicit-def: $sgpr34_sgpr35
	s_branch .LBB10_651
.LBB10_648:                             ;   in Loop: Header=BB10_651 Depth=4
	s_waitcnt vmcnt(0) lgkmcnt(0)
	v_add_co_u32_e64 v7, s[28:29], v56, v3
	v_addc_co_u32_e64 v8, s[28:29], 0, v57, s[28:29]
	v_cmp_ge_u64_e64 s[28:29], v[7:8], v[0:1]
	s_or_b64 s[48:49], s[48:49], exec
	s_orn2_b64 s[38:39], s[28:29], exec
.LBB10_649:                             ;   in Loop: Header=BB10_651 Depth=4
	s_or_b64 exec, exec, s[52:53]
	s_andn2_b64 s[28:29], s[34:35], exec
	s_and_b64 s[34:35], s[48:49], exec
	s_or_b64 s[34:35], s[28:29], s[34:35]
	s_andn2_b64 s[28:29], s[30:31], exec
	s_and_b64 s[30:31], s[38:39], exec
	s_or_b64 s[30:31], s[28:29], s[30:31]
.LBB10_650:                             ;   in Loop: Header=BB10_651 Depth=4
	s_or_b64 exec, exec, s[36:37]
	s_and_b64 s[28:29], exec, s[30:31]
	s_or_b64 s[92:93], s[28:29], s[92:93]
	s_andn2_b64 s[28:29], s[94:95], exec
	s_and_b64 s[94:95], s[34:35], exec
	s_or_b64 s[94:95], s[28:29], s[94:95]
	s_andn2_b64 exec, exec, s[92:93]
	s_cbranch_execz .LBB10_655
.LBB10_651:                             ;   Parent Loop BB10_47 Depth=1
                                        ;     Parent Loop BB10_269 Depth=2
                                        ;       Parent Loop BB10_645 Depth=3
                                        ; =>      This Inner Loop Header: Depth=4
	s_sleep 1
	s_waitcnt vmcnt(0) lgkmcnt(0)
	flat_load_dwordx2 v[56:57], v[40:41] glc
	s_or_b64 s[34:35], s[34:35], exec
	s_or_b64 s[30:31], s[30:31], exec
                                        ; implicit-def: $vgpr5
	s_and_saveexec_b64 s[36:37], vcc
	s_cbranch_execz .LBB10_650
; %bb.652:                              ;   in Loop: Header=BB10_651 Depth=4
	s_cmpk_lt_i32 s58, 0x270f
	s_cselect_b64 s[50:51], -1, 0
	s_cmpk_gt_i32 s58, 0x270e
	s_mov_b64 s[38:39], -1
	s_cbranch_scc0 .LBB10_654
; %bb.653:                              ;   in Loop: Header=BB10_651 Depth=4
	s_trap 2
	ds_read_b64 v[7:8], v0
	s_andn2_b64 s[50:51], s[50:51], exec
	s_mov_b32 s58, 0
	s_mov_b64 s[48:49], 0
	s_waitcnt vmcnt(0) lgkmcnt(0)
	flat_load_dword v5, v[7:8] glc
	s_waitcnt vmcnt(0) lgkmcnt(0)
	buffer_wbinvl1_vol
	v_cmp_eq_u32_e64 s[28:29], 0, v5
	s_and_b64 s[28:29], s[28:29], exec
	s_or_b64 s[50:51], s[50:51], s[28:29]
	s_and_saveexec_b64 s[52:53], s[50:51]
	s_cbranch_execz .LBB10_649
	s_branch .LBB10_648
.LBB10_654:                             ;   in Loop: Header=BB10_651 Depth=4
	s_add_i32 s58, s58, 1
	s_mov_b64 s[48:49], -1
                                        ; implicit-def: $vgpr5
	s_and_saveexec_b64 s[52:53], s[50:51]
	s_cbranch_execz .LBB10_649
	s_branch .LBB10_648
.LBB10_655:                             ;   in Loop: Header=BB10_645 Depth=3
	s_or_b64 exec, exec, s[92:93]
	s_xor_b64 s[28:29], s[94:95], -1
	s_and_saveexec_b64 s[92:93], s[28:29]
	s_xor_b64 s[28:29], exec, s[92:93]
	s_cbranch_execz .LBB10_657
; %bb.656:                              ;   in Loop: Header=BB10_645 Depth=3
	v_or_b32_e32 v62, 64, v62
	s_waitcnt lgkmcnt(0)
	ds_write_b32 v0, v5
	s_trap 2
.LBB10_657:                             ;   in Loop: Header=BB10_645 Depth=3
	s_or_b64 exec, exec, s[28:29]
.LBB10_658:                             ;   in Loop: Header=BB10_645 Depth=3
	s_or_b64 exec, exec, s[90:91]
	v_and_b32_e32 v5, 0x108, v62
	v_cmp_ne_u32_e32 vcc, s67, v5
	;;#ASMSTART
	s_wakeup
	;;#ASMEND
                                        ; implicit-def: $vgpr8_vgpr9
	s_and_saveexec_b64 s[28:29], vcc
	s_xor_b64 s[28:29], exec, s[28:29]
	s_cbranch_execz .LBB10_660
; %bb.659:                              ;   in Loop: Header=BB10_645 Depth=3
	buffer_load_dword v5, off, s[0:3], s33 offset:60 ; 4-byte Folded Reload
	buffer_load_dword v6, off, s[0:3], s33 offset:64 ; 4-byte Folded Reload
	v_mov_b32_e32 v9, v2
	s_waitcnt vmcnt(0)
	v_and_b32_e32 v8, 7, v5
                                        ; implicit-def: $vgpr5_vgpr6
                                        ; kill: killed $vgpr5_vgpr6
.LBB10_660:                             ;   in Loop: Header=BB10_645 Depth=3
	s_andn2_saveexec_b64 s[28:29], s[28:29]
	s_cbranch_execz .LBB10_662
; %bb.661:                              ;   in Loop: Header=BB10_645 Depth=3
	buffer_load_dword v5, off, s[0:3], s33 offset:60 ; 4-byte Folded Reload
	buffer_load_dword v6, off, s[0:3], s33 offset:64 ; 4-byte Folded Reload
	v_mov_b32_e32 v9, v2
	s_waitcnt vmcnt(0)
	v_and_b32_e32 v8, 7, v5
	v_mad_u64_u32 v[10:11], s[90:91], v8, 24, v[42:43]
	v_ashrrev_i32_e32 v5, 31, v4
	v_lshlrev_b64 v[12:13], 1, v[4:5]
	flat_store_dwordx2 v[10:11], v[12:13] offset:8
.LBB10_662:                             ;   in Loop: Header=BB10_645 Depth=3
	s_or_b64 exec, exec, s[28:29]
	v_and_b32_e32 v5, 0x100, v62
	v_cmp_ne_u32_e32 vcc, 0, v5
	s_mov_b64 s[28:29], -1
                                        ; implicit-def: $vgpr10_vgpr11
	s_and_saveexec_b64 s[90:91], vcc
	s_cbranch_execz .LBB10_666
; %bb.663:                              ;   in Loop: Header=BB10_645 Depth=3
	v_mad_u64_u32 v[12:13], s[28:29], v8, 24, v[42:43]
	v_mov_b32_e32 v5, v13
	v_mad_u64_u32 v[10:11], s[28:29], v9, 24, v[5:6]
	v_mov_b32_e32 v13, v10
	flat_load_dword v5, v[12:13]
                                        ; implicit-def: $vgpr10_vgpr11
	s_waitcnt vmcnt(0) lgkmcnt(0)
	v_cmp_ne_u32_e32 vcc, 1, v5
	v_cmp_eq_u32_e64 s[28:29], 1, v5
	s_and_saveexec_b64 s[92:93], s[28:29]
	s_cbranch_execz .LBB10_665
; %bb.664:                              ;   in Loop: Header=BB10_645 Depth=3
	flat_load_dword v10, v[12:13] offset:4 glc
	s_waitcnt vmcnt(0) lgkmcnt(0)
	v_ashrrev_i32_e32 v11, 31, v10
	v_lshrrev_b64 v[10:11], 1, v[10:11]
.LBB10_665:                             ;   in Loop: Header=BB10_645 Depth=3
	s_or_b64 exec, exec, s[92:93]
	s_orn2_b64 s[28:29], vcc, exec
.LBB10_666:                             ;   in Loop: Header=BB10_645 Depth=3
	s_or_b64 exec, exec, s[90:91]
	s_and_saveexec_b64 s[90:91], s[28:29]
	s_cbranch_execz .LBB10_668
; %bb.667:                              ;   in Loop: Header=BB10_645 Depth=3
	v_mul_lo_u32 v5, v9, v54
	v_mul_lo_u32 v6, v8, v59
	v_mad_u64_u32 v[10:11], s[28:29], v8, v54, 0
	v_add3_u32 v11, v11, v6, v5
.LBB10_668:                             ;   in Loop: Header=BB10_645 Depth=3
	s_or_b64 exec, exec, s[90:91]
	v_cmp_eq_u32_e32 vcc, 0, v3
	v_mov_b32_e32 v3, 0xc8
	v_mov_b32_e32 v5, 0x90
	v_cndmask_b32_e32 v3, v3, v5, vcc
	buffer_load_dword v5, off, s[0:3], s33 offset:84 ; 4-byte Folded Reload
	buffer_load_dword v6, off, s[0:3], s33 offset:88 ; 4-byte Folded Reload
	v_lshlrev_b64 v[7:8], 1, v[10:11]
	v_add_u32_e32 v3, v0, v3
	s_waitcnt vmcnt(0)
	v_add_co_u32_e32 v7, vcc, v5, v7
	v_addc_co_u32_e32 v8, vcc, v6, v8, vcc
	ds_write_b64 v3, v[7:8] offset:584
	v_and_b32_e32 v3, 0x2000, v62
	v_cmp_ne_u32_e32 vcc, 0, v3
	s_and_saveexec_b64 s[28:29], vcc
	s_cbranch_execz .LBB10_670
; %bb.669:                              ;   in Loop: Header=BB10_645 Depth=3
	ds_read_b64 v[7:8], v0 offset:872
	s_waitcnt lgkmcnt(0)
	v_add_co_u32_e32 v7, vcc, 1, v7
	v_addc_co_u32_e32 v8, vcc, 0, v8, vcc
	ds_write_b64 v0, v[7:8] offset:872
.LBB10_670:                             ;   in Loop: Header=BB10_645 Depth=3
	s_or_b64 exec, exec, s[28:29]
	buffer_store_dword v0, off, s[0:3], s33 offset:60 ; 4-byte Folded Spill
	s_nop 0
	buffer_store_dword v1, off, s[0:3], s33 offset:64 ; 4-byte Folded Spill
.LBB10_671:                             ;   in Loop: Header=BB10_645 Depth=3
	s_or_b64 exec, exec, s[88:89]
	s_xor_b64 s[28:29], s[44:45], -1
	s_and_b64 s[28:29], exec, s[28:29]
	s_or_b64 s[42:43], s[28:29], s[42:43]
	s_and_saveexec_b64 s[28:29], s[10:11]
	s_cbranch_execz .LBB10_690
; %bb.672:                              ;   in Loop: Header=BB10_645 Depth=3
	s_and_saveexec_b64 s[44:45], s[60:61]
	s_xor_b64 s[44:45], exec, s[44:45]
	s_cbranch_execz .LBB10_687
; %bb.673:                              ;   in Loop: Header=BB10_645 Depth=3
	s_and_saveexec_b64 s[88:89], s[16:17]
	s_cbranch_execz .LBB10_686
; %bb.674:                              ;   in Loop: Header=BB10_645 Depth=3
	s_mov_b64 s[92:93], exec
	v_mbcnt_lo_u32_b32 v0, s92, 0
	v_mbcnt_hi_u32_b32 v0, s93, v0
	v_cmp_eq_u32_e32 vcc, 0, v0
	s_waitcnt vmcnt(0) lgkmcnt(0)
	buffer_wbinvl1_vol
	s_and_saveexec_b64 s[90:91], vcc
	s_cbranch_execz .LBB10_676
; %bb.675:                              ;   in Loop: Header=BB10_645 Depth=3
	s_bcnt1_i32_b64 s58, s[92:93]
	v_mov_b32_e32 v0, s58
	v_mov_b32_e32 v1, v2
	ds_add_u64 v0, v[0:1]
	s_trap 2
.LBB10_676:                             ;   in Loop: Header=BB10_645 Depth=3
	s_or_b64 exec, exec, s[90:91]
	s_trap 2
	ds_read_b64 v[0:1], v0
	s_waitcnt lgkmcnt(0)
	buffer_load_dword v3, off, s[0:3], s33 offset:68 ; 4-byte Folded Reload
	s_waitcnt vmcnt(0)
	v_add_co_u32_e32 v46, vcc, v46, v3
	v_addc_co_u32_e32 v47, vcc, 0, v47, vcc
	v_cmp_lt_u64_e32 vcc, v[0:1], v[46:47]
	s_and_saveexec_b64 s[90:91], vcc
	s_cbranch_execz .LBB10_685
; %bb.677:                              ;   in Loop: Header=BB10_645 Depth=3
	s_mov_b32 s58, 0
	s_mov_b64 s[92:93], 0
                                        ; implicit-def: $sgpr94_sgpr95
                                        ; implicit-def: $sgpr30_sgpr31
	s_branch .LBB10_679
.LBB10_678:                             ;   in Loop: Header=BB10_679 Depth=4
	s_or_b64 exec, exec, s[36:37]
	s_and_b64 vcc, exec, vcc
	s_or_b64 s[92:93], vcc, s[92:93]
	s_andn2_b64 s[94:95], s[94:95], exec
	s_and_b64 vcc, s[30:31], exec
	s_or_b64 s[94:95], s[94:95], vcc
	s_andn2_b64 exec, exec, s[92:93]
	s_cbranch_execz .LBB10_683
.LBB10_679:                             ;   Parent Loop BB10_47 Depth=1
                                        ;     Parent Loop BB10_269 Depth=2
                                        ;       Parent Loop BB10_645 Depth=3
                                        ; =>      This Inner Loop Header: Depth=4
	s_add_i32 s58, s58, 1
	s_cmpk_lg_i32 s58, 0x2710
	s_cselect_b64 s[34:35], -1, 0
	s_and_b64 vcc, exec, s[34:35]
	s_cbranch_vccz .LBB10_681
; %bb.680:                              ;   in Loop: Header=BB10_679 Depth=4
	s_mov_b64 vcc, -1
	s_or_b64 s[30:31], s[30:31], exec
	s_and_saveexec_b64 s[36:37], s[34:35]
	s_cbranch_execz .LBB10_678
	s_branch .LBB10_682
.LBB10_681:                             ;   in Loop: Header=BB10_679 Depth=4
	s_trap 2
	ds_read_b64 v[0:1], v0
	s_andn2_b64 s[34:35], s[34:35], exec
	s_mov_b32 s58, 0
	s_waitcnt lgkmcnt(0)
	flat_load_dword v0, v[0:1] glc
	s_waitcnt vmcnt(0) lgkmcnt(0)
	buffer_wbinvl1_vol
	v_cmp_eq_u32_e32 vcc, 0, v0
	s_and_b64 vcc, vcc, exec
	s_or_b64 s[34:35], s[34:35], vcc
	s_mov_b64 vcc, -1
	s_or_b64 s[30:31], s[30:31], exec
	s_and_saveexec_b64 s[36:37], s[34:35]
	s_cbranch_execz .LBB10_678
.LBB10_682:                             ;   in Loop: Header=BB10_679 Depth=4
	s_sleep 1
	s_trap 2
	ds_read_b64 v[0:1], v0
	s_waitcnt lgkmcnt(0)
	s_andn2_b64 s[30:31], s[30:31], exec
	v_cmp_ge_u64_e32 vcc, v[0:1], v[46:47]
	s_orn2_b64 vcc, vcc, exec
	s_branch .LBB10_678
.LBB10_683:                             ;   in Loop: Header=BB10_645 Depth=3
	s_or_b64 exec, exec, s[92:93]
	s_and_saveexec_b64 s[92:93], s[94:95]
	s_xor_b64 s[92:93], exec, s[92:93]
	s_cbranch_execz .LBB10_685
; %bb.684:                              ;   in Loop: Header=BB10_645 Depth=3
	v_mov_b32_e32 v0, 1
	ds_write_b32 v0, v0
	s_trap 2
.LBB10_685:                             ;   in Loop: Header=BB10_645 Depth=3
	s_or_b64 exec, exec, s[90:91]
	;;#ASMSTART
	s_wakeup
	;;#ASMEND
.LBB10_686:                             ;   in Loop: Header=BB10_645 Depth=3
	s_or_b64 exec, exec, s[88:89]
.LBB10_687:                             ;   in Loop: Header=BB10_645 Depth=3
	s_andn2_saveexec_b64 s[44:45], s[44:45]
	s_cbranch_execz .LBB10_689
; %bb.688:                              ;   in Loop: Header=BB10_645 Depth=3
	s_waitcnt vmcnt(0) lgkmcnt(0)
	buffer_wbinvl1_vol
	s_barrier
.LBB10_689:                             ;   in Loop: Header=BB10_645 Depth=3
	s_or_b64 exec, exec, s[44:45]
.LBB10_690:                             ;   in Loop: Header=BB10_645 Depth=3
	s_or_b64 exec, exec, s[28:29]
                                        ; implicit-def: $vgpr0
	s_and_saveexec_b64 s[28:29], s[74:75]
	s_xor_b64 s[28:29], exec, s[28:29]
	s_cbranch_execz .LBB10_702
; %bb.691:                              ;   in Loop: Header=BB10_645 Depth=3
	s_and_saveexec_b64 s[44:45], s[60:61]
	s_xor_b64 s[44:45], exec, s[44:45]
	s_cbranch_execz .LBB10_707
; %bb.692:                              ;   in Loop: Header=BB10_645 Depth=3
	s_and_saveexec_b64 s[88:89], s[16:17]
	s_cbranch_execz .LBB10_706
; %bb.693:                              ;   in Loop: Header=BB10_645 Depth=3
	s_mov_b64 s[92:93], exec
	v_mbcnt_lo_u32_b32 v0, s92, 0
	v_mbcnt_hi_u32_b32 v0, s93, v0
	v_cmp_eq_u32_e32 vcc, 0, v0
	;;#ASMSTART
	s_waitcnt lgkmcnt(0) vmcnt(0)
	;;#ASMEND
	s_and_saveexec_b64 s[90:91], vcc
	s_cbranch_execz .LBB10_695
; %bb.694:                              ;   in Loop: Header=BB10_645 Depth=3
	s_bcnt1_i32_b64 s58, s[92:93]
	v_mov_b32_e32 v0, s58
	v_mov_b32_e32 v1, v2
	s_waitcnt lgkmcnt(0)
	ds_add_u64 v0, v[0:1]
	s_trap 2
.LBB10_695:                             ;   in Loop: Header=BB10_645 Depth=3
	s_or_b64 exec, exec, s[90:91]
	s_trap 2
	ds_read_b64 v[0:1], v0
	s_waitcnt lgkmcnt(0)
	buffer_load_dword v3, off, s[0:3], s33 offset:68 ; 4-byte Folded Reload
	s_waitcnt vmcnt(0)
	v_add_co_u32_e32 v46, vcc, v46, v3
	v_addc_co_u32_e32 v47, vcc, 0, v47, vcc
	v_cmp_lt_u64_e32 vcc, v[0:1], v[46:47]
	s_and_saveexec_b64 s[90:91], vcc
	s_cbranch_execz .LBB10_705
; %bb.696:                              ;   in Loop: Header=BB10_645 Depth=3
	s_mov_b32 s58, 0
	s_mov_b64 s[92:93], 0
                                        ; implicit-def: $sgpr94_sgpr95
                                        ; implicit-def: $sgpr30_sgpr31
	s_branch .LBB10_698
.LBB10_697:                             ;   in Loop: Header=BB10_698 Depth=4
	s_or_b64 exec, exec, s[36:37]
	s_and_b64 vcc, exec, vcc
	s_or_b64 s[92:93], vcc, s[92:93]
	s_andn2_b64 s[94:95], s[94:95], exec
	s_and_b64 vcc, s[30:31], exec
	s_or_b64 s[94:95], s[94:95], vcc
	s_andn2_b64 exec, exec, s[92:93]
	s_cbranch_execz .LBB10_703
.LBB10_698:                             ;   Parent Loop BB10_47 Depth=1
                                        ;     Parent Loop BB10_269 Depth=2
                                        ;       Parent Loop BB10_645 Depth=3
                                        ; =>      This Inner Loop Header: Depth=4
	s_add_i32 s58, s58, 1
	s_cmpk_lg_i32 s58, 0x2710
	s_cselect_b64 s[34:35], -1, 0
	s_and_b64 vcc, exec, s[34:35]
	s_cbranch_vccz .LBB10_700
; %bb.699:                              ;   in Loop: Header=BB10_698 Depth=4
	s_mov_b64 vcc, -1
	s_or_b64 s[30:31], s[30:31], exec
	s_and_saveexec_b64 s[36:37], s[34:35]
	s_cbranch_execz .LBB10_697
	s_branch .LBB10_701
.LBB10_700:                             ;   in Loop: Header=BB10_698 Depth=4
	s_trap 2
	ds_read_b64 v[0:1], v0
	s_andn2_b64 s[34:35], s[34:35], exec
	s_mov_b32 s58, 0
	s_waitcnt lgkmcnt(0)
	flat_load_dword v0, v[0:1] glc
	s_waitcnt vmcnt(0) lgkmcnt(0)
	buffer_wbinvl1_vol
	v_cmp_eq_u32_e32 vcc, 0, v0
	s_and_b64 vcc, vcc, exec
	s_or_b64 s[34:35], s[34:35], vcc
	s_mov_b64 vcc, -1
	s_or_b64 s[30:31], s[30:31], exec
	s_and_saveexec_b64 s[36:37], s[34:35]
	s_cbranch_execz .LBB10_697
.LBB10_701:                             ;   in Loop: Header=BB10_698 Depth=4
	s_sleep 1
	s_trap 2
	ds_read_b64 v[0:1], v0
	s_waitcnt lgkmcnt(0)
	s_andn2_b64 s[30:31], s[30:31], exec
	v_cmp_ge_u64_e32 vcc, v[0:1], v[46:47]
	s_orn2_b64 vcc, vcc, exec
	s_branch .LBB10_697
.LBB10_702:                             ;   in Loop: Header=BB10_645 Depth=3
	s_andn2_saveexec_b64 s[28:29], s[28:29]
	s_cbranch_execnz .LBB10_710
	s_branch .LBB10_713
.LBB10_703:                             ;   in Loop: Header=BB10_645 Depth=3
	s_or_b64 exec, exec, s[92:93]
	s_and_saveexec_b64 s[92:93], s[94:95]
	s_xor_b64 s[92:93], exec, s[92:93]
	s_cbranch_execz .LBB10_705
; %bb.704:                              ;   in Loop: Header=BB10_645 Depth=3
	v_mov_b32_e32 v0, 1
	ds_write_b32 v0, v0
	s_trap 2
.LBB10_705:                             ;   in Loop: Header=BB10_645 Depth=3
	s_or_b64 exec, exec, s[90:91]
	;;#ASMSTART
	s_wakeup
	;;#ASMEND
.LBB10_706:                             ;   in Loop: Header=BB10_645 Depth=3
	s_or_b64 exec, exec, s[88:89]
.LBB10_707:                             ;   in Loop: Header=BB10_645 Depth=3
	s_andn2_saveexec_b64 s[44:45], s[44:45]
	s_cbranch_execz .LBB10_709
; %bb.708:                              ;   in Loop: Header=BB10_645 Depth=3
	;;#ASMSTART
	s_waitcnt lgkmcnt(0) vmcnt(0)
	;;#ASMEND
	s_waitcnt vmcnt(0) lgkmcnt(0)
	s_barrier
.LBB10_709:                             ;   in Loop: Header=BB10_645 Depth=3
	s_or_b64 exec, exec, s[44:45]
	v_and_b32_e32 v0, 16, v62
	s_andn2_saveexec_b64 s[28:29], s[28:29]
	s_cbranch_execz .LBB10_713
.LBB10_710:                             ;   in Loop: Header=BB10_645 Depth=3
	s_trap 2
	ds_read_b32 v0, v0
	v_cmp_lt_i32_e32 vcc, 0, v4
	v_and_b32_e32 v1, 16, v62
	s_waitcnt lgkmcnt(0)
	v_readfirstlane_b32 s44, v0
	s_cmp_eq_u32 s44, 0
	s_cselect_b64 s[44:45], -1, 0
	s_and_b64 s[44:45], vcc, s[44:45]
	v_cmp_ne_u32_e32 vcc, 0, v1
	v_and_b32_e32 v0, 16, v62
	s_and_b64 s[88:89], vcc, s[44:45]
	s_and_saveexec_b64 s[44:45], s[88:89]
	s_cbranch_execz .LBB10_712
; %bb.711:                              ;   in Loop: Header=BB10_645 Depth=3
	v_mov_b32_e32 v0, 1
	s_waitcnt vmcnt(0)
	buffer_wbinvl1_vol
.LBB10_712:                             ;   in Loop: Header=BB10_645 Depth=3
	s_or_b64 exec, exec, s[44:45]
.LBB10_713:                             ;   in Loop: Header=BB10_645 Depth=3
	s_or_b64 exec, exec, s[28:29]
	v_cmp_ne_u32_e32 vcc, 0, v0
	s_xor_b64 s[28:29], s[12:13], -1
	s_and_b64 s[44:45], vcc, s[28:29]
	s_and_saveexec_b64 s[28:29], s[44:45]
	s_cbranch_execz .LBB10_715
; %bb.714:                              ;   in Loop: Header=BB10_645 Depth=3
	buffer_load_dword v0, off, s[0:3], s33 offset:92 ; 4-byte Folded Reload
	buffer_load_dword v1, off, s[0:3], s33 offset:96 ; 4-byte Folded Reload
	v_mov_b32_e32 v3, 1
	s_waitcnt vmcnt(0)
	flat_store_dword v[0:1], v3
.LBB10_715:                             ;   in Loop: Header=BB10_645 Depth=3
	s_or_b64 exec, exec, s[28:29]
	v_and_b32_e32 v0, 48, v62
	v_cmp_ne_u32_e32 vcc, 0, v0
	s_and_saveexec_b64 s[28:29], vcc
	s_cbranch_execz .LBB10_644
; %bb.716:                              ;   in Loop: Header=BB10_645 Depth=3
	buffer_load_dword v0, off, s[0:3], s33 offset:60 ; 4-byte Folded Reload
	buffer_load_dword v1, off, s[0:3], s33 offset:64 ; 4-byte Folded Reload
	s_waitcnt vmcnt(0)
	v_add_co_u32_e32 v0, vcc, 2, v0
	v_addc_co_u32_e32 v1, vcc, 0, v1, vcc
	buffer_store_dword v0, off, s[0:3], s33 offset:60 ; 4-byte Folded Spill
	s_nop 0
	buffer_store_dword v1, off, s[0:3], s33 offset:64 ; 4-byte Folded Spill
	flat_store_dwordx2 v[40:41], v[0:1]
	s_branch .LBB10_644
.LBB10_717:                             ;   in Loop: Header=BB10_47 Depth=1
	buffer_load_dword v5, off, s[0:3], s33 offset:200 ; 4-byte Folded Reload
	buffer_load_dword v6, off, s[0:3], s33 offset:204 ; 4-byte Folded Reload
	s_waitcnt vmcnt(0)
	v_mul_lo_u32 v4, v5, s55
	v_mul_lo_u32 v3, v6, s54
	v_mad_u64_u32 v[0:1], s[28:29], v5, s54, 0
	v_add3_u32 v1, v1, v4, v3
	buffer_load_dword v3, off, s[0:3], s33 offset:192 ; 4-byte Folded Reload
	buffer_load_dword v4, off, s[0:3], s33 offset:196 ; 4-byte Folded Reload
	s_waitcnt vmcnt(0)
	v_sub_co_u32_e32 v3, vcc, v3, v0
	v_subb_co_u32_e32 v4, vcc, v4, v1, vcc
	v_cmp_lt_i64_e32 vcc, v[5:6], v[3:4]
	v_mov_b32_e32 v4, 0
	v_cndmask_b32_e32 v3, v3, v5, vcc
	v_max_i32_e32 v44, 0, v3
	v_add_u32_e32 v5, 31, v44
	v_lshrrev_b32_e32 v5, 1, v5
	v_and_b32_e32 v5, 0x3ffffff0, v5
	v_cmp_lt_i32_e32 vcc, 0, v3
	v_max_i32_e32 v58, s84, v5
	s_and_b64 s[28:29], s[76:77], vcc
	v_mov_b32_e32 v3, 0
	s_and_saveexec_b64 s[88:89], s[28:29]
	s_cbranch_execz .LBB10_1350
; %bb.718:                              ;   in Loop: Header=BB10_47 Depth=1
	buffer_load_dword v3, off, s[0:3], s33 offset:136 ; 4-byte Folded Reload
	buffer_load_dword v4, off, s[0:3], s33 offset:140 ; 4-byte Folded Reload
	s_mov_b32 s79, 1
	s_mov_b64 s[92:93], -1
	s_mov_b64 s[90:91], 0
	s_waitcnt vmcnt(0)
	v_add_co_u32_e32 v0, vcc, v0, v3
	v_addc_co_u32_e32 v1, vcc, v1, v4, vcc
	v_lshlrev_b64 v[42:43], 1, v[0:1]
	v_mov_b32_e32 v3, 0
	buffer_store_dword v42, off, s[0:3], s33 offset:240 ; 4-byte Folded Spill
	s_nop 0
	buffer_store_dword v43, off, s[0:3], s33 offset:244 ; 4-byte Folded Spill
	s_branch .LBB10_720
.LBB10_719:                             ;   in Loop: Header=BB10_720 Depth=2
	s_or_b64 exec, exec, s[28:29]
	v_add_u32_e32 v3, v58, v3
	v_cmp_ge_i32_e32 vcc, v3, v44
	s_xor_b64 s[28:29], s[92:93], -1
	s_or_b64 s[28:29], s[28:29], vcc
	s_and_b64 s[28:29], exec, s[28:29]
	s_or_b64 s[90:91], s[28:29], s[90:91]
	s_mov_b64 s[92:93], 0
	v_mov_b32_e32 v4, s79
	s_mov_b32 s79, 2
	s_andn2_b64 exec, exec, s[90:91]
	s_cbranch_execz .LBB10_1349
.LBB10_720:                             ;   Parent Loop BB10_47 Depth=1
                                        ; =>  This Loop Header: Depth=2
                                        ;       Child Loop BB10_728 Depth 3
                                        ;       Child Loop BB10_756 Depth 3
                                        ;       Child Loop BB10_775 Depth 3
                                        ;       Child Loop BB10_1063 Depth 3
                                        ;       Child Loop BB10_1196 Depth 3
                                        ;       Child Loop BB10_1234 Depth 3
                                        ;       Child Loop BB10_1303 Depth 3
                                        ;       Child Loop BB10_805 Depth 3
                                        ;       Child Loop BB10_937 Depth 3
                                        ;         Child Loop BB10_970 Depth 4
                                        ;       Child Loop BB10_978 Depth 3
                                        ;       Child Loop BB10_1046 Depth 3
                                        ;         Child Loop BB10_1051 Depth 4
                                        ;       Child Loop BB10_1315 Depth 3
                                        ;       Child Loop BB10_1334 Depth 3
	s_and_saveexec_b64 s[28:29], s[4:5]
	s_cbranch_execz .LBB10_722
; %bb.721:                              ;   in Loop: Header=BB10_720 Depth=2
	s_trap 2
	ds_read2_b64 v[7:10], v0 offset1:1
	v_ashrrev_i32_e32 v4, 31, v3
	v_lshlrev_b64 v[0:1], 1, v[3:4]
	s_waitcnt lgkmcnt(0)
	v_add_co_u32_e32 v5, vcc, v7, v42
	v_addc_co_u32_e32 v6, vcc, v8, v43, vcc
	v_add_co_u32_e32 v4, vcc, v5, v0
	v_addc_co_u32_e32 v5, vcc, v6, v1, vcc
	ds_write_b64 v0, v[4:5]
	v_add_co_u32_e32 v4, vcc, v9, v42
	v_addc_co_u32_e32 v5, vcc, v10, v43, vcc
	v_add_co_u32_e32 v4, vcc, v4, v0
	v_addc_co_u32_e32 v5, vcc, v5, v1, vcc
	ds_write_b64 v0, v[4:5]
	ds_read_b64 v[4:5], v0
	s_waitcnt lgkmcnt(0)
	v_add_co_u32_e32 v6, vcc, v4, v42
	v_addc_co_u32_e32 v7, vcc, v5, v43, vcc
	v_add_co_u32_e32 v0, vcc, v6, v0
	v_addc_co_u32_e32 v1, vcc, v7, v1, vcc
	v_cmp_ne_u64_e32 vcc, 0, v[4:5]
	v_cndmask_b32_e32 v1, 0, v1, vcc
	v_cndmask_b32_e32 v0, 0, v0, vcc
	ds_write_b64 v0, v[0:1]
.LBB10_722:                             ;   in Loop: Header=BB10_720 Depth=2
	s_or_b64 exec, exec, s[28:29]
	v_sub_u32_e32 v0, v44, v3
	v_min_i32_e32 v58, v58, v0
	v_and_b32_e32 v0, 12, v62
	v_cmp_ne_u32_e32 vcc, 0, v0
	s_and_saveexec_b64 s[40:41], vcc
	s_cbranch_execz .LBB10_748
; %bb.723:                              ;   in Loop: Header=BB10_720 Depth=2
	buffer_load_dword v0, off, s[0:3], s33 offset:60 ; 4-byte Folded Reload
	buffer_load_dword v1, off, s[0:3], s33 offset:64 ; 4-byte Folded Reload
	v_and_b32_e32 v12, 8, v62
	s_waitcnt lgkmcnt(0)
	v_add_co_u32_e32 v4, vcc, v56, v12
	v_addc_co_u32_e32 v5, vcc, 0, v57, vcc
	s_waitcnt vmcnt(0)
	v_add_co_u32_e32 v0, vcc, 2, v0
	s_waitcnt vmcnt(0)
	v_addc_co_u32_e32 v1, vcc, 0, v1, vcc
	v_cmp_lt_u64_e32 vcc, v[4:5], v[0:1]
	s_and_saveexec_b64 s[42:43], vcc
	s_cbranch_execz .LBB10_735
; %bb.724:                              ;   in Loop: Header=BB10_720 Depth=2
	v_and_b32_e32 v4, 64, v62
	s_mov_b32 s58, 0
	v_cmp_eq_u32_e32 vcc, 0, v4
	s_mov_b64 s[44:45], 0
                                        ; implicit-def: $sgpr94_sgpr95
                                        ; implicit-def: $sgpr30_sgpr31
                                        ; implicit-def: $sgpr34_sgpr35
	s_branch .LBB10_728
.LBB10_725:                             ;   in Loop: Header=BB10_728 Depth=3
	s_waitcnt vmcnt(0) lgkmcnt(0)
	v_add_co_u32_e64 v7, s[28:29], v56, v12
	v_addc_co_u32_e64 v8, s[28:29], 0, v57, s[28:29]
	v_cmp_ge_u64_e64 s[28:29], v[7:8], v[0:1]
	s_or_b64 s[48:49], s[48:49], exec
	s_orn2_b64 s[38:39], s[28:29], exec
.LBB10_726:                             ;   in Loop: Header=BB10_728 Depth=3
	s_or_b64 exec, exec, s[52:53]
	s_andn2_b64 s[28:29], s[34:35], exec
	s_and_b64 s[34:35], s[48:49], exec
	s_or_b64 s[34:35], s[28:29], s[34:35]
	s_andn2_b64 s[28:29], s[30:31], exec
	s_and_b64 s[30:31], s[38:39], exec
	s_or_b64 s[30:31], s[28:29], s[30:31]
.LBB10_727:                             ;   in Loop: Header=BB10_728 Depth=3
	s_or_b64 exec, exec, s[36:37]
	s_and_b64 s[28:29], exec, s[30:31]
	s_or_b64 s[44:45], s[28:29], s[44:45]
	s_andn2_b64 s[28:29], s[94:95], exec
	s_and_b64 s[94:95], s[34:35], exec
	s_or_b64 s[94:95], s[28:29], s[94:95]
	s_andn2_b64 exec, exec, s[44:45]
	s_cbranch_execz .LBB10_732
.LBB10_728:                             ;   Parent Loop BB10_47 Depth=1
                                        ;     Parent Loop BB10_720 Depth=2
                                        ; =>    This Inner Loop Header: Depth=3
	s_sleep 1
	s_waitcnt vmcnt(0) lgkmcnt(0)
	flat_load_dwordx2 v[56:57], v[40:41] glc
	s_or_b64 s[34:35], s[34:35], exec
	s_or_b64 s[30:31], s[30:31], exec
                                        ; implicit-def: $vgpr4
	s_and_saveexec_b64 s[36:37], vcc
	s_cbranch_execz .LBB10_727
; %bb.729:                              ;   in Loop: Header=BB10_728 Depth=3
	s_cmpk_lt_i32 s58, 0x270f
	s_cselect_b64 s[50:51], -1, 0
	s_cmpk_gt_i32 s58, 0x270e
	s_mov_b64 s[38:39], -1
	s_cbranch_scc0 .LBB10_731
; %bb.730:                              ;   in Loop: Header=BB10_728 Depth=3
	s_trap 2
	ds_read_b64 v[4:5], v0
	s_andn2_b64 s[50:51], s[50:51], exec
	s_mov_b32 s58, 0
	s_mov_b64 s[48:49], 0
	s_waitcnt vmcnt(0) lgkmcnt(0)
	flat_load_dword v4, v[4:5] glc
	s_waitcnt vmcnt(0) lgkmcnt(0)
	buffer_wbinvl1_vol
	v_cmp_eq_u32_e64 s[28:29], 0, v4
	s_and_b64 s[28:29], s[28:29], exec
	s_or_b64 s[50:51], s[50:51], s[28:29]
	s_and_saveexec_b64 s[52:53], s[50:51]
	s_cbranch_execz .LBB10_726
	s_branch .LBB10_725
.LBB10_731:                             ;   in Loop: Header=BB10_728 Depth=3
	s_add_i32 s58, s58, 1
	s_mov_b64 s[48:49], -1
                                        ; implicit-def: $vgpr4
	s_and_saveexec_b64 s[52:53], s[50:51]
	s_cbranch_execz .LBB10_726
	s_branch .LBB10_725
.LBB10_732:                             ;   in Loop: Header=BB10_720 Depth=2
	s_or_b64 exec, exec, s[44:45]
	s_xor_b64 s[28:29], s[94:95], -1
	s_and_saveexec_b64 s[44:45], s[28:29]
	s_xor_b64 s[28:29], exec, s[44:45]
	s_cbranch_execz .LBB10_734
; %bb.733:                              ;   in Loop: Header=BB10_720 Depth=2
	v_or_b32_e32 v62, 64, v62
	s_waitcnt lgkmcnt(0)
	ds_write_b32 v0, v4
	s_trap 2
.LBB10_734:                             ;   in Loop: Header=BB10_720 Depth=2
	s_or_b64 exec, exec, s[28:29]
.LBB10_735:                             ;   in Loop: Header=BB10_720 Depth=2
	s_or_b64 exec, exec, s[42:43]
	v_and_b32_e32 v4, 0x108, v62
	v_cmp_ne_u32_e32 vcc, s67, v4
	;;#ASMSTART
	s_wakeup
	;;#ASMEND
                                        ; implicit-def: $vgpr4_vgpr5
	s_and_saveexec_b64 s[28:29], vcc
	s_xor_b64 s[28:29], exec, s[28:29]
	s_cbranch_execz .LBB10_737
; %bb.736:                              ;   in Loop: Header=BB10_720 Depth=2
	buffer_load_dword v4, off, s[0:3], s33 offset:60 ; 4-byte Folded Reload
	buffer_load_dword v5, off, s[0:3], s33 offset:64 ; 4-byte Folded Reload
	s_waitcnt vmcnt(0)
	v_mov_b32_e32 v5, v2
                                        ; implicit-def: $vgpr6_vgpr7
                                        ; kill: killed $vgpr6_vgpr7
	v_and_b32_e32 v4, 7, v4
.LBB10_737:                             ;   in Loop: Header=BB10_720 Depth=2
	s_andn2_saveexec_b64 s[28:29], s[28:29]
	s_cbranch_execz .LBB10_739
; %bb.738:                              ;   in Loop: Header=BB10_720 Depth=2
	buffer_load_dword v4, off, s[0:3], s33 offset:60 ; 4-byte Folded Reload
	buffer_load_dword v5, off, s[0:3], s33 offset:64 ; 4-byte Folded Reload
	;; [unrolled: 1-line block ×6, first 2 shown]
	v_ashrrev_i32_e32 v59, 31, v58
	v_lshlrev_b64 v[9:10], 1, v[58:59]
	buffer_load_dword v59, off, s[0:3], s33 offset:156 ; 4-byte Folded Reload
	s_waitcnt vmcnt(0)
	v_and_b32_e32 v4, 7, v4
	v_mad_u64_u32 v[7:8], s[42:43], v4, 24, v[5:6]
	v_mov_b32_e32 v5, v2
	flat_store_dwordx2 v[7:8], v[9:10] offset:8
.LBB10_739:                             ;   in Loop: Header=BB10_720 Depth=2
	s_or_b64 exec, exec, s[28:29]
	v_and_b32_e32 v6, 0x100, v62
	v_cmp_ne_u32_e32 vcc, 0, v6
	s_mov_b64 s[28:29], -1
                                        ; implicit-def: $vgpr8_vgpr9
	s_and_saveexec_b64 s[42:43], vcc
	s_cbranch_execz .LBB10_743
; %bb.740:                              ;   in Loop: Header=BB10_720 Depth=2
	buffer_load_dword v6, off, s[0:3], s33 offset:168 ; 4-byte Folded Reload
	buffer_load_dword v7, off, s[0:3], s33 offset:172 ; 4-byte Folded Reload
	;; [unrolled: 1-line block ×4, first 2 shown]
	s_waitcnt vmcnt(0)
	v_mad_u64_u32 v[10:11], s[28:29], v4, 24, v[6:7]
	v_mov_b32_e32 v7, v11
	v_mad_u64_u32 v[7:8], s[28:29], v5, 24, v[7:8]
                                        ; implicit-def: $vgpr8_vgpr9
	v_mov_b32_e32 v11, v7
	flat_load_dword v6, v[10:11]
	s_waitcnt vmcnt(0) lgkmcnt(0)
	v_cmp_ne_u32_e32 vcc, 1, v6
	v_cmp_eq_u32_e64 s[28:29], 1, v6
	s_and_saveexec_b64 s[44:45], s[28:29]
	s_cbranch_execz .LBB10_742
; %bb.741:                              ;   in Loop: Header=BB10_720 Depth=2
	flat_load_dword v7, v[10:11] offset:4 glc
	s_waitcnt vmcnt(0) lgkmcnt(0)
	v_ashrrev_i32_e32 v8, 31, v7
	v_lshrrev_b64 v[8:9], 1, v[7:8]
.LBB10_742:                             ;   in Loop: Header=BB10_720 Depth=2
	s_or_b64 exec, exec, s[44:45]
	s_orn2_b64 s[28:29], vcc, exec
.LBB10_743:                             ;   in Loop: Header=BB10_720 Depth=2
	s_or_b64 exec, exec, s[42:43]
	s_and_saveexec_b64 s[42:43], s[28:29]
	s_cbranch_execz .LBB10_745
; %bb.744:                              ;   in Loop: Header=BB10_720 Depth=2
	v_mul_lo_u32 v5, v5, v54
	v_mul_lo_u32 v6, v4, v59
	v_mad_u64_u32 v[8:9], s[28:29], v4, v54, 0
	v_add3_u32 v9, v9, v6, v5
.LBB10_745:                             ;   in Loop: Header=BB10_720 Depth=2
	s_or_b64 exec, exec, s[42:43]
	v_cmp_eq_u32_e32 vcc, 0, v12
	v_mov_b32_e32 v4, 0x90
	v_mov_b32_e32 v5, 0xd0
	v_cndmask_b32_e32 v6, v5, v4, vcc
	v_lshlrev_b64 v[4:5], 1, v[8:9]
	buffer_load_dword v7, off, s[0:3], s33 offset:84 ; 4-byte Folded Reload
	buffer_load_dword v8, off, s[0:3], s33 offset:88 ; 4-byte Folded Reload
	v_add_u32_e32 v6, v0, v6
	s_waitcnt vmcnt(0)
	v_add_co_u32_e32 v4, vcc, v7, v4
	v_addc_co_u32_e32 v5, vcc, v8, v5, vcc
	ds_write_b64 v6, v[4:5] offset:584
	v_and_b32_e32 v4, 0x2000, v62
	v_cmp_ne_u32_e32 vcc, 0, v4
	s_and_saveexec_b64 s[28:29], vcc
	s_cbranch_execz .LBB10_747
; %bb.746:                              ;   in Loop: Header=BB10_720 Depth=2
	ds_read_b64 v[4:5], v0 offset:872
	s_waitcnt lgkmcnt(0)
	v_add_co_u32_e32 v4, vcc, 1, v4
	v_addc_co_u32_e32 v5, vcc, 0, v5, vcc
	ds_write_b64 v0, v[4:5] offset:872
.LBB10_747:                             ;   in Loop: Header=BB10_720 Depth=2
	s_or_b64 exec, exec, s[28:29]
	buffer_store_dword v0, off, s[0:3], s33 offset:60 ; 4-byte Folded Spill
	s_nop 0
	buffer_store_dword v1, off, s[0:3], s33 offset:64 ; 4-byte Folded Spill
.LBB10_748:                             ;   in Loop: Header=BB10_720 Depth=2
	s_or_b64 exec, exec, s[40:41]
	s_and_saveexec_b64 s[28:29], s[10:11]
	s_cbranch_execz .LBB10_767
; %bb.749:                              ;   in Loop: Header=BB10_720 Depth=2
	s_and_saveexec_b64 s[40:41], s[60:61]
	s_xor_b64 s[40:41], exec, s[40:41]
	s_cbranch_execz .LBB10_764
; %bb.750:                              ;   in Loop: Header=BB10_720 Depth=2
	s_and_saveexec_b64 s[42:43], s[16:17]
	s_cbranch_execz .LBB10_763
; %bb.751:                              ;   in Loop: Header=BB10_720 Depth=2
	s_mov_b64 s[94:95], exec
	v_mbcnt_lo_u32_b32 v0, s94, 0
	v_mbcnt_hi_u32_b32 v0, s95, v0
	v_cmp_eq_u32_e32 vcc, 0, v0
	s_waitcnt vmcnt(0) lgkmcnt(0)
	buffer_wbinvl1_vol
	s_and_saveexec_b64 s[44:45], vcc
	s_cbranch_execz .LBB10_753
; %bb.752:                              ;   in Loop: Header=BB10_720 Depth=2
	s_bcnt1_i32_b64 s58, s[94:95]
	v_mov_b32_e32 v0, s58
	v_mov_b32_e32 v1, v2
	ds_add_u64 v0, v[0:1]
	s_trap 2
.LBB10_753:                             ;   in Loop: Header=BB10_720 Depth=2
	s_or_b64 exec, exec, s[44:45]
	s_trap 2
	ds_read_b64 v[0:1], v0
	s_waitcnt lgkmcnt(0)
	buffer_load_dword v4, off, s[0:3], s33 offset:68 ; 4-byte Folded Reload
	s_waitcnt vmcnt(0)
	v_add_co_u32_e32 v46, vcc, v46, v4
	v_addc_co_u32_e32 v47, vcc, 0, v47, vcc
	v_cmp_lt_u64_e32 vcc, v[0:1], v[46:47]
	s_and_saveexec_b64 s[44:45], vcc
	s_cbranch_execz .LBB10_762
; %bb.754:                              ;   in Loop: Header=BB10_720 Depth=2
	s_mov_b32 s58, 0
	s_mov_b64 s[94:95], 0
                                        ; implicit-def: $sgpr30_sgpr31
                                        ; implicit-def: $sgpr34_sgpr35
	s_branch .LBB10_756
.LBB10_755:                             ;   in Loop: Header=BB10_756 Depth=3
	s_or_b64 exec, exec, s[38:39]
	s_and_b64 vcc, exec, vcc
	s_or_b64 s[94:95], vcc, s[94:95]
	s_andn2_b64 vcc, s[30:31], exec
	s_and_b64 s[30:31], s[34:35], exec
	s_or_b64 s[30:31], vcc, s[30:31]
	s_andn2_b64 exec, exec, s[94:95]
	s_cbranch_execz .LBB10_760
.LBB10_756:                             ;   Parent Loop BB10_47 Depth=1
                                        ;     Parent Loop BB10_720 Depth=2
                                        ; =>    This Inner Loop Header: Depth=3
	s_add_i32 s58, s58, 1
	s_cmpk_lg_i32 s58, 0x2710
	s_cselect_b64 s[36:37], -1, 0
	s_and_b64 vcc, exec, s[36:37]
	s_cbranch_vccz .LBB10_758
; %bb.757:                              ;   in Loop: Header=BB10_756 Depth=3
	s_mov_b64 vcc, -1
	s_or_b64 s[34:35], s[34:35], exec
	s_and_saveexec_b64 s[38:39], s[36:37]
	s_cbranch_execz .LBB10_755
	s_branch .LBB10_759
.LBB10_758:                             ;   in Loop: Header=BB10_756 Depth=3
	s_trap 2
	ds_read_b64 v[0:1], v0
	s_andn2_b64 s[36:37], s[36:37], exec
	s_mov_b32 s58, 0
	s_waitcnt lgkmcnt(0)
	flat_load_dword v0, v[0:1] glc
	s_waitcnt vmcnt(0) lgkmcnt(0)
	buffer_wbinvl1_vol
	v_cmp_eq_u32_e32 vcc, 0, v0
	s_and_b64 vcc, vcc, exec
	s_or_b64 s[36:37], s[36:37], vcc
	s_mov_b64 vcc, -1
	s_or_b64 s[34:35], s[34:35], exec
	s_and_saveexec_b64 s[38:39], s[36:37]
	s_cbranch_execz .LBB10_755
.LBB10_759:                             ;   in Loop: Header=BB10_756 Depth=3
	s_sleep 1
	s_trap 2
	ds_read_b64 v[0:1], v0
	s_waitcnt lgkmcnt(0)
	s_andn2_b64 s[34:35], s[34:35], exec
	v_cmp_ge_u64_e32 vcc, v[0:1], v[46:47]
	s_orn2_b64 vcc, vcc, exec
	s_branch .LBB10_755
.LBB10_760:                             ;   in Loop: Header=BB10_720 Depth=2
	s_or_b64 exec, exec, s[94:95]
	s_and_saveexec_b64 s[94:95], s[30:31]
	s_xor_b64 s[94:95], exec, s[94:95]
	s_cbranch_execz .LBB10_762
; %bb.761:                              ;   in Loop: Header=BB10_720 Depth=2
	v_mov_b32_e32 v0, 1
	ds_write_b32 v0, v0
	s_trap 2
.LBB10_762:                             ;   in Loop: Header=BB10_720 Depth=2
	s_or_b64 exec, exec, s[44:45]
	;;#ASMSTART
	s_wakeup
	;;#ASMEND
.LBB10_763:                             ;   in Loop: Header=BB10_720 Depth=2
	s_or_b64 exec, exec, s[42:43]
.LBB10_764:                             ;   in Loop: Header=BB10_720 Depth=2
	s_andn2_saveexec_b64 s[40:41], s[40:41]
	s_cbranch_execz .LBB10_766
; %bb.765:                              ;   in Loop: Header=BB10_720 Depth=2
	s_waitcnt vmcnt(0) lgkmcnt(0)
	buffer_wbinvl1_vol
	s_barrier
.LBB10_766:                             ;   in Loop: Header=BB10_720 Depth=2
	s_or_b64 exec, exec, s[40:41]
.LBB10_767:                             ;   in Loop: Header=BB10_720 Depth=2
	s_or_b64 exec, exec, s[28:29]
	s_trap 2
	ds_read_b32 v0, v0
	v_and_b32_e32 v1, 0x4000, v62
	v_cmp_ne_u32_e32 vcc, 0, v1
	s_xor_b64 s[28:29], s[6:7], -1
	s_and_b64 s[40:41], s[28:29], vcc
	s_and_saveexec_b64 s[28:29], s[40:41]
	s_cbranch_execz .LBB10_786
; %bb.768:                              ;   in Loop: Header=BB10_720 Depth=2
	s_and_saveexec_b64 s[40:41], s[60:61]
	s_xor_b64 s[40:41], exec, s[40:41]
	s_cbranch_execz .LBB10_783
; %bb.769:                              ;   in Loop: Header=BB10_720 Depth=2
	s_and_saveexec_b64 s[42:43], s[16:17]
	s_cbranch_execz .LBB10_782
; %bb.770:                              ;   in Loop: Header=BB10_720 Depth=2
	s_mov_b64 s[94:95], exec
	v_mbcnt_lo_u32_b32 v1, s94, 0
	v_mbcnt_hi_u32_b32 v1, s95, v1
	v_cmp_eq_u32_e32 vcc, 0, v1
	s_waitcnt vmcnt(0) lgkmcnt(0)
	buffer_wbinvl1_vol
	s_and_saveexec_b64 s[44:45], vcc
	s_cbranch_execz .LBB10_772
; %bb.771:                              ;   in Loop: Header=BB10_720 Depth=2
	s_bcnt1_i32_b64 s58, s[94:95]
	v_mov_b32_e32 v4, s58
	v_mov_b32_e32 v5, v2
	ds_add_u64 v0, v[4:5]
	s_trap 2
.LBB10_772:                             ;   in Loop: Header=BB10_720 Depth=2
	s_or_b64 exec, exec, s[44:45]
	s_trap 2
	ds_read_b64 v[4:5], v0
	s_waitcnt lgkmcnt(0)
	buffer_load_dword v1, off, s[0:3], s33 offset:68 ; 4-byte Folded Reload
	s_waitcnt vmcnt(0)
	v_add_co_u32_e32 v46, vcc, v46, v1
	v_addc_co_u32_e32 v47, vcc, 0, v47, vcc
	v_cmp_lt_u64_e32 vcc, v[4:5], v[46:47]
	s_and_saveexec_b64 s[44:45], vcc
	s_cbranch_execz .LBB10_781
; %bb.773:                              ;   in Loop: Header=BB10_720 Depth=2
	s_mov_b32 s58, 0
	s_mov_b64 s[94:95], 0
                                        ; implicit-def: $sgpr30_sgpr31
                                        ; implicit-def: $sgpr34_sgpr35
	s_branch .LBB10_775
.LBB10_774:                             ;   in Loop: Header=BB10_775 Depth=3
	s_or_b64 exec, exec, s[38:39]
	s_and_b64 vcc, exec, vcc
	s_or_b64 s[94:95], vcc, s[94:95]
	s_andn2_b64 vcc, s[30:31], exec
	s_and_b64 s[30:31], s[34:35], exec
	s_or_b64 s[30:31], vcc, s[30:31]
	s_andn2_b64 exec, exec, s[94:95]
	s_cbranch_execz .LBB10_779
.LBB10_775:                             ;   Parent Loop BB10_47 Depth=1
                                        ;     Parent Loop BB10_720 Depth=2
                                        ; =>    This Inner Loop Header: Depth=3
	s_add_i32 s58, s58, 1
	s_cmpk_lg_i32 s58, 0x2710
	s_cselect_b64 s[36:37], -1, 0
	s_and_b64 vcc, exec, s[36:37]
	s_cbranch_vccz .LBB10_777
; %bb.776:                              ;   in Loop: Header=BB10_775 Depth=3
	s_mov_b64 vcc, -1
	s_or_b64 s[34:35], s[34:35], exec
	s_and_saveexec_b64 s[38:39], s[36:37]
	s_cbranch_execz .LBB10_774
	s_branch .LBB10_778
.LBB10_777:                             ;   in Loop: Header=BB10_775 Depth=3
	s_trap 2
	ds_read_b64 v[4:5], v0
	s_andn2_b64 s[36:37], s[36:37], exec
	s_mov_b32 s58, 0
	s_waitcnt lgkmcnt(0)
	flat_load_dword v1, v[4:5] glc
	s_waitcnt vmcnt(0) lgkmcnt(0)
	buffer_wbinvl1_vol
	v_cmp_eq_u32_e32 vcc, 0, v1
	s_and_b64 vcc, vcc, exec
	s_or_b64 s[36:37], s[36:37], vcc
	s_mov_b64 vcc, -1
	s_or_b64 s[34:35], s[34:35], exec
	s_and_saveexec_b64 s[38:39], s[36:37]
	s_cbranch_execz .LBB10_774
.LBB10_778:                             ;   in Loop: Header=BB10_775 Depth=3
	s_sleep 1
	s_trap 2
	ds_read_b64 v[4:5], v0
	s_waitcnt lgkmcnt(0)
	s_andn2_b64 s[34:35], s[34:35], exec
	v_cmp_ge_u64_e32 vcc, v[4:5], v[46:47]
	s_orn2_b64 vcc, vcc, exec
	s_branch .LBB10_774
.LBB10_779:                             ;   in Loop: Header=BB10_720 Depth=2
	s_or_b64 exec, exec, s[94:95]
	s_and_saveexec_b64 s[94:95], s[30:31]
	s_xor_b64 s[94:95], exec, s[94:95]
	s_cbranch_execz .LBB10_781
; %bb.780:                              ;   in Loop: Header=BB10_720 Depth=2
	v_mov_b32_e32 v1, 1
	ds_write_b32 v0, v1
	s_trap 2
.LBB10_781:                             ;   in Loop: Header=BB10_720 Depth=2
	s_or_b64 exec, exec, s[44:45]
	;;#ASMSTART
	s_wakeup
	;;#ASMEND
.LBB10_782:                             ;   in Loop: Header=BB10_720 Depth=2
	s_or_b64 exec, exec, s[42:43]
.LBB10_783:                             ;   in Loop: Header=BB10_720 Depth=2
	s_andn2_saveexec_b64 s[40:41], s[40:41]
	s_cbranch_execz .LBB10_785
; %bb.784:                              ;   in Loop: Header=BB10_720 Depth=2
	s_waitcnt vmcnt(0) lgkmcnt(0)
	buffer_wbinvl1_vol
	s_barrier
.LBB10_785:                             ;   in Loop: Header=BB10_720 Depth=2
	s_or_b64 exec, exec, s[40:41]
.LBB10_786:                             ;   in Loop: Header=BB10_720 Depth=2
	s_or_b64 exec, exec, s[28:29]
	s_trap 2
	s_waitcnt lgkmcnt(0)
	ds_read_b64 v[4:5], v0
	s_waitcnt lgkmcnt(0)
	buffer_store_dword v4, off, s[0:3], s33 offset:144 ; 4-byte Folded Spill
	s_nop 0
	buffer_store_dword v5, off, s[0:3], s33 offset:148 ; 4-byte Folded Spill
	v_cmp_eq_u64_e32 vcc, 0, v[4:5]
	s_cbranch_vccnz .LBB10_795
; %bb.787:                              ;   in Loop: Header=BB10_720 Depth=2
	s_trap 2
	ds_read_b64 v[4:5], v0
	s_waitcnt lgkmcnt(0)
	buffer_store_dword v4, off, s[0:3], s33 offset:208 ; 4-byte Folded Spill
	s_nop 0
	buffer_store_dword v5, off, s[0:3], s33 offset:212 ; 4-byte Folded Spill
	v_cmp_eq_u64_e32 vcc, 0, v[4:5]
	s_cbranch_vccnz .LBB10_795
; %bb.788:                              ;   in Loop: Header=BB10_720 Depth=2
	s_trap 2
	ds_read_b64 v[28:29], v0
	v_cmp_eq_u32_e32 vcc, 0, v0
	v_cndmask_b32_e32 v45, 0, v58, vcc
	v_lshlrev_b32_e32 v61, 1, v45
	s_waitcnt lgkmcnt(0)
	v_cmp_ne_u64_e32 vcc, 0, v[28:29]
	v_readfirstlane_b32 s48, v28
	s_cbranch_vccz .LBB10_800
; %bb.789:                              ;   in Loop: Header=BB10_720 Depth=2
	s_mov_b64 s[40:41], -1
	s_and_saveexec_b64 s[28:29], s[22:23]
	s_cbranch_execz .LBB10_791
; %bb.790:                              ;   in Loop: Header=BB10_720 Depth=2
	ds_read_b32 v0, v0 offset:720
	s_waitcnt lgkmcnt(0)
	v_and_b32_e32 v0, 15, v0
	v_cmp_eq_u32_e32 vcc, 0, v0
	s_orn2_b64 s[40:41], vcc, exec
.LBB10_791:                             ;   in Loop: Header=BB10_720 Depth=2
	s_or_b64 exec, exec, s[28:29]
	s_and_saveexec_b64 s[28:29], s[22:23]
	s_cbranch_execz .LBB10_793
; %bb.792:                              ;   in Loop: Header=BB10_720 Depth=2
	ds_read_b32 v0, v0 offset:784
	s_waitcnt lgkmcnt(0)
	v_and_b32_e32 v0, 15, v0
	v_cmp_eq_u32_e32 vcc, 0, v0
	s_and_b64 s[42:43], s[40:41], vcc
	s_andn2_b64 s[40:41], s[40:41], exec
	s_and_b64 s[42:43], s[42:43], exec
	s_or_b64 s[40:41], s[40:41], s[42:43]
.LBB10_793:                             ;   in Loop: Header=BB10_720 Depth=2
	s_or_b64 exec, exec, s[28:29]
	s_xor_b64 s[40:41], s[40:41], -1
	v_cndmask_b32_e64 v0, 0, 1, s[40:41]
	s_mov_b64 s[28:29], -1
	v_mov_b32_e32 v12, 0
	v_cmp_ne_u32_e32 vcc, 0, v0
	v_mov_b32_e32 v13, v61
	v_mov_b32_e32 v14, v55
	s_cbranch_vccz .LBB10_802
; %bb.794:                              ;   in Loop: Header=BB10_720 Depth=2
	s_and_saveexec_b64 s[44:45], s[28:29]
	s_cbranch_execnz .LBB10_975
	s_branch .LBB10_1053
.LBB10_795:                             ;   in Loop: Header=BB10_720 Depth=2
	s_mov_b64 s[28:29], 0
	s_and_saveexec_b64 s[40:41], s[10:11]
	s_cbranch_execnz .LBB10_1308
.LBB10_796:                             ;   in Loop: Header=BB10_720 Depth=2
	s_or_b64 exec, exec, s[40:41]
                                        ; implicit-def: $vgpr0
	s_and_saveexec_b64 s[40:41], s[24:25]
	s_xor_b64 s[40:41], exec, s[40:41]
	s_cbranch_execz .LBB10_1326
.LBB10_797:                             ;   in Loop: Header=BB10_720 Depth=2
	v_and_b32_e32 v1, 16, v62
	v_cmp_ne_u32_e32 vcc, 0, v1
	v_and_b32_e32 v0, 16, v62
	s_and_b64 s[42:43], vcc, s[28:29]
	s_and_saveexec_b64 s[28:29], s[42:43]
	s_cbranch_execz .LBB10_799
; %bb.798:                              ;   in Loop: Header=BB10_720 Depth=2
	v_mov_b32_e32 v0, 1
	s_waitcnt vmcnt(0) lgkmcnt(0)
	buffer_wbinvl1_vol
.LBB10_799:                             ;   in Loop: Header=BB10_720 Depth=2
	s_or_b64 exec, exec, s[28:29]
	s_andn2_saveexec_b64 s[28:29], s[40:41]
	s_cbranch_execz .LBB10_1345
	s_branch .LBB10_1327
.LBB10_800:                             ;   in Loop: Header=BB10_720 Depth=2
	s_cbranch_execnz .LBB10_1054
.LBB10_801:                             ;   in Loop: Header=BB10_720 Depth=2
	s_waitcnt vmcnt(0)
	v_cmp_lt_i32_e64 s[28:29], 0, v45
	s_and_saveexec_b64 s[40:41], s[10:11]
	s_cbranch_execnz .LBB10_1308
	s_branch .LBB10_796
.LBB10_802:                             ;   in Loop: Header=BB10_720 Depth=2
	v_ashrrev_i32_e32 v0, 31, v61
	v_lshrrev_b32_e32 v0, 20, v0
	v_add_u32_e32 v0, v61, v0
	v_ashrrev_i32_e32 v1, 12, v0
	buffer_load_dword v0, off, s[0:3], s33 offset:152 ; 4-byte Folded Reload
	s_waitcnt vmcnt(0)
	v_sub_u32_e32 v0, v1, v0
	v_cmp_lt_i32_e32 vcc, 0, v0
	s_and_saveexec_b64 s[40:41], vcc
	s_cbranch_execz .LBB10_934
; %bb.803:                              ;   in Loop: Header=BB10_720 Depth=2
	buffer_store_dword v1, off, s[0:3], s33 offset:232 ; 4-byte Folded Spill
	s_trap 2
	ds_read_b64 v[4:5], v0
	buffer_load_dword v1, off, s[0:3], s33 offset:184 ; 4-byte Folded Reload
	buffer_load_dword v6, off, s[0:3], s33 offset:144 ; 4-byte Folded Reload
	;; [unrolled: 1-line block ×3, first 2 shown]
	s_and_b32 s58, s48, 1
	s_cmp_eq_u64 s[58:59], 0
	v_mov_b32_e32 v31, v29
	s_mov_b64 s[42:43], 0
	v_mov_b32_e32 v30, v28
	s_waitcnt vmcnt(1)
	v_add_co_u32_e32 v52, vcc, v6, v1
	s_waitcnt vmcnt(0)
	v_addc_co_u32_e32 v53, vcc, 0, v7, vcc
	s_waitcnt lgkmcnt(0)
	v_add_co_u32_e32 v59, vcc, v4, v1
	v_addc_co_u32_e32 v60, vcc, 0, v5, vcc
	buffer_load_dword v4, off, s[0:3], s33 offset:208 ; 4-byte Folded Reload
	buffer_load_dword v5, off, s[0:3], s33 offset:212 ; 4-byte Folded Reload
	s_cselect_b64 vcc, -1, 0
	s_branch .LBB10_805
.LBB10_804:                             ;   in Loop: Header=BB10_805 Depth=3
	s_or_b64 exec, exec, s[44:45]
	v_lshrrev_b32_e32 v6, 16, v20
	v_and_or_b32 v17, v17, s70, v6
	v_lshrrev_b32_e32 v6, 16, v35
	v_and_or_b32 v16, v16, s70, v6
	;; [unrolled: 2-line block ×5, first 2 shown]
	v_lshrrev_b32_e32 v6, 16, v51
	v_lshrrev_b32_e32 v1, 16, v1
	v_and_or_b32 v24, v24, s70, v6
	v_lshrrev_b32_e32 v6, 16, v33
	v_and_or_b32 v32, v36, s70, v1
	;; [unrolled: 2-line block ×5, first 2 shown]
	buffer_load_dword v1, off, s[0:3], s33 offset:184 ; 4-byte Folded Reload
	v_and_or_b32 v27, v27, s70, v6
	v_lshrrev_b32_e32 v6, 16, v48
	v_and_or_b32 v33, v37, s70, v6
	s_waitcnt vmcnt(0)
	v_add_co_u32_e64 v20, s[28:29], v1, v4
	v_addc_co_u32_e64 v21, s[28:29], 0, v5, s[28:29]
	v_add_co_u32_e64 v36, s[28:29], v1, v30
	v_lshrrev_b32_e32 v1, 16, v12
	v_and_or_b32 v9, v9, s70, v1
	v_lshrrev_b32_e32 v1, 16, v23
	v_and_or_b32 v8, v8, s70, v1
	;; [unrolled: 2-line block ×3, first 2 shown]
	v_lshrrev_b32_e32 v1, 16, v14
	v_addc_co_u32_e64 v37, s[28:29], 0, v31, s[28:29]
	v_and_or_b32 v11, v11, s70, v1
	global_store_dwordx4 v[20:21], v[32:35], off glc slc
	global_store_dwordx4 v[20:21], v[24:27], off offset:1024 glc slc
	global_store_dwordx4 v[20:21], v[16:19], off offset:2048 glc slc
	global_store_dwordx4 v[20:21], v[8:11], off offset:3072 glc slc
	global_store_dwordx4 v[36:37], v[32:35], off glc slc
	global_store_dwordx4 v[36:37], v[24:27], off offset:1024 glc slc
	global_store_dwordx4 v[36:37], v[16:19], off offset:2048 glc slc
	;; [unrolled: 1-line block ×3, first 2 shown]
	buffer_load_dword v6, off, s[0:3], s33 offset:72 ; 4-byte Folded Reload
	buffer_load_dword v1, off, s[0:3], s33 offset:68 ; 4-byte Folded Reload
	s_waitcnt vmcnt(1)
	v_add_co_u32_e64 v52, s[28:29], v52, v6
	v_addc_co_u32_e64 v53, s[28:29], 0, v53, s[28:29]
	v_add_co_u32_e64 v59, s[28:29], v59, v6
	v_addc_co_u32_e64 v60, s[28:29], 0, v60, s[28:29]
	v_add_co_u32_e64 v4, s[28:29], v4, v6
	s_waitcnt vmcnt(0)
	v_sub_u32_e32 v0, v0, v1
	v_addc_co_u32_e64 v5, s[28:29], 0, v5, s[28:29]
	v_cmp_gt_i32_e64 s[28:29], 1, v0
	s_or_b64 s[42:43], s[28:29], s[42:43]
	v_add_co_u32_e64 v30, s[28:29], v30, v6
	v_addc_co_u32_e64 v31, s[28:29], 0, v31, s[28:29]
	s_andn2_b64 exec, exec, s[42:43]
	s_cbranch_execz .LBB10_933
.LBB10_805:                             ;   Parent Loop BB10_47 Depth=1
                                        ;     Parent Loop BB10_720 Depth=2
                                        ; =>    This Inner Loop Header: Depth=3
	global_load_dwordx4 v[36:39], v[52:53], off glc slc
	global_load_dwordx4 v[48:51], v[59:60], off glc slc
	global_load_dwordx4 v[24:27], v[52:53], off offset:1024 glc slc
	global_load_dwordx4 v[16:19], v[52:53], off offset:2048 glc slc
	;; [unrolled: 1-line block ×6, first 2 shown]
	s_waitcnt vmcnt(7)
	v_lshlrev_b32_e32 v1, 16, v36
	s_waitcnt vmcnt(6)
	v_lshlrev_b32_e32 v6, 16, v48
	v_max_f32_e32 v6, v6, v6
	v_max_f32_e32 v1, v1, v1
	v_min_f32_e32 v7, v1, v6
	v_max_f32_e32 v1, v1, v6
	v_cndmask_b32_e32 v7, v1, v7, vcc
	v_and_b32_e32 v1, 0x7f800000, v7
	v_cmp_ne_u32_e64 s[28:29], s68, v1
                                        ; implicit-def: $vgpr1
	s_and_saveexec_b64 s[44:45], s[28:29]
	s_xor_b64 s[28:29], exec, s[44:45]
; %bb.806:                              ;   in Loop: Header=BB10_805 Depth=3
	v_bfe_u32 v1, v7, 16, 1
	v_add3_u32 v1, v7, v1, s69
                                        ; implicit-def: $vgpr7
; %bb.807:                              ;   in Loop: Header=BB10_805 Depth=3
	s_andn2_saveexec_b64 s[44:45], s[28:29]
; %bb.808:                              ;   in Loop: Header=BB10_805 Depth=3
	v_or_b32_e32 v1, 0x10000, v7
	v_cmp_eq_u32_sdwa s[28:29], v7, v2 src0_sel:WORD_0 src1_sel:DWORD
	v_cndmask_b32_e64 v1, v1, v7, s[28:29]
; %bb.809:                              ;   in Loop: Header=BB10_805 Depth=3
	s_or_b64 exec, exec, s[44:45]
	v_and_b32_e32 v6, 0xffff0000, v36
	v_and_b32_e32 v7, 0xffff0000, v48
	v_max_f32_e32 v7, v7, v7
	v_max_f32_e32 v6, v6, v6
	v_min_f32_e32 v36, v6, v7
	v_max_f32_e32 v6, v6, v7
	v_cndmask_b32_e32 v7, v6, v36, vcc
	v_and_b32_e32 v6, 0x7f800000, v7
	v_cmp_ne_u32_e64 s[28:29], s68, v6
                                        ; implicit-def: $vgpr36
	s_and_saveexec_b64 s[44:45], s[28:29]
	s_xor_b64 s[28:29], exec, s[44:45]
; %bb.810:                              ;   in Loop: Header=BB10_805 Depth=3
	v_bfe_u32 v6, v7, 16, 1
	v_add3_u32 v36, v7, v6, s69
                                        ; implicit-def: $vgpr7
; %bb.811:                              ;   in Loop: Header=BB10_805 Depth=3
	s_andn2_saveexec_b64 s[44:45], s[28:29]
; %bb.812:                              ;   in Loop: Header=BB10_805 Depth=3
	v_or_b32_e32 v6, 0x10000, v7
	v_cmp_eq_u32_sdwa s[28:29], v7, v2 src0_sel:WORD_0 src1_sel:DWORD
	v_cndmask_b32_e64 v36, v6, v7, s[28:29]
; %bb.813:                              ;   in Loop: Header=BB10_805 Depth=3
	s_or_b64 exec, exec, s[44:45]
	v_lshlrev_b32_e32 v6, 16, v37
	v_lshlrev_b32_e32 v7, 16, v49
	v_max_f32_e32 v7, v7, v7
	v_max_f32_e32 v6, v6, v6
	v_min_f32_e32 v48, v6, v7
	v_max_f32_e32 v6, v6, v7
	v_cndmask_b32_e32 v7, v6, v48, vcc
	v_and_b32_e32 v6, 0x7f800000, v7
	v_cmp_ne_u32_e64 s[28:29], s68, v6
                                        ; implicit-def: $vgpr48
	s_and_saveexec_b64 s[44:45], s[28:29]
	s_xor_b64 s[28:29], exec, s[44:45]
; %bb.814:                              ;   in Loop: Header=BB10_805 Depth=3
	v_bfe_u32 v6, v7, 16, 1
	v_add3_u32 v48, v7, v6, s69
                                        ; implicit-def: $vgpr7
; %bb.815:                              ;   in Loop: Header=BB10_805 Depth=3
	s_andn2_saveexec_b64 s[44:45], s[28:29]
; %bb.816:                              ;   in Loop: Header=BB10_805 Depth=3
	v_or_b32_e32 v6, 0x10000, v7
	v_cmp_eq_u32_sdwa s[28:29], v7, v2 src0_sel:WORD_0 src1_sel:DWORD
	v_cndmask_b32_e64 v48, v6, v7, s[28:29]
; %bb.817:                              ;   in Loop: Header=BB10_805 Depth=3
	s_or_b64 exec, exec, s[44:45]
	v_and_b32_e32 v6, 0xffff0000, v37
	v_and_b32_e32 v7, 0xffff0000, v49
	v_max_f32_e32 v7, v7, v7
	v_max_f32_e32 v6, v6, v6
	v_min_f32_e32 v37, v6, v7
	v_max_f32_e32 v6, v6, v7
	v_cndmask_b32_e32 v7, v6, v37, vcc
	v_and_b32_e32 v6, 0x7f800000, v7
	v_cmp_ne_u32_e64 s[28:29], s68, v6
                                        ; implicit-def: $vgpr37
	s_and_saveexec_b64 s[44:45], s[28:29]
	s_xor_b64 s[28:29], exec, s[44:45]
; %bb.818:                              ;   in Loop: Header=BB10_805 Depth=3
	v_bfe_u32 v6, v7, 16, 1
	v_add3_u32 v37, v7, v6, s69
                                        ; implicit-def: $vgpr7
; %bb.819:                              ;   in Loop: Header=BB10_805 Depth=3
	s_andn2_saveexec_b64 s[44:45], s[28:29]
; %bb.820:                              ;   in Loop: Header=BB10_805 Depth=3
	v_or_b32_e32 v6, 0x10000, v7
	v_cmp_eq_u32_sdwa s[28:29], v7, v2 src0_sel:WORD_0 src1_sel:DWORD
	v_cndmask_b32_e64 v37, v6, v7, s[28:29]
; %bb.821:                              ;   in Loop: Header=BB10_805 Depth=3
	s_or_b64 exec, exec, s[44:45]
	v_lshlrev_b32_e32 v6, 16, v38
	v_lshlrev_b32_e32 v7, 16, v50
	v_max_f32_e32 v7, v7, v7
	v_max_f32_e32 v6, v6, v6
	v_min_f32_e32 v49, v6, v7
	v_max_f32_e32 v6, v6, v7
	v_cndmask_b32_e32 v7, v6, v49, vcc
	v_and_b32_e32 v6, 0x7f800000, v7
	v_cmp_ne_u32_e64 s[28:29], s68, v6
                                        ; implicit-def: $vgpr49
	s_and_saveexec_b64 s[44:45], s[28:29]
	s_xor_b64 s[28:29], exec, s[44:45]
; %bb.822:                              ;   in Loop: Header=BB10_805 Depth=3
	v_bfe_u32 v6, v7, 16, 1
	v_add3_u32 v49, v7, v6, s69
                                        ; implicit-def: $vgpr7
; %bb.823:                              ;   in Loop: Header=BB10_805 Depth=3
	s_andn2_saveexec_b64 s[44:45], s[28:29]
; %bb.824:                              ;   in Loop: Header=BB10_805 Depth=3
	v_or_b32_e32 v6, 0x10000, v7
	v_cmp_eq_u32_sdwa s[28:29], v7, v2 src0_sel:WORD_0 src1_sel:DWORD
	v_cndmask_b32_e64 v49, v6, v7, s[28:29]
; %bb.825:                              ;   in Loop: Header=BB10_805 Depth=3
	s_or_b64 exec, exec, s[44:45]
	v_and_b32_e32 v6, 0xffff0000, v38
	v_and_b32_e32 v7, 0xffff0000, v50
	v_max_f32_e32 v7, v7, v7
	v_max_f32_e32 v6, v6, v6
	v_min_f32_e32 v38, v6, v7
	v_max_f32_e32 v6, v6, v7
	v_cndmask_b32_e32 v7, v6, v38, vcc
	v_and_b32_e32 v6, 0x7f800000, v7
	v_cmp_ne_u32_e64 s[28:29], s68, v6
                                        ; implicit-def: $vgpr38
	s_and_saveexec_b64 s[44:45], s[28:29]
	s_xor_b64 s[28:29], exec, s[44:45]
; %bb.826:                              ;   in Loop: Header=BB10_805 Depth=3
	v_bfe_u32 v6, v7, 16, 1
	v_add3_u32 v38, v7, v6, s69
                                        ; implicit-def: $vgpr7
; %bb.827:                              ;   in Loop: Header=BB10_805 Depth=3
	s_andn2_saveexec_b64 s[44:45], s[28:29]
; %bb.828:                              ;   in Loop: Header=BB10_805 Depth=3
	v_or_b32_e32 v6, 0x10000, v7
	v_cmp_eq_u32_sdwa s[28:29], v7, v2 src0_sel:WORD_0 src1_sel:DWORD
	v_cndmask_b32_e64 v38, v6, v7, s[28:29]
; %bb.829:                              ;   in Loop: Header=BB10_805 Depth=3
	s_or_b64 exec, exec, s[44:45]
	v_lshlrev_b32_e32 v6, 16, v39
	v_lshlrev_b32_e32 v7, 16, v51
	v_max_f32_e32 v7, v7, v7
	v_max_f32_e32 v6, v6, v6
	v_min_f32_e32 v50, v6, v7
	v_max_f32_e32 v6, v6, v7
	v_cndmask_b32_e32 v7, v6, v50, vcc
	v_and_b32_e32 v6, 0x7f800000, v7
	v_cmp_ne_u32_e64 s[28:29], s68, v6
                                        ; implicit-def: $vgpr50
	s_and_saveexec_b64 s[44:45], s[28:29]
	s_xor_b64 s[28:29], exec, s[44:45]
; %bb.830:                              ;   in Loop: Header=BB10_805 Depth=3
	v_bfe_u32 v6, v7, 16, 1
	v_add3_u32 v50, v7, v6, s69
                                        ; implicit-def: $vgpr7
; %bb.831:                              ;   in Loop: Header=BB10_805 Depth=3
	s_andn2_saveexec_b64 s[44:45], s[28:29]
; %bb.832:                              ;   in Loop: Header=BB10_805 Depth=3
	v_or_b32_e32 v6, 0x10000, v7
	v_cmp_eq_u32_sdwa s[28:29], v7, v2 src0_sel:WORD_0 src1_sel:DWORD
	v_cndmask_b32_e64 v50, v6, v7, s[28:29]
; %bb.833:                              ;   in Loop: Header=BB10_805 Depth=3
	s_or_b64 exec, exec, s[44:45]
	v_and_b32_e32 v6, 0xffff0000, v39
	v_and_b32_e32 v7, 0xffff0000, v51
	v_max_f32_e32 v7, v7, v7
	v_max_f32_e32 v6, v6, v6
	v_min_f32_e32 v39, v6, v7
	v_max_f32_e32 v6, v6, v7
	v_cndmask_b32_e32 v7, v6, v39, vcc
	v_and_b32_e32 v6, 0x7f800000, v7
	v_cmp_ne_u32_e64 s[28:29], s68, v6
                                        ; implicit-def: $vgpr39
	s_and_saveexec_b64 s[44:45], s[28:29]
	s_xor_b64 s[28:29], exec, s[44:45]
; %bb.834:                              ;   in Loop: Header=BB10_805 Depth=3
	v_bfe_u32 v6, v7, 16, 1
	v_add3_u32 v39, v7, v6, s69
                                        ; implicit-def: $vgpr7
; %bb.835:                              ;   in Loop: Header=BB10_805 Depth=3
	s_andn2_saveexec_b64 s[44:45], s[28:29]
; %bb.836:                              ;   in Loop: Header=BB10_805 Depth=3
	v_or_b32_e32 v6, 0x10000, v7
	v_cmp_eq_u32_sdwa s[28:29], v7, v2 src0_sel:WORD_0 src1_sel:DWORD
	v_cndmask_b32_e64 v39, v6, v7, s[28:29]
; %bb.837:                              ;   in Loop: Header=BB10_805 Depth=3
	s_or_b64 exec, exec, s[44:45]
	s_waitcnt vmcnt(5)
	v_lshlrev_b32_e32 v6, 16, v24
	s_waitcnt vmcnt(2)
	v_lshlrev_b32_e32 v7, 16, v32
	v_max_f32_e32 v7, v7, v7
	v_max_f32_e32 v6, v6, v6
	v_min_f32_e32 v51, v6, v7
	v_max_f32_e32 v6, v6, v7
	v_cndmask_b32_e32 v7, v6, v51, vcc
	v_and_b32_e32 v6, 0x7f800000, v7
	v_cmp_ne_u32_e64 s[28:29], s68, v6
                                        ; implicit-def: $vgpr51
	s_and_saveexec_b64 s[44:45], s[28:29]
	s_xor_b64 s[28:29], exec, s[44:45]
; %bb.838:                              ;   in Loop: Header=BB10_805 Depth=3
	v_bfe_u32 v6, v7, 16, 1
	v_add3_u32 v51, v7, v6, s69
                                        ; implicit-def: $vgpr7
; %bb.839:                              ;   in Loop: Header=BB10_805 Depth=3
	s_andn2_saveexec_b64 s[44:45], s[28:29]
; %bb.840:                              ;   in Loop: Header=BB10_805 Depth=3
	v_or_b32_e32 v6, 0x10000, v7
	v_cmp_eq_u32_sdwa s[28:29], v7, v2 src0_sel:WORD_0 src1_sel:DWORD
	v_cndmask_b32_e64 v51, v6, v7, s[28:29]
; %bb.841:                              ;   in Loop: Header=BB10_805 Depth=3
	s_or_b64 exec, exec, s[44:45]
	v_and_b32_e32 v6, 0xffff0000, v24
	v_and_b32_e32 v7, 0xffff0000, v32
	v_max_f32_e32 v7, v7, v7
	v_max_f32_e32 v6, v6, v6
	v_min_f32_e32 v24, v6, v7
	v_max_f32_e32 v6, v6, v7
	v_cndmask_b32_e32 v7, v6, v24, vcc
	v_and_b32_e32 v6, 0x7f800000, v7
	v_cmp_ne_u32_e64 s[28:29], s68, v6
                                        ; implicit-def: $vgpr24
	s_and_saveexec_b64 s[44:45], s[28:29]
	s_xor_b64 s[28:29], exec, s[44:45]
; %bb.842:                              ;   in Loop: Header=BB10_805 Depth=3
	v_bfe_u32 v6, v7, 16, 1
	v_add3_u32 v24, v7, v6, s69
                                        ; implicit-def: $vgpr7
; %bb.843:                              ;   in Loop: Header=BB10_805 Depth=3
	s_andn2_saveexec_b64 s[44:45], s[28:29]
; %bb.844:                              ;   in Loop: Header=BB10_805 Depth=3
	v_or_b32_e32 v6, 0x10000, v7
	v_cmp_eq_u32_sdwa s[28:29], v7, v2 src0_sel:WORD_0 src1_sel:DWORD
	v_cndmask_b32_e64 v24, v6, v7, s[28:29]
; %bb.845:                              ;   in Loop: Header=BB10_805 Depth=3
	s_or_b64 exec, exec, s[44:45]
	v_lshlrev_b32_e32 v6, 16, v25
	v_lshlrev_b32_e32 v7, 16, v33
	v_max_f32_e32 v7, v7, v7
	v_max_f32_e32 v6, v6, v6
	v_min_f32_e32 v32, v6, v7
	v_max_f32_e32 v6, v6, v7
	v_cndmask_b32_e32 v7, v6, v32, vcc
	v_and_b32_e32 v6, 0x7f800000, v7
	v_cmp_ne_u32_e64 s[28:29], s68, v6
                                        ; implicit-def: $vgpr32
	s_and_saveexec_b64 s[44:45], s[28:29]
	s_xor_b64 s[28:29], exec, s[44:45]
; %bb.846:                              ;   in Loop: Header=BB10_805 Depth=3
	v_bfe_u32 v6, v7, 16, 1
	v_add3_u32 v32, v7, v6, s69
                                        ; implicit-def: $vgpr7
; %bb.847:                              ;   in Loop: Header=BB10_805 Depth=3
	s_andn2_saveexec_b64 s[44:45], s[28:29]
; %bb.848:                              ;   in Loop: Header=BB10_805 Depth=3
	v_or_b32_e32 v6, 0x10000, v7
	v_cmp_eq_u32_sdwa s[28:29], v7, v2 src0_sel:WORD_0 src1_sel:DWORD
	v_cndmask_b32_e64 v32, v6, v7, s[28:29]
; %bb.849:                              ;   in Loop: Header=BB10_805 Depth=3
	s_or_b64 exec, exec, s[44:45]
	v_and_b32_e32 v6, 0xffff0000, v25
	v_and_b32_e32 v7, 0xffff0000, v33
	v_max_f32_e32 v7, v7, v7
	v_max_f32_e32 v6, v6, v6
	v_min_f32_e32 v25, v6, v7
	v_max_f32_e32 v6, v6, v7
	v_cndmask_b32_e32 v7, v6, v25, vcc
	v_and_b32_e32 v6, 0x7f800000, v7
	v_cmp_ne_u32_e64 s[28:29], s68, v6
                                        ; implicit-def: $vgpr25
	s_and_saveexec_b64 s[44:45], s[28:29]
	s_xor_b64 s[28:29], exec, s[44:45]
; %bb.850:                              ;   in Loop: Header=BB10_805 Depth=3
	v_bfe_u32 v6, v7, 16, 1
	v_add3_u32 v25, v7, v6, s69
                                        ; implicit-def: $vgpr7
; %bb.851:                              ;   in Loop: Header=BB10_805 Depth=3
	s_andn2_saveexec_b64 s[44:45], s[28:29]
; %bb.852:                              ;   in Loop: Header=BB10_805 Depth=3
	v_or_b32_e32 v6, 0x10000, v7
	v_cmp_eq_u32_sdwa s[28:29], v7, v2 src0_sel:WORD_0 src1_sel:DWORD
	v_cndmask_b32_e64 v25, v6, v7, s[28:29]
; %bb.853:                              ;   in Loop: Header=BB10_805 Depth=3
	s_or_b64 exec, exec, s[44:45]
	v_lshlrev_b32_e32 v6, 16, v26
	v_lshlrev_b32_e32 v7, 16, v34
	v_max_f32_e32 v7, v7, v7
	v_max_f32_e32 v6, v6, v6
	v_min_f32_e32 v33, v6, v7
	v_max_f32_e32 v6, v6, v7
	v_cndmask_b32_e32 v7, v6, v33, vcc
	v_and_b32_e32 v6, 0x7f800000, v7
	v_cmp_ne_u32_e64 s[28:29], s68, v6
                                        ; implicit-def: $vgpr33
	s_and_saveexec_b64 s[44:45], s[28:29]
	s_xor_b64 s[28:29], exec, s[44:45]
; %bb.854:                              ;   in Loop: Header=BB10_805 Depth=3
	v_bfe_u32 v6, v7, 16, 1
	v_add3_u32 v33, v7, v6, s69
                                        ; implicit-def: $vgpr7
; %bb.855:                              ;   in Loop: Header=BB10_805 Depth=3
	s_andn2_saveexec_b64 s[44:45], s[28:29]
; %bb.856:                              ;   in Loop: Header=BB10_805 Depth=3
	v_or_b32_e32 v6, 0x10000, v7
	v_cmp_eq_u32_sdwa s[28:29], v7, v2 src0_sel:WORD_0 src1_sel:DWORD
	v_cndmask_b32_e64 v33, v6, v7, s[28:29]
; %bb.857:                              ;   in Loop: Header=BB10_805 Depth=3
	s_or_b64 exec, exec, s[44:45]
	v_and_b32_e32 v6, 0xffff0000, v26
	v_and_b32_e32 v7, 0xffff0000, v34
	v_max_f32_e32 v7, v7, v7
	v_max_f32_e32 v6, v6, v6
	v_min_f32_e32 v26, v6, v7
	v_max_f32_e32 v6, v6, v7
	v_cndmask_b32_e32 v7, v6, v26, vcc
	v_and_b32_e32 v6, 0x7f800000, v7
	v_cmp_ne_u32_e64 s[28:29], s68, v6
                                        ; implicit-def: $vgpr26
	s_and_saveexec_b64 s[44:45], s[28:29]
	s_xor_b64 s[28:29], exec, s[44:45]
; %bb.858:                              ;   in Loop: Header=BB10_805 Depth=3
	v_bfe_u32 v6, v7, 16, 1
	v_add3_u32 v26, v7, v6, s69
                                        ; implicit-def: $vgpr7
; %bb.859:                              ;   in Loop: Header=BB10_805 Depth=3
	s_andn2_saveexec_b64 s[44:45], s[28:29]
; %bb.860:                              ;   in Loop: Header=BB10_805 Depth=3
	v_or_b32_e32 v6, 0x10000, v7
	v_cmp_eq_u32_sdwa s[28:29], v7, v2 src0_sel:WORD_0 src1_sel:DWORD
	v_cndmask_b32_e64 v26, v6, v7, s[28:29]
; %bb.861:                              ;   in Loop: Header=BB10_805 Depth=3
	s_or_b64 exec, exec, s[44:45]
	v_lshlrev_b32_e32 v6, 16, v27
	v_lshlrev_b32_e32 v7, 16, v35
	v_max_f32_e32 v7, v7, v7
	v_max_f32_e32 v6, v6, v6
	v_min_f32_e32 v34, v6, v7
	v_max_f32_e32 v6, v6, v7
	v_cndmask_b32_e32 v7, v6, v34, vcc
	v_and_b32_e32 v6, 0x7f800000, v7
	v_cmp_ne_u32_e64 s[28:29], s68, v6
                                        ; implicit-def: $vgpr34
	s_and_saveexec_b64 s[44:45], s[28:29]
	s_xor_b64 s[28:29], exec, s[44:45]
; %bb.862:                              ;   in Loop: Header=BB10_805 Depth=3
	v_bfe_u32 v6, v7, 16, 1
	v_add3_u32 v34, v7, v6, s69
                                        ; implicit-def: $vgpr7
; %bb.863:                              ;   in Loop: Header=BB10_805 Depth=3
	s_andn2_saveexec_b64 s[44:45], s[28:29]
; %bb.864:                              ;   in Loop: Header=BB10_805 Depth=3
	v_or_b32_e32 v6, 0x10000, v7
	v_cmp_eq_u32_sdwa s[28:29], v7, v2 src0_sel:WORD_0 src1_sel:DWORD
	v_cndmask_b32_e64 v34, v6, v7, s[28:29]
; %bb.865:                              ;   in Loop: Header=BB10_805 Depth=3
	s_or_b64 exec, exec, s[44:45]
	v_and_b32_e32 v6, 0xffff0000, v27
	v_and_b32_e32 v7, 0xffff0000, v35
	v_max_f32_e32 v7, v7, v7
	v_max_f32_e32 v6, v6, v6
	v_min_f32_e32 v27, v6, v7
	v_max_f32_e32 v6, v6, v7
	v_cndmask_b32_e32 v7, v6, v27, vcc
	v_and_b32_e32 v6, 0x7f800000, v7
	v_cmp_ne_u32_e64 s[28:29], s68, v6
                                        ; implicit-def: $vgpr27
	s_and_saveexec_b64 s[44:45], s[28:29]
	s_xor_b64 s[28:29], exec, s[44:45]
; %bb.866:                              ;   in Loop: Header=BB10_805 Depth=3
	v_bfe_u32 v6, v7, 16, 1
	v_add3_u32 v27, v7, v6, s69
                                        ; implicit-def: $vgpr7
; %bb.867:                              ;   in Loop: Header=BB10_805 Depth=3
	s_andn2_saveexec_b64 s[44:45], s[28:29]
; %bb.868:                              ;   in Loop: Header=BB10_805 Depth=3
	v_or_b32_e32 v6, 0x10000, v7
	v_cmp_eq_u32_sdwa s[28:29], v7, v2 src0_sel:WORD_0 src1_sel:DWORD
	v_cndmask_b32_e64 v27, v6, v7, s[28:29]
; %bb.869:                              ;   in Loop: Header=BB10_805 Depth=3
	s_or_b64 exec, exec, s[44:45]
	v_lshlrev_b32_e32 v6, 16, v16
	s_waitcnt vmcnt(1)
	v_lshlrev_b32_e32 v7, 16, v20
	v_max_f32_e32 v7, v7, v7
	v_max_f32_e32 v6, v6, v6
	v_min_f32_e32 v35, v6, v7
	v_max_f32_e32 v6, v6, v7
	v_cndmask_b32_e32 v7, v6, v35, vcc
	v_and_b32_e32 v6, 0x7f800000, v7
	v_cmp_ne_u32_e64 s[28:29], s68, v6
                                        ; implicit-def: $vgpr35
	s_and_saveexec_b64 s[44:45], s[28:29]
	s_xor_b64 s[28:29], exec, s[44:45]
; %bb.870:                              ;   in Loop: Header=BB10_805 Depth=3
	v_bfe_u32 v6, v7, 16, 1
	v_add3_u32 v35, v7, v6, s69
                                        ; implicit-def: $vgpr7
; %bb.871:                              ;   in Loop: Header=BB10_805 Depth=3
	s_andn2_saveexec_b64 s[44:45], s[28:29]
; %bb.872:                              ;   in Loop: Header=BB10_805 Depth=3
	v_or_b32_e32 v6, 0x10000, v7
	v_cmp_eq_u32_sdwa s[28:29], v7, v2 src0_sel:WORD_0 src1_sel:DWORD
	v_cndmask_b32_e64 v35, v6, v7, s[28:29]
; %bb.873:                              ;   in Loop: Header=BB10_805 Depth=3
	s_or_b64 exec, exec, s[44:45]
	v_and_b32_e32 v6, 0xffff0000, v16
	v_and_b32_e32 v7, 0xffff0000, v20
	v_max_f32_e32 v7, v7, v7
	v_max_f32_e32 v6, v6, v6
	v_min_f32_e32 v16, v6, v7
	v_max_f32_e32 v6, v6, v7
	v_cndmask_b32_e32 v7, v6, v16, vcc
	v_and_b32_e32 v6, 0x7f800000, v7
	v_cmp_ne_u32_e64 s[28:29], s68, v6
                                        ; implicit-def: $vgpr16
	s_and_saveexec_b64 s[44:45], s[28:29]
	s_xor_b64 s[28:29], exec, s[44:45]
; %bb.874:                              ;   in Loop: Header=BB10_805 Depth=3
	v_bfe_u32 v6, v7, 16, 1
	v_add3_u32 v16, v7, v6, s69
                                        ; implicit-def: $vgpr7
; %bb.875:                              ;   in Loop: Header=BB10_805 Depth=3
	s_andn2_saveexec_b64 s[44:45], s[28:29]
; %bb.876:                              ;   in Loop: Header=BB10_805 Depth=3
	v_or_b32_e32 v6, 0x10000, v7
	v_cmp_eq_u32_sdwa s[28:29], v7, v2 src0_sel:WORD_0 src1_sel:DWORD
	v_cndmask_b32_e64 v16, v6, v7, s[28:29]
; %bb.877:                              ;   in Loop: Header=BB10_805 Depth=3
	s_or_b64 exec, exec, s[44:45]
	v_lshlrev_b32_e32 v6, 16, v17
	v_lshlrev_b32_e32 v7, 16, v21
	v_max_f32_e32 v7, v7, v7
	v_max_f32_e32 v6, v6, v6
	v_min_f32_e32 v20, v6, v7
	v_max_f32_e32 v6, v6, v7
	v_cndmask_b32_e32 v7, v6, v20, vcc
	v_and_b32_e32 v6, 0x7f800000, v7
	v_cmp_ne_u32_e64 s[28:29], s68, v6
                                        ; implicit-def: $vgpr20
	s_and_saveexec_b64 s[44:45], s[28:29]
	s_xor_b64 s[28:29], exec, s[44:45]
; %bb.878:                              ;   in Loop: Header=BB10_805 Depth=3
	v_bfe_u32 v6, v7, 16, 1
	v_add3_u32 v20, v7, v6, s69
                                        ; implicit-def: $vgpr7
; %bb.879:                              ;   in Loop: Header=BB10_805 Depth=3
	s_andn2_saveexec_b64 s[44:45], s[28:29]
; %bb.880:                              ;   in Loop: Header=BB10_805 Depth=3
	v_or_b32_e32 v6, 0x10000, v7
	v_cmp_eq_u32_sdwa s[28:29], v7, v2 src0_sel:WORD_0 src1_sel:DWORD
	v_cndmask_b32_e64 v20, v6, v7, s[28:29]
; %bb.881:                              ;   in Loop: Header=BB10_805 Depth=3
	s_or_b64 exec, exec, s[44:45]
	v_and_b32_e32 v6, 0xffff0000, v17
	v_and_b32_e32 v7, 0xffff0000, v21
	v_max_f32_e32 v7, v7, v7
	v_max_f32_e32 v6, v6, v6
	v_min_f32_e32 v17, v6, v7
	v_max_f32_e32 v6, v6, v7
	v_cndmask_b32_e32 v7, v6, v17, vcc
	v_and_b32_e32 v6, 0x7f800000, v7
	v_cmp_ne_u32_e64 s[28:29], s68, v6
                                        ; implicit-def: $vgpr17
	s_and_saveexec_b64 s[44:45], s[28:29]
	s_xor_b64 s[28:29], exec, s[44:45]
; %bb.882:                              ;   in Loop: Header=BB10_805 Depth=3
	v_bfe_u32 v6, v7, 16, 1
	v_add3_u32 v17, v7, v6, s69
                                        ; implicit-def: $vgpr7
; %bb.883:                              ;   in Loop: Header=BB10_805 Depth=3
	s_andn2_saveexec_b64 s[44:45], s[28:29]
; %bb.884:                              ;   in Loop: Header=BB10_805 Depth=3
	v_or_b32_e32 v6, 0x10000, v7
	v_cmp_eq_u32_sdwa s[28:29], v7, v2 src0_sel:WORD_0 src1_sel:DWORD
	v_cndmask_b32_e64 v17, v6, v7, s[28:29]
; %bb.885:                              ;   in Loop: Header=BB10_805 Depth=3
	s_or_b64 exec, exec, s[44:45]
	v_lshlrev_b32_e32 v6, 16, v18
	v_lshlrev_b32_e32 v7, 16, v22
	v_max_f32_e32 v7, v7, v7
	v_max_f32_e32 v6, v6, v6
	v_min_f32_e32 v21, v6, v7
	v_max_f32_e32 v6, v6, v7
	v_cndmask_b32_e32 v7, v6, v21, vcc
	v_and_b32_e32 v6, 0x7f800000, v7
	v_cmp_ne_u32_e64 s[28:29], s68, v6
                                        ; implicit-def: $vgpr21
	s_and_saveexec_b64 s[44:45], s[28:29]
	s_xor_b64 s[28:29], exec, s[44:45]
; %bb.886:                              ;   in Loop: Header=BB10_805 Depth=3
	v_bfe_u32 v6, v7, 16, 1
	v_add3_u32 v21, v7, v6, s69
                                        ; implicit-def: $vgpr7
; %bb.887:                              ;   in Loop: Header=BB10_805 Depth=3
	s_andn2_saveexec_b64 s[44:45], s[28:29]
; %bb.888:                              ;   in Loop: Header=BB10_805 Depth=3
	v_or_b32_e32 v6, 0x10000, v7
	v_cmp_eq_u32_sdwa s[28:29], v7, v2 src0_sel:WORD_0 src1_sel:DWORD
	v_cndmask_b32_e64 v21, v6, v7, s[28:29]
; %bb.889:                              ;   in Loop: Header=BB10_805 Depth=3
	s_or_b64 exec, exec, s[44:45]
	v_and_b32_e32 v6, 0xffff0000, v18
	v_and_b32_e32 v7, 0xffff0000, v22
	v_max_f32_e32 v7, v7, v7
	v_max_f32_e32 v6, v6, v6
	v_min_f32_e32 v18, v6, v7
	v_max_f32_e32 v6, v6, v7
	v_cndmask_b32_e32 v7, v6, v18, vcc
	v_and_b32_e32 v6, 0x7f800000, v7
	v_cmp_ne_u32_e64 s[28:29], s68, v6
                                        ; implicit-def: $vgpr18
	s_and_saveexec_b64 s[44:45], s[28:29]
	s_xor_b64 s[28:29], exec, s[44:45]
; %bb.890:                              ;   in Loop: Header=BB10_805 Depth=3
	v_bfe_u32 v6, v7, 16, 1
	v_add3_u32 v18, v7, v6, s69
                                        ; implicit-def: $vgpr7
; %bb.891:                              ;   in Loop: Header=BB10_805 Depth=3
	s_andn2_saveexec_b64 s[44:45], s[28:29]
; %bb.892:                              ;   in Loop: Header=BB10_805 Depth=3
	v_or_b32_e32 v6, 0x10000, v7
	v_cmp_eq_u32_sdwa s[28:29], v7, v2 src0_sel:WORD_0 src1_sel:DWORD
	v_cndmask_b32_e64 v18, v6, v7, s[28:29]
; %bb.893:                              ;   in Loop: Header=BB10_805 Depth=3
	s_or_b64 exec, exec, s[44:45]
	v_lshlrev_b32_e32 v6, 16, v19
	v_lshlrev_b32_e32 v7, 16, v23
	v_max_f32_e32 v7, v7, v7
	v_max_f32_e32 v6, v6, v6
	v_min_f32_e32 v22, v6, v7
	v_max_f32_e32 v6, v6, v7
	v_cndmask_b32_e32 v7, v6, v22, vcc
	v_and_b32_e32 v6, 0x7f800000, v7
	v_cmp_ne_u32_e64 s[28:29], s68, v6
                                        ; implicit-def: $vgpr22
	s_and_saveexec_b64 s[44:45], s[28:29]
	s_xor_b64 s[28:29], exec, s[44:45]
; %bb.894:                              ;   in Loop: Header=BB10_805 Depth=3
	v_bfe_u32 v6, v7, 16, 1
	v_add3_u32 v22, v7, v6, s69
                                        ; implicit-def: $vgpr7
; %bb.895:                              ;   in Loop: Header=BB10_805 Depth=3
	s_andn2_saveexec_b64 s[44:45], s[28:29]
; %bb.896:                              ;   in Loop: Header=BB10_805 Depth=3
	v_or_b32_e32 v6, 0x10000, v7
	v_cmp_eq_u32_sdwa s[28:29], v7, v2 src0_sel:WORD_0 src1_sel:DWORD
	v_cndmask_b32_e64 v22, v6, v7, s[28:29]
; %bb.897:                              ;   in Loop: Header=BB10_805 Depth=3
	s_or_b64 exec, exec, s[44:45]
	v_and_b32_e32 v6, 0xffff0000, v19
	v_and_b32_e32 v7, 0xffff0000, v23
	v_max_f32_e32 v7, v7, v7
	v_max_f32_e32 v6, v6, v6
	v_min_f32_e32 v19, v6, v7
	v_max_f32_e32 v6, v6, v7
	v_cndmask_b32_e32 v7, v6, v19, vcc
	v_and_b32_e32 v6, 0x7f800000, v7
	v_cmp_ne_u32_e64 s[28:29], s68, v6
                                        ; implicit-def: $vgpr19
	s_and_saveexec_b64 s[44:45], s[28:29]
	s_xor_b64 s[28:29], exec, s[44:45]
; %bb.898:                              ;   in Loop: Header=BB10_805 Depth=3
	v_bfe_u32 v6, v7, 16, 1
	v_add3_u32 v19, v7, v6, s69
                                        ; implicit-def: $vgpr7
; %bb.899:                              ;   in Loop: Header=BB10_805 Depth=3
	s_andn2_saveexec_b64 s[44:45], s[28:29]
; %bb.900:                              ;   in Loop: Header=BB10_805 Depth=3
	v_or_b32_e32 v6, 0x10000, v7
	v_cmp_eq_u32_sdwa s[28:29], v7, v2 src0_sel:WORD_0 src1_sel:DWORD
	v_cndmask_b32_e64 v19, v6, v7, s[28:29]
; %bb.901:                              ;   in Loop: Header=BB10_805 Depth=3
	s_or_b64 exec, exec, s[44:45]
	v_lshlrev_b32_e32 v6, 16, v8
	s_waitcnt vmcnt(0)
	v_lshlrev_b32_e32 v7, 16, v12
	v_max_f32_e32 v7, v7, v7
	v_max_f32_e32 v6, v6, v6
	v_min_f32_e32 v23, v6, v7
	v_max_f32_e32 v6, v6, v7
	v_cndmask_b32_e32 v7, v6, v23, vcc
	v_and_b32_e32 v6, 0x7f800000, v7
	v_cmp_ne_u32_e64 s[28:29], s68, v6
                                        ; implicit-def: $vgpr23
	s_and_saveexec_b64 s[44:45], s[28:29]
	s_xor_b64 s[28:29], exec, s[44:45]
; %bb.902:                              ;   in Loop: Header=BB10_805 Depth=3
	v_bfe_u32 v6, v7, 16, 1
	v_add3_u32 v23, v7, v6, s69
                                        ; implicit-def: $vgpr7
; %bb.903:                              ;   in Loop: Header=BB10_805 Depth=3
	s_andn2_saveexec_b64 s[44:45], s[28:29]
; %bb.904:                              ;   in Loop: Header=BB10_805 Depth=3
	v_or_b32_e32 v6, 0x10000, v7
	v_cmp_eq_u32_sdwa s[28:29], v7, v2 src0_sel:WORD_0 src1_sel:DWORD
	v_cndmask_b32_e64 v23, v6, v7, s[28:29]
; %bb.905:                              ;   in Loop: Header=BB10_805 Depth=3
	s_or_b64 exec, exec, s[44:45]
	v_and_b32_e32 v6, 0xffff0000, v8
	v_and_b32_e32 v7, 0xffff0000, v12
	v_max_f32_e32 v7, v7, v7
	v_max_f32_e32 v6, v6, v6
	v_min_f32_e32 v8, v6, v7
	v_max_f32_e32 v6, v6, v7
	v_cndmask_b32_e32 v7, v6, v8, vcc
	v_and_b32_e32 v6, 0x7f800000, v7
	v_cmp_ne_u32_e64 s[28:29], s68, v6
                                        ; implicit-def: $vgpr8
	s_and_saveexec_b64 s[44:45], s[28:29]
	s_xor_b64 s[28:29], exec, s[44:45]
; %bb.906:                              ;   in Loop: Header=BB10_805 Depth=3
	v_bfe_u32 v6, v7, 16, 1
	v_add3_u32 v8, v7, v6, s69
                                        ; implicit-def: $vgpr7
; %bb.907:                              ;   in Loop: Header=BB10_805 Depth=3
	s_andn2_saveexec_b64 s[44:45], s[28:29]
; %bb.908:                              ;   in Loop: Header=BB10_805 Depth=3
	v_or_b32_e32 v6, 0x10000, v7
	v_cmp_eq_u32_sdwa s[28:29], v7, v2 src0_sel:WORD_0 src1_sel:DWORD
	v_cndmask_b32_e64 v8, v6, v7, s[28:29]
; %bb.909:                              ;   in Loop: Header=BB10_805 Depth=3
	s_or_b64 exec, exec, s[44:45]
	v_lshlrev_b32_e32 v6, 16, v9
	v_lshlrev_b32_e32 v7, 16, v13
	v_max_f32_e32 v7, v7, v7
	v_max_f32_e32 v6, v6, v6
	v_min_f32_e32 v12, v6, v7
	v_max_f32_e32 v6, v6, v7
	v_cndmask_b32_e32 v7, v6, v12, vcc
	v_and_b32_e32 v6, 0x7f800000, v7
	v_cmp_ne_u32_e64 s[28:29], s68, v6
                                        ; implicit-def: $vgpr12
	s_and_saveexec_b64 s[44:45], s[28:29]
	s_xor_b64 s[28:29], exec, s[44:45]
; %bb.910:                              ;   in Loop: Header=BB10_805 Depth=3
	v_bfe_u32 v6, v7, 16, 1
	v_add3_u32 v12, v7, v6, s69
                                        ; implicit-def: $vgpr7
; %bb.911:                              ;   in Loop: Header=BB10_805 Depth=3
	s_andn2_saveexec_b64 s[44:45], s[28:29]
; %bb.912:                              ;   in Loop: Header=BB10_805 Depth=3
	v_or_b32_e32 v6, 0x10000, v7
	v_cmp_eq_u32_sdwa s[28:29], v7, v2 src0_sel:WORD_0 src1_sel:DWORD
	v_cndmask_b32_e64 v12, v6, v7, s[28:29]
; %bb.913:                              ;   in Loop: Header=BB10_805 Depth=3
	s_or_b64 exec, exec, s[44:45]
	v_and_b32_e32 v6, 0xffff0000, v9
	v_and_b32_e32 v7, 0xffff0000, v13
	v_max_f32_e32 v7, v7, v7
	v_max_f32_e32 v6, v6, v6
	v_min_f32_e32 v9, v6, v7
	v_max_f32_e32 v6, v6, v7
	v_cndmask_b32_e32 v7, v6, v9, vcc
	v_and_b32_e32 v6, 0x7f800000, v7
	v_cmp_ne_u32_e64 s[28:29], s68, v6
                                        ; implicit-def: $vgpr9
	s_and_saveexec_b64 s[44:45], s[28:29]
	s_xor_b64 s[28:29], exec, s[44:45]
; %bb.914:                              ;   in Loop: Header=BB10_805 Depth=3
	v_bfe_u32 v6, v7, 16, 1
	v_add3_u32 v9, v7, v6, s69
                                        ; implicit-def: $vgpr7
; %bb.915:                              ;   in Loop: Header=BB10_805 Depth=3
	s_andn2_saveexec_b64 s[44:45], s[28:29]
; %bb.916:                              ;   in Loop: Header=BB10_805 Depth=3
	v_or_b32_e32 v6, 0x10000, v7
	v_cmp_eq_u32_sdwa s[28:29], v7, v2 src0_sel:WORD_0 src1_sel:DWORD
	v_cndmask_b32_e64 v9, v6, v7, s[28:29]
; %bb.917:                              ;   in Loop: Header=BB10_805 Depth=3
	s_or_b64 exec, exec, s[44:45]
	v_lshlrev_b32_e32 v6, 16, v10
	v_lshlrev_b32_e32 v7, 16, v14
	v_max_f32_e32 v7, v7, v7
	v_max_f32_e32 v6, v6, v6
	v_min_f32_e32 v13, v6, v7
	v_max_f32_e32 v6, v6, v7
	v_cndmask_b32_e32 v7, v6, v13, vcc
	v_and_b32_e32 v6, 0x7f800000, v7
	v_cmp_ne_u32_e64 s[28:29], s68, v6
                                        ; implicit-def: $vgpr13
	s_and_saveexec_b64 s[44:45], s[28:29]
	s_xor_b64 s[28:29], exec, s[44:45]
; %bb.918:                              ;   in Loop: Header=BB10_805 Depth=3
	v_bfe_u32 v6, v7, 16, 1
	v_add3_u32 v13, v7, v6, s69
                                        ; implicit-def: $vgpr7
; %bb.919:                              ;   in Loop: Header=BB10_805 Depth=3
	s_andn2_saveexec_b64 s[44:45], s[28:29]
; %bb.920:                              ;   in Loop: Header=BB10_805 Depth=3
	v_or_b32_e32 v6, 0x10000, v7
	v_cmp_eq_u32_sdwa s[28:29], v7, v2 src0_sel:WORD_0 src1_sel:DWORD
	v_cndmask_b32_e64 v13, v6, v7, s[28:29]
; %bb.921:                              ;   in Loop: Header=BB10_805 Depth=3
	s_or_b64 exec, exec, s[44:45]
	v_and_b32_e32 v6, 0xffff0000, v10
	v_and_b32_e32 v7, 0xffff0000, v14
	v_max_f32_e32 v7, v7, v7
	v_max_f32_e32 v6, v6, v6
	v_min_f32_e32 v10, v6, v7
	v_max_f32_e32 v6, v6, v7
	v_cndmask_b32_e32 v7, v6, v10, vcc
	v_and_b32_e32 v6, 0x7f800000, v7
	v_cmp_ne_u32_e64 s[28:29], s68, v6
                                        ; implicit-def: $vgpr10
	s_and_saveexec_b64 s[44:45], s[28:29]
	s_xor_b64 s[28:29], exec, s[44:45]
; %bb.922:                              ;   in Loop: Header=BB10_805 Depth=3
	v_bfe_u32 v6, v7, 16, 1
	v_add3_u32 v10, v7, v6, s69
                                        ; implicit-def: $vgpr7
; %bb.923:                              ;   in Loop: Header=BB10_805 Depth=3
	s_andn2_saveexec_b64 s[44:45], s[28:29]
; %bb.924:                              ;   in Loop: Header=BB10_805 Depth=3
	v_or_b32_e32 v6, 0x10000, v7
	v_cmp_eq_u32_sdwa s[28:29], v7, v2 src0_sel:WORD_0 src1_sel:DWORD
	v_cndmask_b32_e64 v10, v6, v7, s[28:29]
; %bb.925:                              ;   in Loop: Header=BB10_805 Depth=3
	s_or_b64 exec, exec, s[44:45]
	v_lshlrev_b32_e32 v6, 16, v11
	v_lshlrev_b32_e32 v7, 16, v15
	v_max_f32_e32 v7, v7, v7
	v_max_f32_e32 v6, v6, v6
	v_min_f32_e32 v14, v6, v7
	v_max_f32_e32 v6, v6, v7
	v_cndmask_b32_e32 v7, v6, v14, vcc
	v_and_b32_e32 v6, 0x7f800000, v7
	v_cmp_ne_u32_e64 s[28:29], s68, v6
                                        ; implicit-def: $vgpr14
	s_and_saveexec_b64 s[44:45], s[28:29]
	s_xor_b64 s[28:29], exec, s[44:45]
; %bb.926:                              ;   in Loop: Header=BB10_805 Depth=3
	v_bfe_u32 v6, v7, 16, 1
	v_add3_u32 v14, v7, v6, s69
                                        ; implicit-def: $vgpr7
; %bb.927:                              ;   in Loop: Header=BB10_805 Depth=3
	s_andn2_saveexec_b64 s[44:45], s[28:29]
; %bb.928:                              ;   in Loop: Header=BB10_805 Depth=3
	v_or_b32_e32 v6, 0x10000, v7
	v_cmp_eq_u32_sdwa s[28:29], v7, v2 src0_sel:WORD_0 src1_sel:DWORD
	v_cndmask_b32_e64 v14, v6, v7, s[28:29]
; %bb.929:                              ;   in Loop: Header=BB10_805 Depth=3
	s_or_b64 exec, exec, s[44:45]
	v_and_b32_e32 v6, 0xffff0000, v11
	v_and_b32_e32 v7, 0xffff0000, v15
	v_max_f32_e32 v7, v7, v7
	v_max_f32_e32 v6, v6, v6
	v_min_f32_e32 v11, v6, v7
	v_max_f32_e32 v6, v6, v7
	v_cndmask_b32_e32 v7, v6, v11, vcc
	v_and_b32_e32 v6, 0x7f800000, v7
	v_cmp_ne_u32_e64 s[28:29], s68, v6
                                        ; implicit-def: $vgpr11
	s_and_saveexec_b64 s[44:45], s[28:29]
	s_xor_b64 s[28:29], exec, s[44:45]
; %bb.930:                              ;   in Loop: Header=BB10_805 Depth=3
	v_bfe_u32 v6, v7, 16, 1
	v_add3_u32 v11, v7, v6, s69
                                        ; implicit-def: $vgpr7
; %bb.931:                              ;   in Loop: Header=BB10_805 Depth=3
	s_andn2_saveexec_b64 s[44:45], s[28:29]
	s_cbranch_execz .LBB10_804
; %bb.932:                              ;   in Loop: Header=BB10_805 Depth=3
	v_or_b32_e32 v6, 0x10000, v7
	v_cmp_eq_u32_sdwa s[28:29], v7, v2 src0_sel:WORD_0 src1_sel:DWORD
	v_cndmask_b32_e64 v11, v6, v7, s[28:29]
	s_branch .LBB10_804
.LBB10_933:                             ;   in Loop: Header=BB10_720 Depth=2
	s_or_b64 exec, exec, s[42:43]
	buffer_load_dword v59, off, s[0:3], s33 offset:156 ; 4-byte Folded Reload
	buffer_load_dword v53, off, s[0:3], s33 offset:80 ; 4-byte Folded Reload
	;; [unrolled: 1-line block ×3, first 2 shown]
.LBB10_934:                             ;   in Loop: Header=BB10_720 Depth=2
	s_or_b64 exec, exec, s[40:41]
	s_waitcnt vmcnt(0)
	v_lshlrev_b32_e32 v16, 12, v1
	v_cmp_ne_u32_e32 vcc, v61, v16
	s_mov_b64 s[28:29], 0
	v_mov_b32_e32 v12, 0
                                        ; implicit-def: $vgpr13
                                        ; implicit-def: $vgpr14
	s_and_saveexec_b64 s[94:95], vcc
	s_cbranch_execz .LBB10_974
; %bb.935:                              ;   in Loop: Header=BB10_720 Depth=2
	buffer_load_dword v4, off, s[0:3], s33 offset:188 ; 4-byte Folded Reload
	v_lshlrev_b32_e32 v0, 6, v0
	v_sub_u32_e32 v1, v61, v16
	s_waitcnt vmcnt(0)
	v_sub_u32_e32 v0, v4, v0
	v_ashrrev_i32_e32 v4, 31, v0
	v_lshrrev_b32_e32 v4, 26, v4
	v_add_u32_e32 v4, v0, v4
	v_ashrrev_i32_e32 v5, 6, v4
	v_and_b32_e32 v4, 0xffffffc0, v4
	v_sub_u32_e32 v17, v0, v4
	v_ashrrev_i32_e32 v4, 31, v1
	v_lshrrev_b32_e32 v4, 22, v4
	v_add_u32_e32 v4, v1, v4
	v_and_b32_e32 v18, 0xfffffc00, v4
	v_lshlrev_b32_e32 v0, 4, v17
	v_sub_u32_e32 v19, v1, v18
	v_lshl_add_u32 v0, v5, 10, v0
	v_ashrrev_i32_e32 v6, 10, v4
	v_cmp_lt_i32_e64 s[28:29], 15, v19
	v_sub_u32_e32 v21, v1, v0
	v_addc_co_u32_e64 v1, vcc, 0, v6, s[28:29]
	v_sub_u32_e32 v20, v1, v5
	v_cmp_lt_i32_e32 vcc, 15, v21
	s_and_saveexec_b64 s[30:31], vcc
	s_cbranch_execz .LBB10_973
; %bb.936:                              ;   in Loop: Header=BB10_720 Depth=2
	v_add_u32_e32 v6, v0, v16
	buffer_load_dword v0, off, s[0:3], s33 offset:208 ; 4-byte Folded Reload
	buffer_load_dword v1, off, s[0:3], s33 offset:212 ; 4-byte Folded Reload
	v_ashrrev_i32_e32 v7, 31, v6
	s_trap 2
	s_and_b32 s58, s48, 1
	s_cmp_eq_u64 s[58:59], 0
	s_mov_b64 s[34:35], 0
	s_cselect_b64 s[40:41], -1, 0
	s_waitcnt vmcnt(1)
	v_add_co_u32_e32 v22, vcc, v6, v0
	s_waitcnt vmcnt(0)
	v_addc_co_u32_e32 v23, vcc, v7, v1, vcc
	ds_read_b64 v[4:5], v0
	buffer_load_dword v0, off, s[0:3], s33 offset:144 ; 4-byte Folded Reload
	buffer_load_dword v1, off, s[0:3], s33 offset:148 ; 4-byte Folded Reload
	v_add_co_u32_e32 v24, vcc, v6, v28
	v_addc_co_u32_e32 v25, vcc, v7, v29, vcc
	s_waitcnt vmcnt(1)
	v_add_co_u32_e32 v0, vcc, v6, v0
	s_waitcnt vmcnt(0)
	v_addc_co_u32_e32 v1, vcc, v7, v1, vcc
	s_waitcnt lgkmcnt(0)
	v_add_co_u32_e32 v4, vcc, v4, v6
	v_addc_co_u32_e32 v5, vcc, v5, v7, vcc
.LBB10_937:                             ;   Parent Loop BB10_47 Depth=1
                                        ;     Parent Loop BB10_720 Depth=2
                                        ; =>    This Loop Header: Depth=3
                                        ;         Child Loop BB10_970 Depth 4
	global_load_dwordx4 v[8:11], v[4:5], off glc slc
	global_load_dwordx4 v[12:15], v[0:1], off glc slc
	s_waitcnt vmcnt(1)
	v_lshlrev_b32_e32 v6, 16, v8
	s_waitcnt vmcnt(0)
	v_lshlrev_b32_e32 v7, 16, v12
	v_max_f32_e32 v6, v6, v6
	v_max_f32_e32 v7, v7, v7
	v_min_f32_e32 v26, v7, v6
	v_max_f32_e32 v6, v7, v6
	v_cndmask_b32_e64 v7, v6, v26, s[40:41]
	v_and_b32_e32 v6, 0x7f800000, v7
	v_cmp_ne_u32_e32 vcc, s68, v6
                                        ; implicit-def: $vgpr26
	s_and_saveexec_b64 s[42:43], vcc
	s_xor_b64 s[42:43], exec, s[42:43]
; %bb.938:                              ;   in Loop: Header=BB10_937 Depth=3
	v_bfe_u32 v6, v7, 16, 1
	v_add3_u32 v26, v7, v6, s69
                                        ; implicit-def: $vgpr7
; %bb.939:                              ;   in Loop: Header=BB10_937 Depth=3
	s_andn2_saveexec_b64 s[42:43], s[42:43]
; %bb.940:                              ;   in Loop: Header=BB10_937 Depth=3
	v_or_b32_e32 v6, 0x10000, v7
	v_cmp_eq_u32_sdwa vcc, v7, v2 src0_sel:WORD_0 src1_sel:DWORD
	v_cndmask_b32_e32 v26, v6, v7, vcc
; %bb.941:                              ;   in Loop: Header=BB10_937 Depth=3
	s_or_b64 exec, exec, s[42:43]
	v_and_b32_e32 v6, 0xffff0000, v8
	v_and_b32_e32 v7, 0xffff0000, v12
	v_max_f32_e32 v6, v6, v6
	v_max_f32_e32 v7, v7, v7
	v_min_f32_e32 v8, v7, v6
	v_max_f32_e32 v6, v7, v6
	v_cndmask_b32_e64 v7, v6, v8, s[40:41]
	v_and_b32_e32 v6, 0x7f800000, v7
	v_cmp_ne_u32_e32 vcc, s68, v6
                                        ; implicit-def: $vgpr8
	s_and_saveexec_b64 s[42:43], vcc
	s_xor_b64 s[42:43], exec, s[42:43]
; %bb.942:                              ;   in Loop: Header=BB10_937 Depth=3
	v_bfe_u32 v6, v7, 16, 1
	v_add3_u32 v8, v7, v6, s69
                                        ; implicit-def: $vgpr7
; %bb.943:                              ;   in Loop: Header=BB10_937 Depth=3
	s_andn2_saveexec_b64 s[42:43], s[42:43]
; %bb.944:                              ;   in Loop: Header=BB10_937 Depth=3
	v_or_b32_e32 v6, 0x10000, v7
	v_cmp_eq_u32_sdwa vcc, v7, v2 src0_sel:WORD_0 src1_sel:DWORD
	v_cndmask_b32_e32 v8, v6, v7, vcc
; %bb.945:                              ;   in Loop: Header=BB10_937 Depth=3
	s_or_b64 exec, exec, s[42:43]
	v_lshlrev_b32_e32 v6, 16, v9
	v_lshlrev_b32_e32 v7, 16, v13
	v_max_f32_e32 v6, v6, v6
	v_max_f32_e32 v7, v7, v7
	v_min_f32_e32 v12, v7, v6
	v_max_f32_e32 v6, v7, v6
	v_cndmask_b32_e64 v7, v6, v12, s[40:41]
	v_and_b32_e32 v6, 0x7f800000, v7
	v_cmp_ne_u32_e32 vcc, s68, v6
                                        ; implicit-def: $vgpr12
	s_and_saveexec_b64 s[42:43], vcc
	s_xor_b64 s[42:43], exec, s[42:43]
; %bb.946:                              ;   in Loop: Header=BB10_937 Depth=3
	v_bfe_u32 v6, v7, 16, 1
	v_add3_u32 v12, v7, v6, s69
                                        ; implicit-def: $vgpr7
; %bb.947:                              ;   in Loop: Header=BB10_937 Depth=3
	s_andn2_saveexec_b64 s[42:43], s[42:43]
; %bb.948:                              ;   in Loop: Header=BB10_937 Depth=3
	v_or_b32_e32 v6, 0x10000, v7
	v_cmp_eq_u32_sdwa vcc, v7, v2 src0_sel:WORD_0 src1_sel:DWORD
	v_cndmask_b32_e32 v12, v6, v7, vcc
; %bb.949:                              ;   in Loop: Header=BB10_937 Depth=3
	s_or_b64 exec, exec, s[42:43]
	v_and_b32_e32 v6, 0xffff0000, v13
	v_and_b32_e32 v7, 0xffff0000, v9
	v_max_f32_e32 v7, v7, v7
	v_max_f32_e32 v6, v6, v6
	v_min_f32_e32 v9, v6, v7
	v_max_f32_e32 v6, v6, v7
	v_cndmask_b32_e64 v7, v6, v9, s[40:41]
	v_and_b32_e32 v6, 0x7f800000, v7
	v_cmp_ne_u32_e32 vcc, s68, v6
                                        ; implicit-def: $vgpr9
	s_and_saveexec_b64 s[42:43], vcc
	s_xor_b64 s[42:43], exec, s[42:43]
; %bb.950:                              ;   in Loop: Header=BB10_937 Depth=3
	v_bfe_u32 v6, v7, 16, 1
	v_add3_u32 v9, v7, v6, s69
                                        ; implicit-def: $vgpr7
; %bb.951:                              ;   in Loop: Header=BB10_937 Depth=3
	s_andn2_saveexec_b64 s[42:43], s[42:43]
; %bb.952:                              ;   in Loop: Header=BB10_937 Depth=3
	v_or_b32_e32 v6, 0x10000, v7
	v_cmp_eq_u32_sdwa vcc, v7, v2 src0_sel:WORD_0 src1_sel:DWORD
	v_cndmask_b32_e32 v9, v6, v7, vcc
; %bb.953:                              ;   in Loop: Header=BB10_937 Depth=3
	s_or_b64 exec, exec, s[42:43]
	v_lshlrev_b32_e32 v6, 16, v10
	v_lshlrev_b32_e32 v7, 16, v14
	v_max_f32_e32 v6, v6, v6
	v_max_f32_e32 v7, v7, v7
	v_min_f32_e32 v13, v7, v6
	v_max_f32_e32 v6, v7, v6
	v_cndmask_b32_e64 v7, v6, v13, s[40:41]
	v_and_b32_e32 v6, 0x7f800000, v7
	v_cmp_ne_u32_e32 vcc, s68, v6
                                        ; implicit-def: $vgpr13
	s_and_saveexec_b64 s[42:43], vcc
	s_xor_b64 s[42:43], exec, s[42:43]
; %bb.954:                              ;   in Loop: Header=BB10_937 Depth=3
	v_bfe_u32 v6, v7, 16, 1
	v_add3_u32 v13, v7, v6, s69
                                        ; implicit-def: $vgpr7
; %bb.955:                              ;   in Loop: Header=BB10_937 Depth=3
	s_andn2_saveexec_b64 s[42:43], s[42:43]
; %bb.956:                              ;   in Loop: Header=BB10_937 Depth=3
	v_or_b32_e32 v6, 0x10000, v7
	v_cmp_eq_u32_sdwa vcc, v7, v2 src0_sel:WORD_0 src1_sel:DWORD
	v_cndmask_b32_e32 v13, v6, v7, vcc
; %bb.957:                              ;   in Loop: Header=BB10_937 Depth=3
	s_or_b64 exec, exec, s[42:43]
	v_and_b32_e32 v6, 0xffff0000, v14
	v_and_b32_e32 v7, 0xffff0000, v10
	v_max_f32_e32 v7, v7, v7
	v_max_f32_e32 v6, v6, v6
	v_min_f32_e32 v10, v6, v7
	v_max_f32_e32 v6, v6, v7
	v_cndmask_b32_e64 v7, v6, v10, s[40:41]
	v_and_b32_e32 v6, 0x7f800000, v7
	v_cmp_ne_u32_e32 vcc, s68, v6
                                        ; implicit-def: $vgpr10
	s_and_saveexec_b64 s[42:43], vcc
	s_xor_b64 s[42:43], exec, s[42:43]
; %bb.958:                              ;   in Loop: Header=BB10_937 Depth=3
	v_bfe_u32 v6, v7, 16, 1
	v_add3_u32 v10, v7, v6, s69
                                        ; implicit-def: $vgpr7
; %bb.959:                              ;   in Loop: Header=BB10_937 Depth=3
	s_andn2_saveexec_b64 s[42:43], s[42:43]
; %bb.960:                              ;   in Loop: Header=BB10_937 Depth=3
	v_or_b32_e32 v6, 0x10000, v7
	v_cmp_eq_u32_sdwa vcc, v7, v2 src0_sel:WORD_0 src1_sel:DWORD
	v_cndmask_b32_e32 v10, v6, v7, vcc
; %bb.961:                              ;   in Loop: Header=BB10_937 Depth=3
	s_or_b64 exec, exec, s[42:43]
	v_lshlrev_b32_e32 v6, 16, v11
	v_lshlrev_b32_e32 v7, 16, v15
	v_max_f32_e32 v6, v6, v6
	v_max_f32_e32 v7, v7, v7
	v_min_f32_e32 v14, v7, v6
	v_max_f32_e32 v6, v7, v6
	v_cndmask_b32_e64 v7, v6, v14, s[40:41]
	v_and_b32_e32 v6, 0x7f800000, v7
	v_cmp_ne_u32_e32 vcc, s68, v6
                                        ; implicit-def: $vgpr14
	s_and_saveexec_b64 s[42:43], vcc
	s_xor_b64 s[42:43], exec, s[42:43]
; %bb.962:                              ;   in Loop: Header=BB10_937 Depth=3
	v_bfe_u32 v6, v7, 16, 1
	v_add3_u32 v14, v7, v6, s69
                                        ; implicit-def: $vgpr7
; %bb.963:                              ;   in Loop: Header=BB10_937 Depth=3
	s_andn2_saveexec_b64 s[42:43], s[42:43]
; %bb.964:                              ;   in Loop: Header=BB10_937 Depth=3
	v_or_b32_e32 v6, 0x10000, v7
	v_cmp_eq_u32_sdwa vcc, v7, v2 src0_sel:WORD_0 src1_sel:DWORD
	v_cndmask_b32_e32 v14, v6, v7, vcc
; %bb.965:                              ;   in Loop: Header=BB10_937 Depth=3
	s_or_b64 exec, exec, s[42:43]
	v_and_b32_e32 v6, 0xffff0000, v15
	v_and_b32_e32 v7, 0xffff0000, v11
	v_max_f32_e32 v7, v7, v7
	v_max_f32_e32 v6, v6, v6
	v_min_f32_e32 v11, v6, v7
	v_max_f32_e32 v6, v6, v7
	v_cndmask_b32_e64 v11, v6, v11, s[40:41]
	v_and_b32_e32 v6, 0x7f800000, v11
	v_cmp_ne_u32_e32 vcc, s68, v6
                                        ; implicit-def: $vgpr7
	s_and_saveexec_b64 s[42:43], vcc
	s_xor_b64 s[42:43], exec, s[42:43]
; %bb.966:                              ;   in Loop: Header=BB10_937 Depth=3
	v_bfe_u32 v6, v11, 16, 1
	v_add3_u32 v7, v11, v6, s69
                                        ; implicit-def: $vgpr11
; %bb.967:                              ;   in Loop: Header=BB10_937 Depth=3
	s_andn2_saveexec_b64 s[42:43], s[42:43]
; %bb.968:                              ;   in Loop: Header=BB10_937 Depth=3
	v_or_b32_e32 v6, 0x10000, v11
	v_cmp_eq_u32_sdwa vcc, v11, v2 src0_sel:WORD_0 src1_sel:DWORD
	v_cndmask_b32_e32 v7, v6, v11, vcc
; %bb.969:                              ;   in Loop: Header=BB10_937 Depth=3
	s_or_b64 exec, exec, s[42:43]
	v_lshrrev_b32_e32 v6, 16, v12
	v_and_or_b32 v9, v9, s70, v6
	v_lshrrev_b32_e32 v6, 16, v26
	v_and_or_b32 v8, v8, s70, v6
	v_lshrrev_b32_e32 v6, 16, v13
	v_and_or_b32 v10, v10, s70, v6
	v_lshrrev_b32_e32 v6, 16, v14
	v_and_or_b32 v11, v7, s70, v6
	s_mov_b64 s[38:39], 0
	s_mov_b64 s[36:37], -1
.LBB10_970:                             ;   Parent Loop BB10_47 Depth=1
                                        ;     Parent Loop BB10_720 Depth=2
                                        ;       Parent Loop BB10_937 Depth=3
                                        ; =>      This Inner Loop Header: Depth=4
	s_cmp_eq_u32 s38, 1
	s_cselect_b64 s[42:43], -1, 0
	v_cndmask_b32_e64 v12, v22, v24, s[42:43]
	v_cndmask_b32_e64 v13, v23, v25, s[42:43]
	v_add_co_u32_e32 v6, vcc, 0x400, v12
	s_cmp_eq_u32 s38, 0
	v_addc_co_u32_e32 v7, vcc, 0, v13, vcc
	s_cselect_b64 vcc, -1, 0
	s_and_b64 s[44:45], exec, s[36:37]
	s_mov_b64 s[38:39], 1
	v_cndmask_b32_e64 v24, v24, v6, s[42:43]
	s_mov_b64 s[36:37], 0
	v_cndmask_b32_e64 v25, v25, v7, s[42:43]
	v_cndmask_b32_e32 v23, v23, v7, vcc
	v_cndmask_b32_e32 v22, v22, v6, vcc
	s_mov_b64 vcc, s[44:45]
	global_store_dwordx4 v[12:13], v[8:11], off glc slc
	s_cbranch_vccnz .LBB10_970
; %bb.971:                              ;   in Loop: Header=BB10_937 Depth=3
	buffer_load_dword v6, off, s[0:3], s33 offset:128 ; 4-byte Folded Reload
	buffer_load_dword v7, off, s[0:3], s33 offset:132 ; 4-byte Folded Reload
	s_waitcnt vmcnt(1)
	v_add_co_u32_e32 v0, vcc, v0, v6
	s_waitcnt vmcnt(0)
	v_addc_co_u32_e32 v1, vcc, v1, v7, vcc
	v_add_co_u32_e32 v4, vcc, v4, v6
	buffer_load_dword v6, off, s[0:3], s33 offset:120 ; 4-byte Folded Reload
	v_addc_co_u32_e32 v5, vcc, v5, v7, vcc
	buffer_load_dword v7, off, s[0:3], s33 offset:124 ; 4-byte Folded Reload
	s_waitcnt vmcnt(1)
	v_add_co_u32_e32 v22, vcc, v22, v6
	s_waitcnt vmcnt(0)
	v_addc_co_u32_e32 v23, vcc, v23, v7, vcc
	v_add_co_u32_e32 v24, vcc, v24, v6
	buffer_load_dword v6, off, s[0:3], s33 offset:100 ; 4-byte Folded Reload
	v_addc_co_u32_e32 v25, vcc, v25, v7, vcc
	s_waitcnt vmcnt(0)
	v_sub_u32_e32 v21, v21, v6
	buffer_load_dword v6, off, s[0:3], s33 offset:68 ; 4-byte Folded Reload
	v_cmp_gt_i32_e32 vcc, 16, v21
	s_or_b64 s[34:35], vcc, s[34:35]
	s_waitcnt vmcnt(0)
	v_sub_u32_e32 v20, v20, v6
	s_andn2_b64 exec, exec, s[34:35]
	s_cbranch_execnz .LBB10_937
; %bb.972:                              ;   in Loop: Header=BB10_720 Depth=2
	s_or_b64 exec, exec, s[34:35]
.LBB10_973:                             ;   in Loop: Header=BB10_720 Depth=2
	s_or_b64 exec, exec, s[30:31]
	v_and_b32_e32 v0, 14, v61
	v_sub_u32_e32 v1, v19, v0
	v_cndmask_b32_e64 v13, v19, v0, s[28:29]
	buffer_load_dword v0, off, s[0:3], s33 offset:68 ; 4-byte Folded Reload
	v_cmp_lt_i32_e32 vcc, 0, v20
	v_cndmask_b32_e64 v1, 0, v1, s[28:29]
	v_add3_u32 v12, v18, v16, v1
	s_waitcnt vmcnt(0)
	v_cndmask_b32_e32 v0, 0, v0, vcc
	v_sub_u32_e32 v0, v0, v20
	v_cmp_ne_u32_e32 vcc, 0, v13
	v_lshl_add_u32 v14, v0, 6, v17
	s_and_b64 s[28:29], vcc, exec
.LBB10_974:                             ;   in Loop: Header=BB10_720 Depth=2
	s_or_b64 exec, exec, s[94:95]
	s_and_saveexec_b64 s[44:45], s[28:29]
	s_cbranch_execz .LBB10_1053
.LBB10_975:                             ;   in Loop: Header=BB10_720 Depth=2
	v_ashrrev_i32_e32 v0, 31, v14
	v_ashrrev_i32_e32 v1, 31, v13
	v_lshrrev_b32_e32 v0, 26, v0
	v_lshrrev_b32_e32 v1, 21, v1
	v_add_u32_e32 v0, v14, v0
	v_add_u32_e32 v1, v13, v1
	v_ashrrev_i32_e32 v15, 6, v0
	v_ashrrev_i32_e32 v17, 11, v1
	v_sub_u32_e32 v16, v17, v15
	v_cmp_lt_i32_e32 vcc, 0, v16
	s_and_saveexec_b64 s[40:41], vcc
	s_cbranch_execz .LBB10_1043
; %bb.976:                              ;   in Loop: Header=BB10_720 Depth=2
	v_and_b32_e32 v0, 0x7fffffc0, v0
	v_sub_u32_e32 v0, v14, v0
	buffer_store_dword v61, off, s[0:3], s33 offset:236 ; 4-byte Folded Spill
	buffer_store_dword v45, off, s[0:3], s33 offset:232 ; 4-byte Folded Spill
	v_lshlrev_b32_e32 v0, 1, v0
	v_lshlrev_b32_e32 v1, 11, v15
	v_add3_u32 v6, v0, v12, v1
	buffer_load_dword v0, off, s[0:3], s33 offset:208 ; 4-byte Folded Reload
	buffer_load_dword v1, off, s[0:3], s33 offset:212 ; 4-byte Folded Reload
	s_trap 2
	v_ashrrev_i32_e32 v7, 31, v6
	s_and_b32 s58, s48, 1
	s_cmp_eq_u64 s[58:59], 0
	s_mov_b64 s[42:43], 0
	s_waitcnt vmcnt(0)
	v_add_co_u32_e32 v0, vcc, v6, v0
	ds_read_b64 v[10:11], v0
	buffer_load_dword v8, off, s[0:3], s33 offset:144 ; 4-byte Folded Reload
	buffer_load_dword v9, off, s[0:3], s33 offset:148 ; 4-byte Folded Reload
	s_waitcnt vmcnt(2)
	v_addc_co_u32_e32 v1, vcc, v7, v1, vcc
	v_add_co_u32_e32 v4, vcc, v6, v28
	v_addc_co_u32_e32 v5, vcc, v7, v29, vcc
	s_waitcnt vmcnt(1)
	v_add_co_u32_e32 v8, vcc, v6, v8
	s_waitcnt vmcnt(0)
	v_addc_co_u32_e32 v9, vcc, v7, v9, vcc
	s_waitcnt lgkmcnt(0)
	v_add_co_u32_e32 v10, vcc, v10, v6
	v_addc_co_u32_e32 v11, vcc, v11, v7, vcc
	s_cselect_b64 vcc, -1, 0
	s_branch .LBB10_978
.LBB10_977:                             ;   in Loop: Header=BB10_978 Depth=3
	s_or_b64 exec, exec, s[94:95]
	v_lshrrev_b32_e32 v19, 16, v19
	v_lshrrev_b32_e32 v6, 16, v20
	;; [unrolled: 1-line block ×16, first 2 shown]
	flat_store_short v[0:1], v19 glc slc
	flat_store_short v[0:1], v22 offset:128 glc slc
	flat_store_short v[0:1], v25 offset:256 glc slc
	;; [unrolled: 1-line block ×15, first 2 shown]
	flat_store_short v[4:5], v19 glc slc
	flat_store_short v[4:5], v22 offset:128 glc slc
	flat_store_short v[4:5], v25 offset:256 glc slc
	;; [unrolled: 1-line block ×15, first 2 shown]
	buffer_load_dword v7, off, s[0:3], s33 offset:76 ; 4-byte Folded Reload
	s_nop 0
	buffer_load_dword v6, off, s[0:3], s33 offset:68 ; 4-byte Folded Reload
	s_waitcnt vmcnt(0)
	v_add_co_u32_e64 v8, s[28:29], v8, v7
	v_addc_co_u32_e64 v9, s[28:29], 0, v9, s[28:29]
	v_add_co_u32_e64 v10, s[28:29], v10, v7
	v_addc_co_u32_e64 v11, s[28:29], 0, v11, s[28:29]
	;; [unrolled: 2-line block ×3, first 2 shown]
	v_sub_u32_e32 v16, v16, v6
	v_cmp_gt_i32_e64 s[28:29], 1, v16
	s_or_b64 s[42:43], s[28:29], s[42:43]
	v_add_co_u32_e64 v4, s[28:29], v4, v7
	v_addc_co_u32_e64 v5, s[28:29], 0, v5, s[28:29]
	s_andn2_b64 exec, exec, s[42:43]
	s_cbranch_execz .LBB10_1042
.LBB10_978:                             ;   Parent Loop BB10_47 Depth=1
                                        ;     Parent Loop BB10_720 Depth=2
                                        ; =>    This Inner Loop Header: Depth=3
	flat_load_ushort v48, v[8:9] offset:1024 glc slc
	flat_load_ushort v37, v[8:9] offset:1152 glc slc
	;; [unrolled: 1-line block ×15, first 2 shown]
	flat_load_ushort v6, v[8:9] glc slc
	flat_load_ushort v61, v[10:11] offset:128 glc slc
	flat_load_ushort v45, v[10:11] offset:256 glc slc
	;; [unrolled: 1-line block ×7, first 2 shown]
	flat_load_ushort v7, v[10:11] glc slc
	flat_load_ushort v51, v[10:11] offset:1024 glc slc
	flat_load_ushort v49, v[10:11] offset:1152 glc slc
	;; [unrolled: 1-line block ×8, first 2 shown]
	s_waitcnt vmcnt(0) lgkmcnt(0)
	v_lshlrev_b32_e32 v6, 16, v6
	v_max_f32_e32 v6, v6, v6
	v_lshlrev_b32_e32 v7, 16, v7
	v_max_f32_e32 v7, v7, v7
	v_min_f32_e32 v19, v6, v7
	v_max_f32_e32 v6, v6, v7
	v_cndmask_b32_e32 v7, v6, v19, vcc
	v_and_b32_e32 v6, 0x7f800000, v7
	v_cmp_ne_u32_e64 s[28:29], s68, v6
                                        ; implicit-def: $vgpr19
	s_and_saveexec_b64 s[94:95], s[28:29]
	s_xor_b64 s[28:29], exec, s[94:95]
; %bb.979:                              ;   in Loop: Header=BB10_978 Depth=3
	v_bfe_u32 v6, v7, 16, 1
	v_add3_u32 v19, v7, v6, s69
                                        ; implicit-def: $vgpr7
; %bb.980:                              ;   in Loop: Header=BB10_978 Depth=3
	s_andn2_saveexec_b64 s[94:95], s[28:29]
; %bb.981:                              ;   in Loop: Header=BB10_978 Depth=3
	v_or_b32_e32 v6, 0x10000, v7
	v_cmp_eq_u32_sdwa s[28:29], v7, v2 src0_sel:WORD_0 src1_sel:DWORD
	v_cndmask_b32_e64 v19, v6, v7, s[28:29]
; %bb.982:                              ;   in Loop: Header=BB10_978 Depth=3
	s_or_b64 exec, exec, s[94:95]
	v_lshlrev_b32_e32 v6, 16, v22
	v_lshlrev_b32_e32 v7, 16, v61
	v_max_f32_e32 v7, v7, v7
	v_max_f32_e32 v6, v6, v6
	v_min_f32_e32 v22, v6, v7
	v_max_f32_e32 v6, v6, v7
	v_cndmask_b32_e32 v7, v6, v22, vcc
	v_and_b32_e32 v6, 0x7f800000, v7
	v_cmp_ne_u32_e64 s[28:29], s68, v6
                                        ; implicit-def: $vgpr22
	s_and_saveexec_b64 s[94:95], s[28:29]
	s_xor_b64 s[28:29], exec, s[94:95]
; %bb.983:                              ;   in Loop: Header=BB10_978 Depth=3
	v_bfe_u32 v6, v7, 16, 1
	v_add3_u32 v22, v7, v6, s69
                                        ; implicit-def: $vgpr7
; %bb.984:                              ;   in Loop: Header=BB10_978 Depth=3
	s_andn2_saveexec_b64 s[94:95], s[28:29]
; %bb.985:                              ;   in Loop: Header=BB10_978 Depth=3
	v_or_b32_e32 v6, 0x10000, v7
	v_cmp_eq_u32_sdwa s[28:29], v7, v2 src0_sel:WORD_0 src1_sel:DWORD
	v_cndmask_b32_e64 v22, v6, v7, s[28:29]
; %bb.986:                              ;   in Loop: Header=BB10_978 Depth=3
	s_or_b64 exec, exec, s[94:95]
	v_lshlrev_b32_e32 v6, 16, v25
	v_lshlrev_b32_e32 v7, 16, v45
	v_max_f32_e32 v7, v7, v7
	v_max_f32_e32 v6, v6, v6
	v_min_f32_e32 v25, v6, v7
	v_max_f32_e32 v6, v6, v7
	v_cndmask_b32_e32 v7, v6, v25, vcc
	v_and_b32_e32 v6, 0x7f800000, v7
	v_cmp_ne_u32_e64 s[28:29], s68, v6
                                        ; implicit-def: $vgpr25
	s_and_saveexec_b64 s[94:95], s[28:29]
	s_xor_b64 s[28:29], exec, s[94:95]
; %bb.987:                              ;   in Loop: Header=BB10_978 Depth=3
	v_bfe_u32 v6, v7, 16, 1
	v_add3_u32 v25, v7, v6, s69
                                        ; implicit-def: $vgpr7
; %bb.988:                              ;   in Loop: Header=BB10_978 Depth=3
	s_andn2_saveexec_b64 s[94:95], s[28:29]
; %bb.989:                              ;   in Loop: Header=BB10_978 Depth=3
	v_or_b32_e32 v6, 0x10000, v7
	v_cmp_eq_u32_sdwa s[28:29], v7, v2 src0_sel:WORD_0 src1_sel:DWORD
	v_cndmask_b32_e64 v25, v6, v7, s[28:29]
; %bb.990:                              ;   in Loop: Header=BB10_978 Depth=3
	s_or_b64 exec, exec, s[94:95]
	v_lshlrev_b32_e32 v6, 16, v30
	v_lshlrev_b32_e32 v7, 16, v60
	v_max_f32_e32 v7, v7, v7
	v_max_f32_e32 v6, v6, v6
	v_min_f32_e32 v30, v6, v7
	v_max_f32_e32 v6, v6, v7
	v_cndmask_b32_e32 v7, v6, v30, vcc
	v_and_b32_e32 v6, 0x7f800000, v7
	v_cmp_ne_u32_e64 s[28:29], s68, v6
                                        ; implicit-def: $vgpr30
	s_and_saveexec_b64 s[94:95], s[28:29]
	s_xor_b64 s[28:29], exec, s[94:95]
; %bb.991:                              ;   in Loop: Header=BB10_978 Depth=3
	v_bfe_u32 v6, v7, 16, 1
	v_add3_u32 v30, v7, v6, s69
                                        ; implicit-def: $vgpr7
; %bb.992:                              ;   in Loop: Header=BB10_978 Depth=3
	s_andn2_saveexec_b64 s[94:95], s[28:29]
; %bb.993:                              ;   in Loop: Header=BB10_978 Depth=3
	v_or_b32_e32 v6, 0x10000, v7
	v_cmp_eq_u32_sdwa s[28:29], v7, v2 src0_sel:WORD_0 src1_sel:DWORD
	v_cndmask_b32_e64 v30, v6, v7, s[28:29]
; %bb.994:                              ;   in Loop: Header=BB10_978 Depth=3
	s_or_b64 exec, exec, s[94:95]
	v_lshlrev_b32_e32 v6, 16, v33
	v_lshlrev_b32_e32 v7, 16, v59
	v_max_f32_e32 v7, v7, v7
	v_max_f32_e32 v6, v6, v6
	v_min_f32_e32 v33, v6, v7
	v_max_f32_e32 v6, v6, v7
	v_cndmask_b32_e32 v7, v6, v33, vcc
	v_and_b32_e32 v6, 0x7f800000, v7
	v_cmp_ne_u32_e64 s[28:29], s68, v6
                                        ; implicit-def: $vgpr33
	s_and_saveexec_b64 s[94:95], s[28:29]
	s_xor_b64 s[28:29], exec, s[94:95]
; %bb.995:                              ;   in Loop: Header=BB10_978 Depth=3
	v_bfe_u32 v6, v7, 16, 1
	v_add3_u32 v33, v7, v6, s69
                                        ; implicit-def: $vgpr7
; %bb.996:                              ;   in Loop: Header=BB10_978 Depth=3
	s_andn2_saveexec_b64 s[94:95], s[28:29]
; %bb.997:                              ;   in Loop: Header=BB10_978 Depth=3
	v_or_b32_e32 v6, 0x10000, v7
	v_cmp_eq_u32_sdwa s[28:29], v7, v2 src0_sel:WORD_0 src1_sel:DWORD
	v_cndmask_b32_e64 v33, v6, v7, s[28:29]
; %bb.998:                              ;   in Loop: Header=BB10_978 Depth=3
	s_or_b64 exec, exec, s[94:95]
	v_lshlrev_b32_e32 v6, 16, v36
	v_lshlrev_b32_e32 v7, 16, v43
	v_max_f32_e32 v7, v7, v7
	v_max_f32_e32 v6, v6, v6
	v_min_f32_e32 v36, v6, v7
	v_max_f32_e32 v6, v6, v7
	v_cndmask_b32_e32 v7, v6, v36, vcc
	v_and_b32_e32 v6, 0x7f800000, v7
	v_cmp_ne_u32_e64 s[28:29], s68, v6
                                        ; implicit-def: $vgpr36
	s_and_saveexec_b64 s[94:95], s[28:29]
	s_xor_b64 s[28:29], exec, s[94:95]
; %bb.999:                              ;   in Loop: Header=BB10_978 Depth=3
	v_bfe_u32 v6, v7, 16, 1
	v_add3_u32 v36, v7, v6, s69
                                        ; implicit-def: $vgpr7
; %bb.1000:                             ;   in Loop: Header=BB10_978 Depth=3
	s_andn2_saveexec_b64 s[94:95], s[28:29]
; %bb.1001:                             ;   in Loop: Header=BB10_978 Depth=3
	v_or_b32_e32 v6, 0x10000, v7
	v_cmp_eq_u32_sdwa s[28:29], v7, v2 src0_sel:WORD_0 src1_sel:DWORD
	v_cndmask_b32_e64 v36, v6, v7, s[28:29]
; %bb.1002:                             ;   in Loop: Header=BB10_978 Depth=3
	s_or_b64 exec, exec, s[94:95]
	v_lshlrev_b32_e32 v6, 16, v39
	v_lshlrev_b32_e32 v7, 16, v53
	v_max_f32_e32 v7, v7, v7
	v_max_f32_e32 v6, v6, v6
	v_min_f32_e32 v39, v6, v7
	v_max_f32_e32 v6, v6, v7
	v_cndmask_b32_e32 v7, v6, v39, vcc
	v_and_b32_e32 v6, 0x7f800000, v7
	v_cmp_ne_u32_e64 s[28:29], s68, v6
                                        ; implicit-def: $vgpr39
	s_and_saveexec_b64 s[94:95], s[28:29]
	s_xor_b64 s[28:29], exec, s[94:95]
; %bb.1003:                             ;   in Loop: Header=BB10_978 Depth=3
	v_bfe_u32 v6, v7, 16, 1
	v_add3_u32 v39, v7, v6, s69
                                        ; implicit-def: $vgpr7
; %bb.1004:                             ;   in Loop: Header=BB10_978 Depth=3
	s_andn2_saveexec_b64 s[94:95], s[28:29]
; %bb.1005:                             ;   in Loop: Header=BB10_978 Depth=3
	v_or_b32_e32 v6, 0x10000, v7
	v_cmp_eq_u32_sdwa s[28:29], v7, v2 src0_sel:WORD_0 src1_sel:DWORD
	v_cndmask_b32_e64 v39, v6, v7, s[28:29]
; %bb.1006:                             ;   in Loop: Header=BB10_978 Depth=3
	s_or_b64 exec, exec, s[94:95]
	v_lshlrev_b32_e32 v6, 16, v50
	v_lshlrev_b32_e32 v7, 16, v52
	v_max_f32_e32 v7, v7, v7
	v_max_f32_e32 v6, v6, v6
	v_min_f32_e32 v50, v6, v7
	v_max_f32_e32 v6, v6, v7
	v_cndmask_b32_e32 v7, v6, v50, vcc
	v_and_b32_e32 v6, 0x7f800000, v7
	v_cmp_ne_u32_e64 s[28:29], s68, v6
                                        ; implicit-def: $vgpr50
	s_and_saveexec_b64 s[94:95], s[28:29]
	s_xor_b64 s[28:29], exec, s[94:95]
; %bb.1007:                             ;   in Loop: Header=BB10_978 Depth=3
	v_bfe_u32 v6, v7, 16, 1
	v_add3_u32 v50, v7, v6, s69
                                        ; implicit-def: $vgpr7
; %bb.1008:                             ;   in Loop: Header=BB10_978 Depth=3
	s_andn2_saveexec_b64 s[94:95], s[28:29]
; %bb.1009:                             ;   in Loop: Header=BB10_978 Depth=3
	v_or_b32_e32 v6, 0x10000, v7
	v_cmp_eq_u32_sdwa s[28:29], v7, v2 src0_sel:WORD_0 src1_sel:DWORD
	v_cndmask_b32_e64 v50, v6, v7, s[28:29]
; %bb.1010:                             ;   in Loop: Header=BB10_978 Depth=3
	s_or_b64 exec, exec, s[94:95]
	v_lshlrev_b32_e32 v6, 16, v48
	v_lshlrev_b32_e32 v7, 16, v51
	v_max_f32_e32 v7, v7, v7
	v_max_f32_e32 v6, v6, v6
	v_min_f32_e32 v48, v6, v7
	v_max_f32_e32 v6, v6, v7
	v_cndmask_b32_e32 v7, v6, v48, vcc
	v_and_b32_e32 v6, 0x7f800000, v7
	v_cmp_ne_u32_e64 s[28:29], s68, v6
                                        ; implicit-def: $vgpr48
	s_and_saveexec_b64 s[94:95], s[28:29]
	s_xor_b64 s[28:29], exec, s[94:95]
; %bb.1011:                             ;   in Loop: Header=BB10_978 Depth=3
	v_bfe_u32 v6, v7, 16, 1
	v_add3_u32 v48, v7, v6, s69
                                        ; implicit-def: $vgpr7
; %bb.1012:                             ;   in Loop: Header=BB10_978 Depth=3
	s_andn2_saveexec_b64 s[94:95], s[28:29]
; %bb.1013:                             ;   in Loop: Header=BB10_978 Depth=3
	v_or_b32_e32 v6, 0x10000, v7
	v_cmp_eq_u32_sdwa s[28:29], v7, v2 src0_sel:WORD_0 src1_sel:DWORD
	v_cndmask_b32_e64 v48, v6, v7, s[28:29]
; %bb.1014:                             ;   in Loop: Header=BB10_978 Depth=3
	s_or_b64 exec, exec, s[94:95]
	v_lshlrev_b32_e32 v6, 16, v37
	v_lshlrev_b32_e32 v7, 16, v49
	v_max_f32_e32 v7, v7, v7
	v_max_f32_e32 v6, v6, v6
	v_min_f32_e32 v37, v6, v7
	v_max_f32_e32 v6, v6, v7
	v_cndmask_b32_e32 v7, v6, v37, vcc
	v_and_b32_e32 v6, 0x7f800000, v7
	v_cmp_ne_u32_e64 s[28:29], s68, v6
                                        ; implicit-def: $vgpr37
	s_and_saveexec_b64 s[94:95], s[28:29]
	s_xor_b64 s[28:29], exec, s[94:95]
; %bb.1015:                             ;   in Loop: Header=BB10_978 Depth=3
	v_bfe_u32 v6, v7, 16, 1
	v_add3_u32 v37, v7, v6, s69
                                        ; implicit-def: $vgpr7
; %bb.1016:                             ;   in Loop: Header=BB10_978 Depth=3
	s_andn2_saveexec_b64 s[94:95], s[28:29]
; %bb.1017:                             ;   in Loop: Header=BB10_978 Depth=3
	v_or_b32_e32 v6, 0x10000, v7
	v_cmp_eq_u32_sdwa s[28:29], v7, v2 src0_sel:WORD_0 src1_sel:DWORD
	v_cndmask_b32_e64 v37, v6, v7, s[28:29]
; %bb.1018:                             ;   in Loop: Header=BB10_978 Depth=3
	s_or_b64 exec, exec, s[94:95]
	v_lshlrev_b32_e32 v6, 16, v34
	v_lshlrev_b32_e32 v7, 16, v38
	v_max_f32_e32 v7, v7, v7
	v_max_f32_e32 v6, v6, v6
	v_min_f32_e32 v34, v6, v7
	v_max_f32_e32 v6, v6, v7
	v_cndmask_b32_e32 v7, v6, v34, vcc
	v_and_b32_e32 v6, 0x7f800000, v7
	v_cmp_ne_u32_e64 s[28:29], s68, v6
                                        ; implicit-def: $vgpr34
	s_and_saveexec_b64 s[94:95], s[28:29]
	s_xor_b64 s[28:29], exec, s[94:95]
; %bb.1019:                             ;   in Loop: Header=BB10_978 Depth=3
	v_bfe_u32 v6, v7, 16, 1
	v_add3_u32 v34, v7, v6, s69
                                        ; implicit-def: $vgpr7
; %bb.1020:                             ;   in Loop: Header=BB10_978 Depth=3
	s_andn2_saveexec_b64 s[94:95], s[28:29]
; %bb.1021:                             ;   in Loop: Header=BB10_978 Depth=3
	v_or_b32_e32 v6, 0x10000, v7
	v_cmp_eq_u32_sdwa s[28:29], v7, v2 src0_sel:WORD_0 src1_sel:DWORD
	v_cndmask_b32_e64 v34, v6, v7, s[28:29]
; %bb.1022:                             ;   in Loop: Header=BB10_978 Depth=3
	s_or_b64 exec, exec, s[94:95]
	v_lshlrev_b32_e32 v6, 16, v31
	v_lshlrev_b32_e32 v7, 16, v35
	v_max_f32_e32 v7, v7, v7
	v_max_f32_e32 v6, v6, v6
	v_min_f32_e32 v31, v6, v7
	v_max_f32_e32 v6, v6, v7
	v_cndmask_b32_e32 v7, v6, v31, vcc
	v_and_b32_e32 v6, 0x7f800000, v7
	v_cmp_ne_u32_e64 s[28:29], s68, v6
                                        ; implicit-def: $vgpr31
	s_and_saveexec_b64 s[94:95], s[28:29]
	s_xor_b64 s[28:29], exec, s[94:95]
; %bb.1023:                             ;   in Loop: Header=BB10_978 Depth=3
	v_bfe_u32 v6, v7, 16, 1
	v_add3_u32 v31, v7, v6, s69
                                        ; implicit-def: $vgpr7
; %bb.1024:                             ;   in Loop: Header=BB10_978 Depth=3
	s_andn2_saveexec_b64 s[94:95], s[28:29]
; %bb.1025:                             ;   in Loop: Header=BB10_978 Depth=3
	v_or_b32_e32 v6, 0x10000, v7
	v_cmp_eq_u32_sdwa s[28:29], v7, v2 src0_sel:WORD_0 src1_sel:DWORD
	v_cndmask_b32_e64 v31, v6, v7, s[28:29]
; %bb.1026:                             ;   in Loop: Header=BB10_978 Depth=3
	s_or_b64 exec, exec, s[94:95]
	v_lshlrev_b32_e32 v6, 16, v26
	v_lshlrev_b32_e32 v7, 16, v32
	v_max_f32_e32 v7, v7, v7
	v_max_f32_e32 v6, v6, v6
	v_min_f32_e32 v26, v6, v7
	v_max_f32_e32 v6, v6, v7
	v_cndmask_b32_e32 v7, v6, v26, vcc
	v_and_b32_e32 v6, 0x7f800000, v7
	v_cmp_ne_u32_e64 s[28:29], s68, v6
                                        ; implicit-def: $vgpr26
	s_and_saveexec_b64 s[94:95], s[28:29]
	s_xor_b64 s[28:29], exec, s[94:95]
; %bb.1027:                             ;   in Loop: Header=BB10_978 Depth=3
	v_bfe_u32 v6, v7, 16, 1
	v_add3_u32 v26, v7, v6, s69
                                        ; implicit-def: $vgpr7
; %bb.1028:                             ;   in Loop: Header=BB10_978 Depth=3
	s_andn2_saveexec_b64 s[94:95], s[28:29]
; %bb.1029:                             ;   in Loop: Header=BB10_978 Depth=3
	v_or_b32_e32 v6, 0x10000, v7
	v_cmp_eq_u32_sdwa s[28:29], v7, v2 src0_sel:WORD_0 src1_sel:DWORD
	v_cndmask_b32_e64 v26, v6, v7, s[28:29]
; %bb.1030:                             ;   in Loop: Header=BB10_978 Depth=3
	s_or_b64 exec, exec, s[94:95]
	v_lshlrev_b32_e32 v6, 16, v23
	v_lshlrev_b32_e32 v7, 16, v27
	v_max_f32_e32 v7, v7, v7
	v_max_f32_e32 v6, v6, v6
	v_min_f32_e32 v23, v6, v7
	v_max_f32_e32 v6, v6, v7
	v_cndmask_b32_e32 v7, v6, v23, vcc
	v_and_b32_e32 v6, 0x7f800000, v7
	v_cmp_ne_u32_e64 s[28:29], s68, v6
                                        ; implicit-def: $vgpr23
	s_and_saveexec_b64 s[94:95], s[28:29]
	s_xor_b64 s[28:29], exec, s[94:95]
; %bb.1031:                             ;   in Loop: Header=BB10_978 Depth=3
	v_bfe_u32 v6, v7, 16, 1
	v_add3_u32 v23, v7, v6, s69
                                        ; implicit-def: $vgpr7
; %bb.1032:                             ;   in Loop: Header=BB10_978 Depth=3
	s_andn2_saveexec_b64 s[94:95], s[28:29]
; %bb.1033:                             ;   in Loop: Header=BB10_978 Depth=3
	v_or_b32_e32 v6, 0x10000, v7
	v_cmp_eq_u32_sdwa s[28:29], v7, v2 src0_sel:WORD_0 src1_sel:DWORD
	v_cndmask_b32_e64 v23, v6, v7, s[28:29]
; %bb.1034:                             ;   in Loop: Header=BB10_978 Depth=3
	s_or_b64 exec, exec, s[94:95]
	v_lshlrev_b32_e32 v6, 16, v20
	v_lshlrev_b32_e32 v7, 16, v24
	v_max_f32_e32 v7, v7, v7
	v_max_f32_e32 v6, v6, v6
	v_min_f32_e32 v20, v6, v7
	v_max_f32_e32 v6, v6, v7
	v_cndmask_b32_e32 v7, v6, v20, vcc
	v_and_b32_e32 v6, 0x7f800000, v7
	v_cmp_ne_u32_e64 s[28:29], s68, v6
                                        ; implicit-def: $vgpr20
	s_and_saveexec_b64 s[94:95], s[28:29]
	s_xor_b64 s[28:29], exec, s[94:95]
; %bb.1035:                             ;   in Loop: Header=BB10_978 Depth=3
	v_bfe_u32 v6, v7, 16, 1
	v_add3_u32 v20, v7, v6, s69
                                        ; implicit-def: $vgpr7
; %bb.1036:                             ;   in Loop: Header=BB10_978 Depth=3
	s_andn2_saveexec_b64 s[94:95], s[28:29]
; %bb.1037:                             ;   in Loop: Header=BB10_978 Depth=3
	v_or_b32_e32 v6, 0x10000, v7
	v_cmp_eq_u32_sdwa s[28:29], v7, v2 src0_sel:WORD_0 src1_sel:DWORD
	v_cndmask_b32_e64 v20, v6, v7, s[28:29]
; %bb.1038:                             ;   in Loop: Header=BB10_978 Depth=3
	s_or_b64 exec, exec, s[94:95]
	v_lshlrev_b32_e32 v6, 16, v18
	v_lshlrev_b32_e32 v7, 16, v21
	v_max_f32_e32 v7, v7, v7
	v_max_f32_e32 v6, v6, v6
	v_min_f32_e32 v18, v6, v7
	v_max_f32_e32 v6, v6, v7
	v_cndmask_b32_e32 v18, v6, v18, vcc
	v_and_b32_e32 v6, 0x7f800000, v18
	v_cmp_ne_u32_e64 s[28:29], s68, v6
                                        ; implicit-def: $vgpr7
	s_and_saveexec_b64 s[94:95], s[28:29]
	s_xor_b64 s[28:29], exec, s[94:95]
; %bb.1039:                             ;   in Loop: Header=BB10_978 Depth=3
	v_bfe_u32 v6, v18, 16, 1
	v_add3_u32 v7, v18, v6, s69
                                        ; implicit-def: $vgpr18
; %bb.1040:                             ;   in Loop: Header=BB10_978 Depth=3
	s_andn2_saveexec_b64 s[94:95], s[28:29]
	s_cbranch_execz .LBB10_977
; %bb.1041:                             ;   in Loop: Header=BB10_978 Depth=3
	v_or_b32_e32 v6, 0x10000, v18
	v_cmp_eq_u32_sdwa s[28:29], v18, v2 src0_sel:WORD_0 src1_sel:DWORD
	v_cndmask_b32_e64 v7, v6, v18, s[28:29]
	s_branch .LBB10_977
.LBB10_1042:                            ;   in Loop: Header=BB10_720 Depth=2
	s_or_b64 exec, exec, s[42:43]
	buffer_load_dword v59, off, s[0:3], s33 offset:156 ; 4-byte Folded Reload
	buffer_load_dword v53, off, s[0:3], s33 offset:80 ; 4-byte Folded Reload
	;; [unrolled: 1-line block ×6, first 2 shown]
.LBB10_1043:                            ;   in Loop: Header=BB10_720 Depth=2
	s_or_b64 exec, exec, s[40:41]
	v_lshlrev_b32_e32 v0, 11, v17
	v_cmp_ne_u32_e32 vcc, v13, v0
	s_and_b64 exec, exec, vcc
	s_cbranch_execz .LBB10_1053
; %bb.1044:                             ;   in Loop: Header=BB10_720 Depth=2
	v_lshlrev_b32_e32 v1, 6, v15
	v_sub_u32_e32 v1, v14, v1
	v_lshlrev_b32_e32 v4, 6, v16
	v_sub_u32_e32 v1, v1, v4
	v_ashrrev_i32_e32 v4, 31, v1
	v_lshrrev_b32_e32 v4, 26, v4
	v_add_u32_e32 v4, v1, v4
	v_and_b32_e32 v5, 0x7fffffc0, v4
	v_sub_u32_e32 v1, v1, v5
	v_lshlrev_b32_e32 v4, 1, v4
	v_and_b32_e32 v4, 0xffffff80, v4
	v_lshlrev_b32_e32 v1, 1, v1
	v_add3_u32 v0, v4, v1, v0
	v_sub_u32_e32 v8, v13, v0
	v_cmp_lt_i32_e32 vcc, 1, v8
	s_and_b64 exec, exec, vcc
	s_cbranch_execz .LBB10_1053
; %bb.1045:                             ;   in Loop: Header=BB10_720 Depth=2
	v_add_u32_e32 v6, v0, v12
	buffer_load_dword v0, off, s[0:3], s33 offset:208 ; 4-byte Folded Reload
	buffer_load_dword v1, off, s[0:3], s33 offset:212 ; 4-byte Folded Reload
	v_ashrrev_i32_e32 v7, 31, v6
	s_trap 2
	s_and_b32 s58, s48, 1
	s_cmp_eq_u64 s[58:59], 0
	s_mov_b64 s[94:95], 0
	s_cselect_b64 s[28:29], -1, 0
	s_waitcnt vmcnt(0)
	v_add_co_u32_e32 v9, vcc, v6, v0
	v_addc_co_u32_e32 v10, vcc, v7, v1, vcc
	ds_read_b64 v[4:5], v0
	buffer_load_dword v0, off, s[0:3], s33 offset:144 ; 4-byte Folded Reload
	buffer_load_dword v1, off, s[0:3], s33 offset:148 ; 4-byte Folded Reload
	v_add_co_u32_e32 v11, vcc, v6, v28
	v_addc_co_u32_e32 v12, vcc, v7, v29, vcc
	s_waitcnt vmcnt(0)
	v_add_co_u32_e32 v0, vcc, v6, v0
	v_addc_co_u32_e32 v1, vcc, v7, v1, vcc
	s_waitcnt lgkmcnt(0)
	v_add_co_u32_e32 v4, vcc, v4, v6
	v_addc_co_u32_e32 v5, vcc, v5, v7, vcc
.LBB10_1046:                            ;   Parent Loop BB10_47 Depth=1
                                        ;     Parent Loop BB10_720 Depth=2
                                        ; =>    This Loop Header: Depth=3
                                        ;         Child Loop BB10_1051 Depth 4
	flat_load_ushort v6, v[4:5] glc slc
	flat_load_ushort v7, v[0:1] glc slc
	s_waitcnt vmcnt(0) lgkmcnt(0)
	v_lshlrev_b32_e32 v6, 16, v6
	v_lshlrev_b32_e32 v7, 16, v7
	v_max_f32_e32 v6, v6, v6
	v_max_f32_e32 v7, v7, v7
	v_min_f32_e32 v13, v7, v6
	v_max_f32_e32 v6, v7, v6
	v_cndmask_b32_e64 v7, v6, v13, s[28:29]
	v_and_b32_e32 v6, 0x7f800000, v7
	v_cmp_ne_u32_e32 vcc, s68, v6
                                        ; implicit-def: $vgpr13
	s_and_saveexec_b64 s[40:41], vcc
	s_xor_b64 s[40:41], exec, s[40:41]
; %bb.1047:                             ;   in Loop: Header=BB10_1046 Depth=3
	v_bfe_u32 v6, v7, 16, 1
	v_add3_u32 v13, v7, v6, s69
                                        ; implicit-def: $vgpr7
; %bb.1048:                             ;   in Loop: Header=BB10_1046 Depth=3
	s_andn2_saveexec_b64 s[40:41], s[40:41]
; %bb.1049:                             ;   in Loop: Header=BB10_1046 Depth=3
	v_or_b32_e32 v6, 0x10000, v7
	v_cmp_eq_u32_sdwa vcc, v7, v2 src0_sel:WORD_0 src1_sel:DWORD
	v_cndmask_b32_e32 v13, v6, v7, vcc
; %bb.1050:                             ;   in Loop: Header=BB10_1046 Depth=3
	s_or_b64 exec, exec, s[40:41]
	v_lshrrev_b32_e32 v13, 16, v13
	s_mov_b64 s[34:35], 0
	s_mov_b64 s[30:31], -1
.LBB10_1051:                            ;   Parent Loop BB10_47 Depth=1
                                        ;     Parent Loop BB10_720 Depth=2
                                        ;       Parent Loop BB10_1046 Depth=3
                                        ; =>      This Inner Loop Header: Depth=4
	s_cmp_eq_u32 s34, 1
	s_cselect_b64 s[40:41], -1, 0
	v_cndmask_b32_e64 v14, v9, v11, s[40:41]
	v_cndmask_b32_e64 v15, v10, v12, s[40:41]
	v_add_co_u32_e32 v6, vcc, 0x80, v14
	s_cmp_eq_u32 s34, 0
	v_addc_co_u32_e32 v7, vcc, 0, v15, vcc
	s_cselect_b64 vcc, -1, 0
	s_and_b64 s[42:43], exec, s[30:31]
	s_mov_b64 s[34:35], 1
	v_cndmask_b32_e64 v11, v11, v6, s[40:41]
	s_mov_b64 s[30:31], 0
	v_cndmask_b32_e64 v12, v12, v7, s[40:41]
	v_cndmask_b32_e32 v10, v10, v7, vcc
	v_cndmask_b32_e32 v9, v9, v6, vcc
	s_mov_b64 vcc, s[42:43]
	flat_store_short v[14:15], v13 glc slc
	s_cbranch_vccnz .LBB10_1051
; %bb.1052:                             ;   in Loop: Header=BB10_1046 Depth=3
	buffer_load_dword v6, off, s[0:3], s33 offset:112 ; 4-byte Folded Reload
	buffer_load_dword v7, off, s[0:3], s33 offset:116 ; 4-byte Folded Reload
	v_sub_u32_e32 v8, v8, v53
	s_waitcnt vmcnt(0)
	v_add_co_u32_e32 v0, vcc, v0, v6
	v_addc_co_u32_e32 v1, vcc, v1, v7, vcc
	v_add_co_u32_e32 v4, vcc, v4, v6
	buffer_load_dword v6, off, s[0:3], s33 offset:104 ; 4-byte Folded Reload
	v_addc_co_u32_e32 v5, vcc, v5, v7, vcc
	buffer_load_dword v7, off, s[0:3], s33 offset:108 ; 4-byte Folded Reload
	s_waitcnt vmcnt(0)
	v_add_co_u32_e32 v9, vcc, v9, v6
	v_addc_co_u32_e32 v10, vcc, v10, v7, vcc
	v_cmp_gt_i32_e32 vcc, 2, v8
	s_or_b64 s[94:95], vcc, s[94:95]
	v_add_co_u32_e32 v11, vcc, v11, v6
	v_addc_co_u32_e32 v12, vcc, v12, v7, vcc
	s_andn2_b64 exec, exec, s[94:95]
	s_cbranch_execnz .LBB10_1046
.LBB10_1053:                            ;   in Loop: Header=BB10_720 Depth=2
	s_or_b64 exec, exec, s[44:45]
	s_branch .LBB10_801
.LBB10_1054:                            ;   in Loop: Header=BB10_720 Depth=2
	s_mov_b64 s[40:41], -1
	s_and_saveexec_b64 s[28:29], s[22:23]
	s_cbranch_execz .LBB10_1056
; %bb.1055:                             ;   in Loop: Header=BB10_720 Depth=2
	ds_read_b32 v0, v0 offset:720
	s_waitcnt lgkmcnt(0)
	v_and_b32_e32 v0, 15, v0
	v_cmp_eq_u32_e32 vcc, 0, v0
	s_orn2_b64 s[40:41], vcc, exec
.LBB10_1056:                            ;   in Loop: Header=BB10_720 Depth=2
	s_or_b64 exec, exec, s[28:29]
	s_and_saveexec_b64 s[28:29], s[18:19]
	s_cbranch_execz .LBB10_1058
; %bb.1057:                             ;   in Loop: Header=BB10_720 Depth=2
	ds_read_b32 v0, v0 offset:784
	s_waitcnt lgkmcnt(0)
	v_and_b32_e32 v0, 15, v0
	v_cmp_eq_u32_e32 vcc, 0, v0
	s_and_b64 s[42:43], s[40:41], vcc
	s_andn2_b64 s[40:41], s[40:41], exec
	s_and_b64 s[42:43], s[42:43], exec
	s_or_b64 s[40:41], s[40:41], s[42:43]
.LBB10_1058:                            ;   in Loop: Header=BB10_720 Depth=2
	s_or_b64 exec, exec, s[28:29]
	s_xor_b64 s[40:41], s[40:41], -1
	v_cndmask_b32_e64 v0, 0, 1, s[40:41]
	s_mov_b64 s[28:29], -1
	v_mov_b32_e32 v10, 0
	v_cmp_ne_u32_e32 vcc, 0, v0
	s_cbranch_vccz .LBB10_1060
; %bb.1059:                             ;   in Loop: Header=BB10_720 Depth=2
	v_mov_b32_e32 v11, v55
	s_and_saveexec_b64 s[40:41], s[28:29]
	s_cbranch_execnz .LBB10_1231
	s_branch .LBB10_1307
.LBB10_1060:                            ;   in Loop: Header=BB10_720 Depth=2
	s_waitcnt vmcnt(0)
	v_ashrrev_i32_e32 v0, 31, v61
	v_lshrrev_b32_e32 v0, 20, v0
	v_add_u32_e32 v0, v61, v0
	v_ashrrev_i32_e32 v31, 12, v0
	buffer_load_dword v0, off, s[0:3], s33 offset:152 ; 4-byte Folded Reload
	s_waitcnt vmcnt(0)
	v_sub_u32_e32 v30, v31, v0
	v_cmp_lt_i32_e32 vcc, 0, v30
	s_and_saveexec_b64 s[40:41], vcc
	s_cbranch_execz .LBB10_1192
; %bb.1061:                             ;   in Loop: Header=BB10_720 Depth=2
	s_trap 2
	ds_read_b64 v[0:1], v0
	buffer_load_dword v6, off, s[0:3], s33 offset:184 ; 4-byte Folded Reload
	buffer_load_dword v4, off, s[0:3], s33 offset:144 ; 4-byte Folded Reload
	;; [unrolled: 1-line block ×5, first 2 shown]
	s_and_b32 s58, s48, 1
	s_cmp_eq_u64 s[58:59], 0
	s_mov_b64 s[42:43], 0
	s_waitcnt vmcnt(0)
	v_add_co_u32_e32 v4, vcc, v4, v6
	v_addc_co_u32_e32 v5, vcc, 0, v5, vcc
	s_waitcnt lgkmcnt(0)
	v_add_co_u32_e32 v0, vcc, v0, v6
	v_addc_co_u32_e32 v1, vcc, 0, v1, vcc
	v_add_co_u32_e32 v28, vcc, v7, v6
	v_addc_co_u32_e32 v29, vcc, 0, v8, vcc
	s_cselect_b64 vcc, -1, 0
	s_branch .LBB10_1063
.LBB10_1062:                            ;   in Loop: Header=BB10_1063 Depth=3
	s_or_b64 exec, exec, s[44:45]
	v_lshrrev_b32_e32 v6, 16, v20
	v_and_or_b32 v17, v17, s70, v6
	v_lshrrev_b32_e32 v6, 16, v35
	v_and_or_b32 v16, v16, s70, v6
	v_lshrrev_b32_e32 v6, 16, v21
	v_and_or_b32 v18, v18, s70, v6
	v_lshrrev_b32_e32 v6, 16, v22
	v_and_or_b32 v19, v19, s70, v6
	v_lshrrev_b32_e32 v6, 16, v32
	v_and_or_b32 v25, v25, s70, v6
	v_lshrrev_b32_e32 v6, 16, v51
	v_and_or_b32 v24, v24, s70, v6
	v_lshrrev_b32_e32 v6, 16, v33
	v_and_or_b32 v26, v26, s70, v6
	v_lshrrev_b32_e32 v6, 16, v34
	v_and_or_b32 v27, v27, s70, v6
	v_lshrrev_b32_e32 v6, 16, v48
	v_and_or_b32 v33, v37, s70, v6
	v_lshrrev_b32_e32 v6, 16, v52
	v_and_or_b32 v32, v36, s70, v6
	v_lshrrev_b32_e32 v6, 16, v49
	v_and_or_b32 v34, v38, s70, v6
	v_lshrrev_b32_e32 v6, 16, v50
	v_and_or_b32 v35, v39, s70, v6
	v_lshrrev_b32_e32 v6, 16, v12
	v_and_or_b32 v9, v9, s70, v6
	v_lshrrev_b32_e32 v6, 16, v23
	v_and_or_b32 v8, v8, s70, v6
	v_lshrrev_b32_e32 v6, 16, v13
	v_and_or_b32 v10, v10, s70, v6
	v_lshrrev_b32_e32 v6, 16, v14
	v_and_or_b32 v11, v7, s70, v6
	global_store_dwordx4 v[28:29], v[32:35], off glc slc
	global_store_dwordx4 v[28:29], v[24:27], off offset:1024 glc slc
	global_store_dwordx4 v[28:29], v[16:19], off offset:2048 glc slc
	;; [unrolled: 1-line block ×3, first 2 shown]
	buffer_load_dword v7, off, s[0:3], s33 offset:72 ; 4-byte Folded Reload
	buffer_load_dword v6, off, s[0:3], s33 offset:68 ; 4-byte Folded Reload
	s_waitcnt vmcnt(1)
	v_add_co_u32_e64 v4, s[28:29], v4, v7
	v_addc_co_u32_e64 v5, s[28:29], 0, v5, s[28:29]
	v_add_co_u32_e64 v0, s[28:29], v0, v7
	v_addc_co_u32_e64 v1, s[28:29], 0, v1, s[28:29]
	s_waitcnt vmcnt(0)
	v_sub_u32_e32 v30, v30, v6
	v_cmp_gt_i32_e64 s[28:29], 1, v30
	s_or_b64 s[42:43], s[28:29], s[42:43]
	v_add_co_u32_e64 v28, s[28:29], v28, v7
	v_addc_co_u32_e64 v29, s[28:29], 0, v29, s[28:29]
	s_andn2_b64 exec, exec, s[42:43]
	s_cbranch_execz .LBB10_1191
.LBB10_1063:                            ;   Parent Loop BB10_47 Depth=1
                                        ;     Parent Loop BB10_720 Depth=2
                                        ; =>    This Inner Loop Header: Depth=3
	global_load_dwordx4 v[36:39], v[4:5], off glc slc
	global_load_dwordx4 v[48:51], v[0:1], off glc slc
	global_load_dwordx4 v[24:27], v[4:5], off offset:1024 glc slc
	global_load_dwordx4 v[16:19], v[4:5], off offset:2048 glc slc
	;; [unrolled: 1-line block ×6, first 2 shown]
	s_waitcnt vmcnt(7)
	v_lshlrev_b32_e32 v6, 16, v36
	s_waitcnt vmcnt(6)
	v_lshlrev_b32_e32 v7, 16, v48
	v_max_f32_e32 v7, v7, v7
	v_max_f32_e32 v6, v6, v6
	v_min_f32_e32 v52, v6, v7
	v_max_f32_e32 v6, v6, v7
	v_cndmask_b32_e32 v7, v6, v52, vcc
	v_and_b32_e32 v6, 0x7f800000, v7
	v_cmp_ne_u32_e64 s[28:29], s68, v6
                                        ; implicit-def: $vgpr52
	s_and_saveexec_b64 s[44:45], s[28:29]
	s_xor_b64 s[28:29], exec, s[44:45]
; %bb.1064:                             ;   in Loop: Header=BB10_1063 Depth=3
	v_bfe_u32 v6, v7, 16, 1
	v_add3_u32 v52, v7, v6, s69
                                        ; implicit-def: $vgpr7
; %bb.1065:                             ;   in Loop: Header=BB10_1063 Depth=3
	s_andn2_saveexec_b64 s[44:45], s[28:29]
; %bb.1066:                             ;   in Loop: Header=BB10_1063 Depth=3
	v_or_b32_e32 v6, 0x10000, v7
	v_cmp_eq_u32_sdwa s[28:29], v7, v2 src0_sel:WORD_0 src1_sel:DWORD
	v_cndmask_b32_e64 v52, v6, v7, s[28:29]
; %bb.1067:                             ;   in Loop: Header=BB10_1063 Depth=3
	s_or_b64 exec, exec, s[44:45]
	v_and_b32_e32 v6, 0xffff0000, v36
	v_and_b32_e32 v7, 0xffff0000, v48
	v_max_f32_e32 v7, v7, v7
	v_max_f32_e32 v6, v6, v6
	v_min_f32_e32 v36, v6, v7
	v_max_f32_e32 v6, v6, v7
	v_cndmask_b32_e32 v7, v6, v36, vcc
	v_and_b32_e32 v6, 0x7f800000, v7
	v_cmp_ne_u32_e64 s[28:29], s68, v6
                                        ; implicit-def: $vgpr36
	s_and_saveexec_b64 s[44:45], s[28:29]
	s_xor_b64 s[28:29], exec, s[44:45]
; %bb.1068:                             ;   in Loop: Header=BB10_1063 Depth=3
	v_bfe_u32 v6, v7, 16, 1
	v_add3_u32 v36, v7, v6, s69
                                        ; implicit-def: $vgpr7
; %bb.1069:                             ;   in Loop: Header=BB10_1063 Depth=3
	s_andn2_saveexec_b64 s[44:45], s[28:29]
; %bb.1070:                             ;   in Loop: Header=BB10_1063 Depth=3
	v_or_b32_e32 v6, 0x10000, v7
	v_cmp_eq_u32_sdwa s[28:29], v7, v2 src0_sel:WORD_0 src1_sel:DWORD
	v_cndmask_b32_e64 v36, v6, v7, s[28:29]
; %bb.1071:                             ;   in Loop: Header=BB10_1063 Depth=3
	s_or_b64 exec, exec, s[44:45]
	v_lshlrev_b32_e32 v6, 16, v37
	v_lshlrev_b32_e32 v7, 16, v49
	v_max_f32_e32 v7, v7, v7
	v_max_f32_e32 v6, v6, v6
	v_min_f32_e32 v48, v6, v7
	v_max_f32_e32 v6, v6, v7
	v_cndmask_b32_e32 v7, v6, v48, vcc
	v_and_b32_e32 v6, 0x7f800000, v7
	v_cmp_ne_u32_e64 s[28:29], s68, v6
                                        ; implicit-def: $vgpr48
	s_and_saveexec_b64 s[44:45], s[28:29]
	s_xor_b64 s[28:29], exec, s[44:45]
; %bb.1072:                             ;   in Loop: Header=BB10_1063 Depth=3
	v_bfe_u32 v6, v7, 16, 1
	v_add3_u32 v48, v7, v6, s69
                                        ; implicit-def: $vgpr7
; %bb.1073:                             ;   in Loop: Header=BB10_1063 Depth=3
	s_andn2_saveexec_b64 s[44:45], s[28:29]
; %bb.1074:                             ;   in Loop: Header=BB10_1063 Depth=3
	v_or_b32_e32 v6, 0x10000, v7
	v_cmp_eq_u32_sdwa s[28:29], v7, v2 src0_sel:WORD_0 src1_sel:DWORD
	v_cndmask_b32_e64 v48, v6, v7, s[28:29]
; %bb.1075:                             ;   in Loop: Header=BB10_1063 Depth=3
	s_or_b64 exec, exec, s[44:45]
	v_and_b32_e32 v6, 0xffff0000, v37
	v_and_b32_e32 v7, 0xffff0000, v49
	v_max_f32_e32 v7, v7, v7
	v_max_f32_e32 v6, v6, v6
	v_min_f32_e32 v37, v6, v7
	v_max_f32_e32 v6, v6, v7
	v_cndmask_b32_e32 v7, v6, v37, vcc
	v_and_b32_e32 v6, 0x7f800000, v7
	v_cmp_ne_u32_e64 s[28:29], s68, v6
                                        ; implicit-def: $vgpr37
	s_and_saveexec_b64 s[44:45], s[28:29]
	s_xor_b64 s[28:29], exec, s[44:45]
; %bb.1076:                             ;   in Loop: Header=BB10_1063 Depth=3
	v_bfe_u32 v6, v7, 16, 1
	v_add3_u32 v37, v7, v6, s69
                                        ; implicit-def: $vgpr7
; %bb.1077:                             ;   in Loop: Header=BB10_1063 Depth=3
	s_andn2_saveexec_b64 s[44:45], s[28:29]
; %bb.1078:                             ;   in Loop: Header=BB10_1063 Depth=3
	v_or_b32_e32 v6, 0x10000, v7
	v_cmp_eq_u32_sdwa s[28:29], v7, v2 src0_sel:WORD_0 src1_sel:DWORD
	v_cndmask_b32_e64 v37, v6, v7, s[28:29]
; %bb.1079:                             ;   in Loop: Header=BB10_1063 Depth=3
	s_or_b64 exec, exec, s[44:45]
	v_lshlrev_b32_e32 v6, 16, v38
	v_lshlrev_b32_e32 v7, 16, v50
	v_max_f32_e32 v7, v7, v7
	v_max_f32_e32 v6, v6, v6
	v_min_f32_e32 v49, v6, v7
	v_max_f32_e32 v6, v6, v7
	v_cndmask_b32_e32 v7, v6, v49, vcc
	v_and_b32_e32 v6, 0x7f800000, v7
	v_cmp_ne_u32_e64 s[28:29], s68, v6
                                        ; implicit-def: $vgpr49
	s_and_saveexec_b64 s[44:45], s[28:29]
	s_xor_b64 s[28:29], exec, s[44:45]
; %bb.1080:                             ;   in Loop: Header=BB10_1063 Depth=3
	v_bfe_u32 v6, v7, 16, 1
	v_add3_u32 v49, v7, v6, s69
                                        ; implicit-def: $vgpr7
; %bb.1081:                             ;   in Loop: Header=BB10_1063 Depth=3
	s_andn2_saveexec_b64 s[44:45], s[28:29]
; %bb.1082:                             ;   in Loop: Header=BB10_1063 Depth=3
	v_or_b32_e32 v6, 0x10000, v7
	v_cmp_eq_u32_sdwa s[28:29], v7, v2 src0_sel:WORD_0 src1_sel:DWORD
	v_cndmask_b32_e64 v49, v6, v7, s[28:29]
; %bb.1083:                             ;   in Loop: Header=BB10_1063 Depth=3
	s_or_b64 exec, exec, s[44:45]
	v_and_b32_e32 v6, 0xffff0000, v38
	v_and_b32_e32 v7, 0xffff0000, v50
	v_max_f32_e32 v7, v7, v7
	v_max_f32_e32 v6, v6, v6
	v_min_f32_e32 v38, v6, v7
	v_max_f32_e32 v6, v6, v7
	v_cndmask_b32_e32 v7, v6, v38, vcc
	v_and_b32_e32 v6, 0x7f800000, v7
	v_cmp_ne_u32_e64 s[28:29], s68, v6
                                        ; implicit-def: $vgpr38
	s_and_saveexec_b64 s[44:45], s[28:29]
	s_xor_b64 s[28:29], exec, s[44:45]
; %bb.1084:                             ;   in Loop: Header=BB10_1063 Depth=3
	v_bfe_u32 v6, v7, 16, 1
	v_add3_u32 v38, v7, v6, s69
                                        ; implicit-def: $vgpr7
; %bb.1085:                             ;   in Loop: Header=BB10_1063 Depth=3
	s_andn2_saveexec_b64 s[44:45], s[28:29]
; %bb.1086:                             ;   in Loop: Header=BB10_1063 Depth=3
	v_or_b32_e32 v6, 0x10000, v7
	v_cmp_eq_u32_sdwa s[28:29], v7, v2 src0_sel:WORD_0 src1_sel:DWORD
	v_cndmask_b32_e64 v38, v6, v7, s[28:29]
; %bb.1087:                             ;   in Loop: Header=BB10_1063 Depth=3
	s_or_b64 exec, exec, s[44:45]
	v_lshlrev_b32_e32 v6, 16, v39
	v_lshlrev_b32_e32 v7, 16, v51
	v_max_f32_e32 v7, v7, v7
	v_max_f32_e32 v6, v6, v6
	v_min_f32_e32 v50, v6, v7
	v_max_f32_e32 v6, v6, v7
	v_cndmask_b32_e32 v7, v6, v50, vcc
	v_and_b32_e32 v6, 0x7f800000, v7
	v_cmp_ne_u32_e64 s[28:29], s68, v6
                                        ; implicit-def: $vgpr50
	s_and_saveexec_b64 s[44:45], s[28:29]
	s_xor_b64 s[28:29], exec, s[44:45]
; %bb.1088:                             ;   in Loop: Header=BB10_1063 Depth=3
	v_bfe_u32 v6, v7, 16, 1
	v_add3_u32 v50, v7, v6, s69
                                        ; implicit-def: $vgpr7
; %bb.1089:                             ;   in Loop: Header=BB10_1063 Depth=3
	s_andn2_saveexec_b64 s[44:45], s[28:29]
; %bb.1090:                             ;   in Loop: Header=BB10_1063 Depth=3
	v_or_b32_e32 v6, 0x10000, v7
	v_cmp_eq_u32_sdwa s[28:29], v7, v2 src0_sel:WORD_0 src1_sel:DWORD
	v_cndmask_b32_e64 v50, v6, v7, s[28:29]
; %bb.1091:                             ;   in Loop: Header=BB10_1063 Depth=3
	s_or_b64 exec, exec, s[44:45]
	v_and_b32_e32 v6, 0xffff0000, v39
	v_and_b32_e32 v7, 0xffff0000, v51
	v_max_f32_e32 v7, v7, v7
	v_max_f32_e32 v6, v6, v6
	v_min_f32_e32 v39, v6, v7
	v_max_f32_e32 v6, v6, v7
	v_cndmask_b32_e32 v7, v6, v39, vcc
	v_and_b32_e32 v6, 0x7f800000, v7
	v_cmp_ne_u32_e64 s[28:29], s68, v6
                                        ; implicit-def: $vgpr39
	s_and_saveexec_b64 s[44:45], s[28:29]
	s_xor_b64 s[28:29], exec, s[44:45]
; %bb.1092:                             ;   in Loop: Header=BB10_1063 Depth=3
	v_bfe_u32 v6, v7, 16, 1
	v_add3_u32 v39, v7, v6, s69
                                        ; implicit-def: $vgpr7
; %bb.1093:                             ;   in Loop: Header=BB10_1063 Depth=3
	s_andn2_saveexec_b64 s[44:45], s[28:29]
; %bb.1094:                             ;   in Loop: Header=BB10_1063 Depth=3
	v_or_b32_e32 v6, 0x10000, v7
	v_cmp_eq_u32_sdwa s[28:29], v7, v2 src0_sel:WORD_0 src1_sel:DWORD
	v_cndmask_b32_e64 v39, v6, v7, s[28:29]
; %bb.1095:                             ;   in Loop: Header=BB10_1063 Depth=3
	s_or_b64 exec, exec, s[44:45]
	s_waitcnt vmcnt(5)
	v_lshlrev_b32_e32 v6, 16, v24
	s_waitcnt vmcnt(2)
	v_lshlrev_b32_e32 v7, 16, v32
	v_max_f32_e32 v7, v7, v7
	v_max_f32_e32 v6, v6, v6
	v_min_f32_e32 v51, v6, v7
	v_max_f32_e32 v6, v6, v7
	v_cndmask_b32_e32 v7, v6, v51, vcc
	v_and_b32_e32 v6, 0x7f800000, v7
	v_cmp_ne_u32_e64 s[28:29], s68, v6
                                        ; implicit-def: $vgpr51
	s_and_saveexec_b64 s[44:45], s[28:29]
	s_xor_b64 s[28:29], exec, s[44:45]
; %bb.1096:                             ;   in Loop: Header=BB10_1063 Depth=3
	v_bfe_u32 v6, v7, 16, 1
	v_add3_u32 v51, v7, v6, s69
                                        ; implicit-def: $vgpr7
; %bb.1097:                             ;   in Loop: Header=BB10_1063 Depth=3
	s_andn2_saveexec_b64 s[44:45], s[28:29]
; %bb.1098:                             ;   in Loop: Header=BB10_1063 Depth=3
	v_or_b32_e32 v6, 0x10000, v7
	v_cmp_eq_u32_sdwa s[28:29], v7, v2 src0_sel:WORD_0 src1_sel:DWORD
	v_cndmask_b32_e64 v51, v6, v7, s[28:29]
; %bb.1099:                             ;   in Loop: Header=BB10_1063 Depth=3
	s_or_b64 exec, exec, s[44:45]
	v_and_b32_e32 v6, 0xffff0000, v24
	v_and_b32_e32 v7, 0xffff0000, v32
	v_max_f32_e32 v7, v7, v7
	v_max_f32_e32 v6, v6, v6
	v_min_f32_e32 v24, v6, v7
	v_max_f32_e32 v6, v6, v7
	v_cndmask_b32_e32 v7, v6, v24, vcc
	v_and_b32_e32 v6, 0x7f800000, v7
	v_cmp_ne_u32_e64 s[28:29], s68, v6
                                        ; implicit-def: $vgpr24
	s_and_saveexec_b64 s[44:45], s[28:29]
	s_xor_b64 s[28:29], exec, s[44:45]
; %bb.1100:                             ;   in Loop: Header=BB10_1063 Depth=3
	v_bfe_u32 v6, v7, 16, 1
	v_add3_u32 v24, v7, v6, s69
                                        ; implicit-def: $vgpr7
; %bb.1101:                             ;   in Loop: Header=BB10_1063 Depth=3
	s_andn2_saveexec_b64 s[44:45], s[28:29]
; %bb.1102:                             ;   in Loop: Header=BB10_1063 Depth=3
	v_or_b32_e32 v6, 0x10000, v7
	v_cmp_eq_u32_sdwa s[28:29], v7, v2 src0_sel:WORD_0 src1_sel:DWORD
	v_cndmask_b32_e64 v24, v6, v7, s[28:29]
; %bb.1103:                             ;   in Loop: Header=BB10_1063 Depth=3
	s_or_b64 exec, exec, s[44:45]
	v_lshlrev_b32_e32 v6, 16, v25
	v_lshlrev_b32_e32 v7, 16, v33
	v_max_f32_e32 v7, v7, v7
	v_max_f32_e32 v6, v6, v6
	v_min_f32_e32 v32, v6, v7
	v_max_f32_e32 v6, v6, v7
	v_cndmask_b32_e32 v7, v6, v32, vcc
	v_and_b32_e32 v6, 0x7f800000, v7
	v_cmp_ne_u32_e64 s[28:29], s68, v6
                                        ; implicit-def: $vgpr32
	s_and_saveexec_b64 s[44:45], s[28:29]
	s_xor_b64 s[28:29], exec, s[44:45]
; %bb.1104:                             ;   in Loop: Header=BB10_1063 Depth=3
	v_bfe_u32 v6, v7, 16, 1
	v_add3_u32 v32, v7, v6, s69
                                        ; implicit-def: $vgpr7
; %bb.1105:                             ;   in Loop: Header=BB10_1063 Depth=3
	s_andn2_saveexec_b64 s[44:45], s[28:29]
; %bb.1106:                             ;   in Loop: Header=BB10_1063 Depth=3
	v_or_b32_e32 v6, 0x10000, v7
	v_cmp_eq_u32_sdwa s[28:29], v7, v2 src0_sel:WORD_0 src1_sel:DWORD
	v_cndmask_b32_e64 v32, v6, v7, s[28:29]
; %bb.1107:                             ;   in Loop: Header=BB10_1063 Depth=3
	s_or_b64 exec, exec, s[44:45]
	v_and_b32_e32 v6, 0xffff0000, v25
	v_and_b32_e32 v7, 0xffff0000, v33
	v_max_f32_e32 v7, v7, v7
	v_max_f32_e32 v6, v6, v6
	v_min_f32_e32 v25, v6, v7
	v_max_f32_e32 v6, v6, v7
	v_cndmask_b32_e32 v7, v6, v25, vcc
	v_and_b32_e32 v6, 0x7f800000, v7
	v_cmp_ne_u32_e64 s[28:29], s68, v6
                                        ; implicit-def: $vgpr25
	s_and_saveexec_b64 s[44:45], s[28:29]
	s_xor_b64 s[28:29], exec, s[44:45]
; %bb.1108:                             ;   in Loop: Header=BB10_1063 Depth=3
	v_bfe_u32 v6, v7, 16, 1
	v_add3_u32 v25, v7, v6, s69
                                        ; implicit-def: $vgpr7
; %bb.1109:                             ;   in Loop: Header=BB10_1063 Depth=3
	s_andn2_saveexec_b64 s[44:45], s[28:29]
; %bb.1110:                             ;   in Loop: Header=BB10_1063 Depth=3
	v_or_b32_e32 v6, 0x10000, v7
	v_cmp_eq_u32_sdwa s[28:29], v7, v2 src0_sel:WORD_0 src1_sel:DWORD
	v_cndmask_b32_e64 v25, v6, v7, s[28:29]
; %bb.1111:                             ;   in Loop: Header=BB10_1063 Depth=3
	s_or_b64 exec, exec, s[44:45]
	v_lshlrev_b32_e32 v6, 16, v26
	v_lshlrev_b32_e32 v7, 16, v34
	v_max_f32_e32 v7, v7, v7
	v_max_f32_e32 v6, v6, v6
	v_min_f32_e32 v33, v6, v7
	v_max_f32_e32 v6, v6, v7
	v_cndmask_b32_e32 v7, v6, v33, vcc
	v_and_b32_e32 v6, 0x7f800000, v7
	v_cmp_ne_u32_e64 s[28:29], s68, v6
                                        ; implicit-def: $vgpr33
	s_and_saveexec_b64 s[44:45], s[28:29]
	s_xor_b64 s[28:29], exec, s[44:45]
; %bb.1112:                             ;   in Loop: Header=BB10_1063 Depth=3
	v_bfe_u32 v6, v7, 16, 1
	v_add3_u32 v33, v7, v6, s69
                                        ; implicit-def: $vgpr7
; %bb.1113:                             ;   in Loop: Header=BB10_1063 Depth=3
	s_andn2_saveexec_b64 s[44:45], s[28:29]
; %bb.1114:                             ;   in Loop: Header=BB10_1063 Depth=3
	v_or_b32_e32 v6, 0x10000, v7
	v_cmp_eq_u32_sdwa s[28:29], v7, v2 src0_sel:WORD_0 src1_sel:DWORD
	v_cndmask_b32_e64 v33, v6, v7, s[28:29]
; %bb.1115:                             ;   in Loop: Header=BB10_1063 Depth=3
	s_or_b64 exec, exec, s[44:45]
	v_and_b32_e32 v6, 0xffff0000, v26
	v_and_b32_e32 v7, 0xffff0000, v34
	v_max_f32_e32 v7, v7, v7
	v_max_f32_e32 v6, v6, v6
	v_min_f32_e32 v26, v6, v7
	v_max_f32_e32 v6, v6, v7
	v_cndmask_b32_e32 v7, v6, v26, vcc
	v_and_b32_e32 v6, 0x7f800000, v7
	v_cmp_ne_u32_e64 s[28:29], s68, v6
                                        ; implicit-def: $vgpr26
	s_and_saveexec_b64 s[44:45], s[28:29]
	s_xor_b64 s[28:29], exec, s[44:45]
; %bb.1116:                             ;   in Loop: Header=BB10_1063 Depth=3
	v_bfe_u32 v6, v7, 16, 1
	v_add3_u32 v26, v7, v6, s69
                                        ; implicit-def: $vgpr7
; %bb.1117:                             ;   in Loop: Header=BB10_1063 Depth=3
	s_andn2_saveexec_b64 s[44:45], s[28:29]
; %bb.1118:                             ;   in Loop: Header=BB10_1063 Depth=3
	v_or_b32_e32 v6, 0x10000, v7
	v_cmp_eq_u32_sdwa s[28:29], v7, v2 src0_sel:WORD_0 src1_sel:DWORD
	v_cndmask_b32_e64 v26, v6, v7, s[28:29]
; %bb.1119:                             ;   in Loop: Header=BB10_1063 Depth=3
	s_or_b64 exec, exec, s[44:45]
	v_lshlrev_b32_e32 v6, 16, v27
	v_lshlrev_b32_e32 v7, 16, v35
	v_max_f32_e32 v7, v7, v7
	v_max_f32_e32 v6, v6, v6
	v_min_f32_e32 v34, v6, v7
	v_max_f32_e32 v6, v6, v7
	v_cndmask_b32_e32 v7, v6, v34, vcc
	v_and_b32_e32 v6, 0x7f800000, v7
	v_cmp_ne_u32_e64 s[28:29], s68, v6
                                        ; implicit-def: $vgpr34
	s_and_saveexec_b64 s[44:45], s[28:29]
	s_xor_b64 s[28:29], exec, s[44:45]
; %bb.1120:                             ;   in Loop: Header=BB10_1063 Depth=3
	v_bfe_u32 v6, v7, 16, 1
	v_add3_u32 v34, v7, v6, s69
                                        ; implicit-def: $vgpr7
; %bb.1121:                             ;   in Loop: Header=BB10_1063 Depth=3
	s_andn2_saveexec_b64 s[44:45], s[28:29]
; %bb.1122:                             ;   in Loop: Header=BB10_1063 Depth=3
	v_or_b32_e32 v6, 0x10000, v7
	v_cmp_eq_u32_sdwa s[28:29], v7, v2 src0_sel:WORD_0 src1_sel:DWORD
	v_cndmask_b32_e64 v34, v6, v7, s[28:29]
; %bb.1123:                             ;   in Loop: Header=BB10_1063 Depth=3
	s_or_b64 exec, exec, s[44:45]
	v_and_b32_e32 v6, 0xffff0000, v27
	v_and_b32_e32 v7, 0xffff0000, v35
	v_max_f32_e32 v7, v7, v7
	v_max_f32_e32 v6, v6, v6
	v_min_f32_e32 v27, v6, v7
	v_max_f32_e32 v6, v6, v7
	v_cndmask_b32_e32 v7, v6, v27, vcc
	v_and_b32_e32 v6, 0x7f800000, v7
	v_cmp_ne_u32_e64 s[28:29], s68, v6
                                        ; implicit-def: $vgpr27
	s_and_saveexec_b64 s[44:45], s[28:29]
	s_xor_b64 s[28:29], exec, s[44:45]
; %bb.1124:                             ;   in Loop: Header=BB10_1063 Depth=3
	v_bfe_u32 v6, v7, 16, 1
	v_add3_u32 v27, v7, v6, s69
                                        ; implicit-def: $vgpr7
; %bb.1125:                             ;   in Loop: Header=BB10_1063 Depth=3
	s_andn2_saveexec_b64 s[44:45], s[28:29]
; %bb.1126:                             ;   in Loop: Header=BB10_1063 Depth=3
	v_or_b32_e32 v6, 0x10000, v7
	v_cmp_eq_u32_sdwa s[28:29], v7, v2 src0_sel:WORD_0 src1_sel:DWORD
	v_cndmask_b32_e64 v27, v6, v7, s[28:29]
; %bb.1127:                             ;   in Loop: Header=BB10_1063 Depth=3
	s_or_b64 exec, exec, s[44:45]
	v_lshlrev_b32_e32 v6, 16, v16
	s_waitcnt vmcnt(1)
	v_lshlrev_b32_e32 v7, 16, v20
	v_max_f32_e32 v7, v7, v7
	v_max_f32_e32 v6, v6, v6
	v_min_f32_e32 v35, v6, v7
	v_max_f32_e32 v6, v6, v7
	v_cndmask_b32_e32 v7, v6, v35, vcc
	v_and_b32_e32 v6, 0x7f800000, v7
	v_cmp_ne_u32_e64 s[28:29], s68, v6
                                        ; implicit-def: $vgpr35
	s_and_saveexec_b64 s[44:45], s[28:29]
	s_xor_b64 s[28:29], exec, s[44:45]
; %bb.1128:                             ;   in Loop: Header=BB10_1063 Depth=3
	v_bfe_u32 v6, v7, 16, 1
	v_add3_u32 v35, v7, v6, s69
                                        ; implicit-def: $vgpr7
; %bb.1129:                             ;   in Loop: Header=BB10_1063 Depth=3
	s_andn2_saveexec_b64 s[44:45], s[28:29]
; %bb.1130:                             ;   in Loop: Header=BB10_1063 Depth=3
	v_or_b32_e32 v6, 0x10000, v7
	v_cmp_eq_u32_sdwa s[28:29], v7, v2 src0_sel:WORD_0 src1_sel:DWORD
	v_cndmask_b32_e64 v35, v6, v7, s[28:29]
; %bb.1131:                             ;   in Loop: Header=BB10_1063 Depth=3
	s_or_b64 exec, exec, s[44:45]
	v_and_b32_e32 v6, 0xffff0000, v16
	v_and_b32_e32 v7, 0xffff0000, v20
	v_max_f32_e32 v7, v7, v7
	v_max_f32_e32 v6, v6, v6
	v_min_f32_e32 v16, v6, v7
	v_max_f32_e32 v6, v6, v7
	v_cndmask_b32_e32 v7, v6, v16, vcc
	v_and_b32_e32 v6, 0x7f800000, v7
	v_cmp_ne_u32_e64 s[28:29], s68, v6
                                        ; implicit-def: $vgpr16
	s_and_saveexec_b64 s[44:45], s[28:29]
	s_xor_b64 s[28:29], exec, s[44:45]
; %bb.1132:                             ;   in Loop: Header=BB10_1063 Depth=3
	v_bfe_u32 v6, v7, 16, 1
	v_add3_u32 v16, v7, v6, s69
                                        ; implicit-def: $vgpr7
; %bb.1133:                             ;   in Loop: Header=BB10_1063 Depth=3
	s_andn2_saveexec_b64 s[44:45], s[28:29]
; %bb.1134:                             ;   in Loop: Header=BB10_1063 Depth=3
	v_or_b32_e32 v6, 0x10000, v7
	v_cmp_eq_u32_sdwa s[28:29], v7, v2 src0_sel:WORD_0 src1_sel:DWORD
	v_cndmask_b32_e64 v16, v6, v7, s[28:29]
; %bb.1135:                             ;   in Loop: Header=BB10_1063 Depth=3
	s_or_b64 exec, exec, s[44:45]
	v_lshlrev_b32_e32 v6, 16, v17
	v_lshlrev_b32_e32 v7, 16, v21
	v_max_f32_e32 v7, v7, v7
	v_max_f32_e32 v6, v6, v6
	v_min_f32_e32 v20, v6, v7
	v_max_f32_e32 v6, v6, v7
	v_cndmask_b32_e32 v7, v6, v20, vcc
	v_and_b32_e32 v6, 0x7f800000, v7
	v_cmp_ne_u32_e64 s[28:29], s68, v6
                                        ; implicit-def: $vgpr20
	s_and_saveexec_b64 s[44:45], s[28:29]
	s_xor_b64 s[28:29], exec, s[44:45]
; %bb.1136:                             ;   in Loop: Header=BB10_1063 Depth=3
	v_bfe_u32 v6, v7, 16, 1
	v_add3_u32 v20, v7, v6, s69
                                        ; implicit-def: $vgpr7
; %bb.1137:                             ;   in Loop: Header=BB10_1063 Depth=3
	s_andn2_saveexec_b64 s[44:45], s[28:29]
; %bb.1138:                             ;   in Loop: Header=BB10_1063 Depth=3
	v_or_b32_e32 v6, 0x10000, v7
	v_cmp_eq_u32_sdwa s[28:29], v7, v2 src0_sel:WORD_0 src1_sel:DWORD
	v_cndmask_b32_e64 v20, v6, v7, s[28:29]
; %bb.1139:                             ;   in Loop: Header=BB10_1063 Depth=3
	s_or_b64 exec, exec, s[44:45]
	v_and_b32_e32 v6, 0xffff0000, v17
	v_and_b32_e32 v7, 0xffff0000, v21
	v_max_f32_e32 v7, v7, v7
	v_max_f32_e32 v6, v6, v6
	v_min_f32_e32 v17, v6, v7
	v_max_f32_e32 v6, v6, v7
	v_cndmask_b32_e32 v7, v6, v17, vcc
	v_and_b32_e32 v6, 0x7f800000, v7
	v_cmp_ne_u32_e64 s[28:29], s68, v6
                                        ; implicit-def: $vgpr17
	s_and_saveexec_b64 s[44:45], s[28:29]
	s_xor_b64 s[28:29], exec, s[44:45]
; %bb.1140:                             ;   in Loop: Header=BB10_1063 Depth=3
	v_bfe_u32 v6, v7, 16, 1
	v_add3_u32 v17, v7, v6, s69
                                        ; implicit-def: $vgpr7
; %bb.1141:                             ;   in Loop: Header=BB10_1063 Depth=3
	s_andn2_saveexec_b64 s[44:45], s[28:29]
; %bb.1142:                             ;   in Loop: Header=BB10_1063 Depth=3
	v_or_b32_e32 v6, 0x10000, v7
	v_cmp_eq_u32_sdwa s[28:29], v7, v2 src0_sel:WORD_0 src1_sel:DWORD
	v_cndmask_b32_e64 v17, v6, v7, s[28:29]
; %bb.1143:                             ;   in Loop: Header=BB10_1063 Depth=3
	s_or_b64 exec, exec, s[44:45]
	v_lshlrev_b32_e32 v6, 16, v18
	v_lshlrev_b32_e32 v7, 16, v22
	v_max_f32_e32 v7, v7, v7
	v_max_f32_e32 v6, v6, v6
	v_min_f32_e32 v21, v6, v7
	v_max_f32_e32 v6, v6, v7
	v_cndmask_b32_e32 v7, v6, v21, vcc
	v_and_b32_e32 v6, 0x7f800000, v7
	v_cmp_ne_u32_e64 s[28:29], s68, v6
                                        ; implicit-def: $vgpr21
	s_and_saveexec_b64 s[44:45], s[28:29]
	s_xor_b64 s[28:29], exec, s[44:45]
; %bb.1144:                             ;   in Loop: Header=BB10_1063 Depth=3
	v_bfe_u32 v6, v7, 16, 1
	v_add3_u32 v21, v7, v6, s69
                                        ; implicit-def: $vgpr7
; %bb.1145:                             ;   in Loop: Header=BB10_1063 Depth=3
	s_andn2_saveexec_b64 s[44:45], s[28:29]
; %bb.1146:                             ;   in Loop: Header=BB10_1063 Depth=3
	v_or_b32_e32 v6, 0x10000, v7
	v_cmp_eq_u32_sdwa s[28:29], v7, v2 src0_sel:WORD_0 src1_sel:DWORD
	v_cndmask_b32_e64 v21, v6, v7, s[28:29]
; %bb.1147:                             ;   in Loop: Header=BB10_1063 Depth=3
	s_or_b64 exec, exec, s[44:45]
	v_and_b32_e32 v6, 0xffff0000, v18
	v_and_b32_e32 v7, 0xffff0000, v22
	v_max_f32_e32 v7, v7, v7
	v_max_f32_e32 v6, v6, v6
	v_min_f32_e32 v18, v6, v7
	v_max_f32_e32 v6, v6, v7
	v_cndmask_b32_e32 v7, v6, v18, vcc
	v_and_b32_e32 v6, 0x7f800000, v7
	v_cmp_ne_u32_e64 s[28:29], s68, v6
                                        ; implicit-def: $vgpr18
	s_and_saveexec_b64 s[44:45], s[28:29]
	s_xor_b64 s[28:29], exec, s[44:45]
; %bb.1148:                             ;   in Loop: Header=BB10_1063 Depth=3
	v_bfe_u32 v6, v7, 16, 1
	v_add3_u32 v18, v7, v6, s69
                                        ; implicit-def: $vgpr7
; %bb.1149:                             ;   in Loop: Header=BB10_1063 Depth=3
	s_andn2_saveexec_b64 s[44:45], s[28:29]
; %bb.1150:                             ;   in Loop: Header=BB10_1063 Depth=3
	v_or_b32_e32 v6, 0x10000, v7
	v_cmp_eq_u32_sdwa s[28:29], v7, v2 src0_sel:WORD_0 src1_sel:DWORD
	v_cndmask_b32_e64 v18, v6, v7, s[28:29]
; %bb.1151:                             ;   in Loop: Header=BB10_1063 Depth=3
	s_or_b64 exec, exec, s[44:45]
	v_lshlrev_b32_e32 v6, 16, v19
	v_lshlrev_b32_e32 v7, 16, v23
	v_max_f32_e32 v7, v7, v7
	v_max_f32_e32 v6, v6, v6
	v_min_f32_e32 v22, v6, v7
	v_max_f32_e32 v6, v6, v7
	v_cndmask_b32_e32 v7, v6, v22, vcc
	v_and_b32_e32 v6, 0x7f800000, v7
	v_cmp_ne_u32_e64 s[28:29], s68, v6
                                        ; implicit-def: $vgpr22
	s_and_saveexec_b64 s[44:45], s[28:29]
	s_xor_b64 s[28:29], exec, s[44:45]
; %bb.1152:                             ;   in Loop: Header=BB10_1063 Depth=3
	v_bfe_u32 v6, v7, 16, 1
	v_add3_u32 v22, v7, v6, s69
                                        ; implicit-def: $vgpr7
; %bb.1153:                             ;   in Loop: Header=BB10_1063 Depth=3
	s_andn2_saveexec_b64 s[44:45], s[28:29]
; %bb.1154:                             ;   in Loop: Header=BB10_1063 Depth=3
	v_or_b32_e32 v6, 0x10000, v7
	v_cmp_eq_u32_sdwa s[28:29], v7, v2 src0_sel:WORD_0 src1_sel:DWORD
	v_cndmask_b32_e64 v22, v6, v7, s[28:29]
; %bb.1155:                             ;   in Loop: Header=BB10_1063 Depth=3
	s_or_b64 exec, exec, s[44:45]
	v_and_b32_e32 v6, 0xffff0000, v19
	v_and_b32_e32 v7, 0xffff0000, v23
	v_max_f32_e32 v7, v7, v7
	v_max_f32_e32 v6, v6, v6
	v_min_f32_e32 v19, v6, v7
	v_max_f32_e32 v6, v6, v7
	v_cndmask_b32_e32 v7, v6, v19, vcc
	v_and_b32_e32 v6, 0x7f800000, v7
	v_cmp_ne_u32_e64 s[28:29], s68, v6
                                        ; implicit-def: $vgpr19
	s_and_saveexec_b64 s[44:45], s[28:29]
	s_xor_b64 s[28:29], exec, s[44:45]
; %bb.1156:                             ;   in Loop: Header=BB10_1063 Depth=3
	v_bfe_u32 v6, v7, 16, 1
	v_add3_u32 v19, v7, v6, s69
                                        ; implicit-def: $vgpr7
; %bb.1157:                             ;   in Loop: Header=BB10_1063 Depth=3
	s_andn2_saveexec_b64 s[44:45], s[28:29]
; %bb.1158:                             ;   in Loop: Header=BB10_1063 Depth=3
	v_or_b32_e32 v6, 0x10000, v7
	v_cmp_eq_u32_sdwa s[28:29], v7, v2 src0_sel:WORD_0 src1_sel:DWORD
	v_cndmask_b32_e64 v19, v6, v7, s[28:29]
; %bb.1159:                             ;   in Loop: Header=BB10_1063 Depth=3
	s_or_b64 exec, exec, s[44:45]
	v_lshlrev_b32_e32 v6, 16, v8
	s_waitcnt vmcnt(0)
	v_lshlrev_b32_e32 v7, 16, v12
	v_max_f32_e32 v7, v7, v7
	v_max_f32_e32 v6, v6, v6
	v_min_f32_e32 v23, v6, v7
	v_max_f32_e32 v6, v6, v7
	v_cndmask_b32_e32 v7, v6, v23, vcc
	v_and_b32_e32 v6, 0x7f800000, v7
	v_cmp_ne_u32_e64 s[28:29], s68, v6
                                        ; implicit-def: $vgpr23
	s_and_saveexec_b64 s[44:45], s[28:29]
	s_xor_b64 s[28:29], exec, s[44:45]
; %bb.1160:                             ;   in Loop: Header=BB10_1063 Depth=3
	v_bfe_u32 v6, v7, 16, 1
	v_add3_u32 v23, v7, v6, s69
                                        ; implicit-def: $vgpr7
; %bb.1161:                             ;   in Loop: Header=BB10_1063 Depth=3
	s_andn2_saveexec_b64 s[44:45], s[28:29]
; %bb.1162:                             ;   in Loop: Header=BB10_1063 Depth=3
	v_or_b32_e32 v6, 0x10000, v7
	v_cmp_eq_u32_sdwa s[28:29], v7, v2 src0_sel:WORD_0 src1_sel:DWORD
	v_cndmask_b32_e64 v23, v6, v7, s[28:29]
; %bb.1163:                             ;   in Loop: Header=BB10_1063 Depth=3
	s_or_b64 exec, exec, s[44:45]
	v_and_b32_e32 v6, 0xffff0000, v8
	v_and_b32_e32 v7, 0xffff0000, v12
	v_max_f32_e32 v7, v7, v7
	v_max_f32_e32 v6, v6, v6
	v_min_f32_e32 v8, v6, v7
	v_max_f32_e32 v6, v6, v7
	v_cndmask_b32_e32 v7, v6, v8, vcc
	v_and_b32_e32 v6, 0x7f800000, v7
	v_cmp_ne_u32_e64 s[28:29], s68, v6
                                        ; implicit-def: $vgpr8
	s_and_saveexec_b64 s[44:45], s[28:29]
	s_xor_b64 s[28:29], exec, s[44:45]
; %bb.1164:                             ;   in Loop: Header=BB10_1063 Depth=3
	v_bfe_u32 v6, v7, 16, 1
	v_add3_u32 v8, v7, v6, s69
                                        ; implicit-def: $vgpr7
; %bb.1165:                             ;   in Loop: Header=BB10_1063 Depth=3
	s_andn2_saveexec_b64 s[44:45], s[28:29]
; %bb.1166:                             ;   in Loop: Header=BB10_1063 Depth=3
	v_or_b32_e32 v6, 0x10000, v7
	v_cmp_eq_u32_sdwa s[28:29], v7, v2 src0_sel:WORD_0 src1_sel:DWORD
	v_cndmask_b32_e64 v8, v6, v7, s[28:29]
; %bb.1167:                             ;   in Loop: Header=BB10_1063 Depth=3
	s_or_b64 exec, exec, s[44:45]
	v_lshlrev_b32_e32 v6, 16, v9
	v_lshlrev_b32_e32 v7, 16, v13
	v_max_f32_e32 v7, v7, v7
	v_max_f32_e32 v6, v6, v6
	v_min_f32_e32 v12, v6, v7
	v_max_f32_e32 v6, v6, v7
	v_cndmask_b32_e32 v7, v6, v12, vcc
	v_and_b32_e32 v6, 0x7f800000, v7
	v_cmp_ne_u32_e64 s[28:29], s68, v6
                                        ; implicit-def: $vgpr12
	s_and_saveexec_b64 s[44:45], s[28:29]
	s_xor_b64 s[28:29], exec, s[44:45]
; %bb.1168:                             ;   in Loop: Header=BB10_1063 Depth=3
	v_bfe_u32 v6, v7, 16, 1
	v_add3_u32 v12, v7, v6, s69
                                        ; implicit-def: $vgpr7
; %bb.1169:                             ;   in Loop: Header=BB10_1063 Depth=3
	s_andn2_saveexec_b64 s[44:45], s[28:29]
; %bb.1170:                             ;   in Loop: Header=BB10_1063 Depth=3
	v_or_b32_e32 v6, 0x10000, v7
	v_cmp_eq_u32_sdwa s[28:29], v7, v2 src0_sel:WORD_0 src1_sel:DWORD
	v_cndmask_b32_e64 v12, v6, v7, s[28:29]
; %bb.1171:                             ;   in Loop: Header=BB10_1063 Depth=3
	s_or_b64 exec, exec, s[44:45]
	v_and_b32_e32 v6, 0xffff0000, v9
	v_and_b32_e32 v7, 0xffff0000, v13
	v_max_f32_e32 v7, v7, v7
	v_max_f32_e32 v6, v6, v6
	v_min_f32_e32 v9, v6, v7
	v_max_f32_e32 v6, v6, v7
	v_cndmask_b32_e32 v7, v6, v9, vcc
	v_and_b32_e32 v6, 0x7f800000, v7
	v_cmp_ne_u32_e64 s[28:29], s68, v6
                                        ; implicit-def: $vgpr9
	s_and_saveexec_b64 s[44:45], s[28:29]
	s_xor_b64 s[28:29], exec, s[44:45]
; %bb.1172:                             ;   in Loop: Header=BB10_1063 Depth=3
	v_bfe_u32 v6, v7, 16, 1
	v_add3_u32 v9, v7, v6, s69
                                        ; implicit-def: $vgpr7
; %bb.1173:                             ;   in Loop: Header=BB10_1063 Depth=3
	s_andn2_saveexec_b64 s[44:45], s[28:29]
; %bb.1174:                             ;   in Loop: Header=BB10_1063 Depth=3
	v_or_b32_e32 v6, 0x10000, v7
	v_cmp_eq_u32_sdwa s[28:29], v7, v2 src0_sel:WORD_0 src1_sel:DWORD
	v_cndmask_b32_e64 v9, v6, v7, s[28:29]
; %bb.1175:                             ;   in Loop: Header=BB10_1063 Depth=3
	s_or_b64 exec, exec, s[44:45]
	v_lshlrev_b32_e32 v6, 16, v10
	v_lshlrev_b32_e32 v7, 16, v14
	v_max_f32_e32 v7, v7, v7
	v_max_f32_e32 v6, v6, v6
	v_min_f32_e32 v13, v6, v7
	v_max_f32_e32 v6, v6, v7
	v_cndmask_b32_e32 v7, v6, v13, vcc
	v_and_b32_e32 v6, 0x7f800000, v7
	v_cmp_ne_u32_e64 s[28:29], s68, v6
                                        ; implicit-def: $vgpr13
	s_and_saveexec_b64 s[44:45], s[28:29]
	s_xor_b64 s[28:29], exec, s[44:45]
; %bb.1176:                             ;   in Loop: Header=BB10_1063 Depth=3
	v_bfe_u32 v6, v7, 16, 1
	v_add3_u32 v13, v7, v6, s69
                                        ; implicit-def: $vgpr7
; %bb.1177:                             ;   in Loop: Header=BB10_1063 Depth=3
	s_andn2_saveexec_b64 s[44:45], s[28:29]
; %bb.1178:                             ;   in Loop: Header=BB10_1063 Depth=3
	v_or_b32_e32 v6, 0x10000, v7
	v_cmp_eq_u32_sdwa s[28:29], v7, v2 src0_sel:WORD_0 src1_sel:DWORD
	v_cndmask_b32_e64 v13, v6, v7, s[28:29]
; %bb.1179:                             ;   in Loop: Header=BB10_1063 Depth=3
	s_or_b64 exec, exec, s[44:45]
	v_and_b32_e32 v6, 0xffff0000, v10
	v_and_b32_e32 v7, 0xffff0000, v14
	v_max_f32_e32 v7, v7, v7
	v_max_f32_e32 v6, v6, v6
	v_min_f32_e32 v10, v6, v7
	v_max_f32_e32 v6, v6, v7
	v_cndmask_b32_e32 v7, v6, v10, vcc
	v_and_b32_e32 v6, 0x7f800000, v7
	v_cmp_ne_u32_e64 s[28:29], s68, v6
                                        ; implicit-def: $vgpr10
	s_and_saveexec_b64 s[44:45], s[28:29]
	s_xor_b64 s[28:29], exec, s[44:45]
; %bb.1180:                             ;   in Loop: Header=BB10_1063 Depth=3
	v_bfe_u32 v6, v7, 16, 1
	v_add3_u32 v10, v7, v6, s69
                                        ; implicit-def: $vgpr7
; %bb.1181:                             ;   in Loop: Header=BB10_1063 Depth=3
	s_andn2_saveexec_b64 s[44:45], s[28:29]
; %bb.1182:                             ;   in Loop: Header=BB10_1063 Depth=3
	v_or_b32_e32 v6, 0x10000, v7
	v_cmp_eq_u32_sdwa s[28:29], v7, v2 src0_sel:WORD_0 src1_sel:DWORD
	v_cndmask_b32_e64 v10, v6, v7, s[28:29]
; %bb.1183:                             ;   in Loop: Header=BB10_1063 Depth=3
	s_or_b64 exec, exec, s[44:45]
	v_lshlrev_b32_e32 v6, 16, v11
	v_lshlrev_b32_e32 v7, 16, v15
	v_max_f32_e32 v7, v7, v7
	v_max_f32_e32 v6, v6, v6
	v_min_f32_e32 v14, v6, v7
	v_max_f32_e32 v6, v6, v7
	v_cndmask_b32_e32 v7, v6, v14, vcc
	v_and_b32_e32 v6, 0x7f800000, v7
	v_cmp_ne_u32_e64 s[28:29], s68, v6
                                        ; implicit-def: $vgpr14
	s_and_saveexec_b64 s[44:45], s[28:29]
	s_xor_b64 s[28:29], exec, s[44:45]
; %bb.1184:                             ;   in Loop: Header=BB10_1063 Depth=3
	v_bfe_u32 v6, v7, 16, 1
	v_add3_u32 v14, v7, v6, s69
                                        ; implicit-def: $vgpr7
; %bb.1185:                             ;   in Loop: Header=BB10_1063 Depth=3
	s_andn2_saveexec_b64 s[44:45], s[28:29]
; %bb.1186:                             ;   in Loop: Header=BB10_1063 Depth=3
	v_or_b32_e32 v6, 0x10000, v7
	v_cmp_eq_u32_sdwa s[28:29], v7, v2 src0_sel:WORD_0 src1_sel:DWORD
	v_cndmask_b32_e64 v14, v6, v7, s[28:29]
; %bb.1187:                             ;   in Loop: Header=BB10_1063 Depth=3
	s_or_b64 exec, exec, s[44:45]
	v_and_b32_e32 v6, 0xffff0000, v11
	v_and_b32_e32 v7, 0xffff0000, v15
	v_max_f32_e32 v7, v7, v7
	v_max_f32_e32 v6, v6, v6
	v_min_f32_e32 v11, v6, v7
	v_max_f32_e32 v6, v6, v7
	v_cndmask_b32_e32 v11, v6, v11, vcc
	v_and_b32_e32 v6, 0x7f800000, v11
	v_cmp_ne_u32_e64 s[28:29], s68, v6
                                        ; implicit-def: $vgpr7
	s_and_saveexec_b64 s[44:45], s[28:29]
	s_xor_b64 s[28:29], exec, s[44:45]
; %bb.1188:                             ;   in Loop: Header=BB10_1063 Depth=3
	v_bfe_u32 v6, v11, 16, 1
	v_add3_u32 v7, v11, v6, s69
                                        ; implicit-def: $vgpr11
; %bb.1189:                             ;   in Loop: Header=BB10_1063 Depth=3
	s_andn2_saveexec_b64 s[44:45], s[28:29]
	s_cbranch_execz .LBB10_1062
; %bb.1190:                             ;   in Loop: Header=BB10_1063 Depth=3
	v_or_b32_e32 v6, 0x10000, v11
	v_cmp_eq_u32_sdwa s[28:29], v11, v2 src0_sel:WORD_0 src1_sel:DWORD
	v_cndmask_b32_e64 v7, v6, v11, s[28:29]
	s_branch .LBB10_1062
.LBB10_1191:                            ;   in Loop: Header=BB10_720 Depth=2
	s_or_b64 exec, exec, s[42:43]
.LBB10_1192:                            ;   in Loop: Header=BB10_720 Depth=2
	s_or_b64 exec, exec, s[40:41]
	v_lshlrev_b32_e32 v18, 12, v31
	v_cmp_ne_u32_e32 vcc, v61, v18
	s_mov_b64 s[28:29], 0
	v_mov_b32_e32 v10, 0
                                        ; implicit-def: $vgpr11
	s_and_saveexec_b64 s[42:43], vcc
	s_cbranch_execz .LBB10_1230
; %bb.1193:                             ;   in Loop: Header=BB10_720 Depth=2
	buffer_load_dword v4, off, s[0:3], s33 offset:188 ; 4-byte Folded Reload
	v_lshlrev_b32_e32 v0, 6, v30
	v_sub_u32_e32 v1, v61, v18
	s_waitcnt vmcnt(0)
	v_sub_u32_e32 v0, v4, v0
	v_ashrrev_i32_e32 v4, 31, v0
	v_lshrrev_b32_e32 v4, 26, v4
	v_add_u32_e32 v4, v0, v4
	v_ashrrev_i32_e32 v5, 6, v4
	v_and_b32_e32 v4, 0xffffffc0, v4
	v_sub_u32_e32 v19, v0, v4
	v_ashrrev_i32_e32 v4, 31, v1
	v_lshrrev_b32_e32 v4, 22, v4
	v_add_u32_e32 v4, v1, v4
	v_and_b32_e32 v20, 0xfffffc00, v4
	v_lshlrev_b32_e32 v0, 4, v19
	v_sub_u32_e32 v21, v1, v20
	v_lshl_add_u32 v0, v5, 10, v0
	v_ashrrev_i32_e32 v6, 10, v4
	v_cmp_lt_i32_e32 vcc, 15, v21
	v_sub_u32_e32 v23, v1, v0
	v_addc_co_u32_e64 v1, s[28:29], 0, v6, vcc
	v_sub_u32_e32 v22, v1, v5
	v_cmp_lt_i32_e64 s[28:29], 15, v23
	s_and_saveexec_b64 s[44:45], s[28:29]
	s_cbranch_execz .LBB10_1229
; %bb.1194:                             ;   in Loop: Header=BB10_720 Depth=2
	v_add_u32_e32 v6, v0, v18
	s_trap 2
	ds_read_b64 v[4:5], v0
	buffer_load_dword v0, off, s[0:3], s33 offset:144 ; 4-byte Folded Reload
	buffer_load_dword v1, off, s[0:3], s33 offset:148 ; 4-byte Folded Reload
	;; [unrolled: 1-line block ×4, first 2 shown]
	v_ashrrev_i32_e32 v7, 31, v6
	s_and_b32 s58, s48, 1
	s_cmp_eq_u64 s[58:59], 0
	s_mov_b64 s[94:95], 0
	s_waitcnt vmcnt(0)
	v_add_co_u32_e64 v0, s[28:29], v6, v0
	v_addc_co_u32_e64 v1, s[28:29], v7, v1, s[28:29]
	s_waitcnt lgkmcnt(0)
	v_add_co_u32_e64 v4, s[28:29], v4, v6
	v_addc_co_u32_e64 v5, s[28:29], v5, v7, s[28:29]
	v_add_co_u32_e64 v16, s[28:29], v6, v8
	v_addc_co_u32_e64 v17, s[28:29], v7, v9, s[28:29]
	s_cselect_b64 s[28:29], -1, 0
	s_branch .LBB10_1196
.LBB10_1195:                            ;   in Loop: Header=BB10_1196 Depth=3
	s_or_b64 exec, exec, s[30:31]
	v_lshrrev_b32_e32 v6, 16, v12
	v_and_or_b32 v9, v9, s70, v6
	v_lshrrev_b32_e32 v6, 16, v24
	v_and_or_b32 v8, v8, s70, v6
	;; [unrolled: 2-line block ×4, first 2 shown]
	buffer_load_dword v6, off, s[0:3], s33 offset:100 ; 4-byte Folded Reload
	s_waitcnt vmcnt(0)
	v_add_co_u32_e64 v0, s[40:41], v0, v6
	v_addc_co_u32_e64 v1, s[40:41], 0, v1, s[40:41]
	v_add_co_u32_e64 v4, s[40:41], v4, v6
	v_addc_co_u32_e64 v5, s[40:41], 0, v5, s[40:41]
	global_store_dwordx4 v[16:17], v[8:11], off glc slc
	v_add_co_u32_e64 v16, s[40:41], v16, v6
	v_sub_u32_e32 v23, v23, v6
	buffer_load_dword v6, off, s[0:3], s33 offset:68 ; 4-byte Folded Reload
	v_addc_co_u32_e64 v17, s[40:41], 0, v17, s[40:41]
	v_cmp_gt_i32_e64 s[40:41], 16, v23
	s_or_b64 s[94:95], s[40:41], s[94:95]
	s_waitcnt vmcnt(0)
	v_sub_u32_e32 v22, v22, v6
	s_andn2_b64 exec, exec, s[94:95]
	s_cbranch_execz .LBB10_1228
.LBB10_1196:                            ;   Parent Loop BB10_47 Depth=1
                                        ;     Parent Loop BB10_720 Depth=2
                                        ; =>    This Inner Loop Header: Depth=3
	global_load_dwordx4 v[8:11], v[4:5], off glc slc
	global_load_dwordx4 v[12:15], v[0:1], off glc slc
	s_waitcnt vmcnt(1)
	v_lshlrev_b32_e32 v6, 16, v8
	s_waitcnt vmcnt(0)
	v_lshlrev_b32_e32 v7, 16, v12
	v_max_f32_e32 v6, v6, v6
	v_max_f32_e32 v7, v7, v7
	v_min_f32_e32 v24, v7, v6
	v_max_f32_e32 v6, v7, v6
	v_cndmask_b32_e64 v7, v6, v24, s[28:29]
	v_and_b32_e32 v6, 0x7f800000, v7
	v_cmp_ne_u32_e64 s[40:41], s68, v6
                                        ; implicit-def: $vgpr24
	s_and_saveexec_b64 s[30:31], s[40:41]
	s_xor_b64 s[40:41], exec, s[30:31]
; %bb.1197:                             ;   in Loop: Header=BB10_1196 Depth=3
	v_bfe_u32 v6, v7, 16, 1
	v_add3_u32 v24, v7, v6, s69
                                        ; implicit-def: $vgpr7
; %bb.1198:                             ;   in Loop: Header=BB10_1196 Depth=3
	s_andn2_saveexec_b64 s[30:31], s[40:41]
; %bb.1199:                             ;   in Loop: Header=BB10_1196 Depth=3
	v_or_b32_e32 v6, 0x10000, v7
	v_cmp_eq_u32_sdwa s[40:41], v7, v2 src0_sel:WORD_0 src1_sel:DWORD
	v_cndmask_b32_e64 v24, v6, v7, s[40:41]
; %bb.1200:                             ;   in Loop: Header=BB10_1196 Depth=3
	s_or_b64 exec, exec, s[30:31]
	v_and_b32_e32 v6, 0xffff0000, v8
	v_and_b32_e32 v7, 0xffff0000, v12
	v_max_f32_e32 v6, v6, v6
	v_max_f32_e32 v7, v7, v7
	v_min_f32_e32 v8, v7, v6
	v_max_f32_e32 v6, v7, v6
	v_cndmask_b32_e64 v7, v6, v8, s[28:29]
	v_and_b32_e32 v6, 0x7f800000, v7
	v_cmp_ne_u32_e64 s[40:41], s68, v6
                                        ; implicit-def: $vgpr8
	s_and_saveexec_b64 s[30:31], s[40:41]
	s_xor_b64 s[40:41], exec, s[30:31]
; %bb.1201:                             ;   in Loop: Header=BB10_1196 Depth=3
	v_bfe_u32 v6, v7, 16, 1
	v_add3_u32 v8, v7, v6, s69
                                        ; implicit-def: $vgpr7
; %bb.1202:                             ;   in Loop: Header=BB10_1196 Depth=3
	s_andn2_saveexec_b64 s[30:31], s[40:41]
; %bb.1203:                             ;   in Loop: Header=BB10_1196 Depth=3
	v_or_b32_e32 v6, 0x10000, v7
	v_cmp_eq_u32_sdwa s[40:41], v7, v2 src0_sel:WORD_0 src1_sel:DWORD
	v_cndmask_b32_e64 v8, v6, v7, s[40:41]
; %bb.1204:                             ;   in Loop: Header=BB10_1196 Depth=3
	s_or_b64 exec, exec, s[30:31]
	v_lshlrev_b32_e32 v6, 16, v9
	v_lshlrev_b32_e32 v7, 16, v13
	v_max_f32_e32 v6, v6, v6
	v_max_f32_e32 v7, v7, v7
	v_min_f32_e32 v12, v7, v6
	v_max_f32_e32 v6, v7, v6
	v_cndmask_b32_e64 v7, v6, v12, s[28:29]
	v_and_b32_e32 v6, 0x7f800000, v7
	v_cmp_ne_u32_e64 s[40:41], s68, v6
                                        ; implicit-def: $vgpr12
	s_and_saveexec_b64 s[30:31], s[40:41]
	s_xor_b64 s[40:41], exec, s[30:31]
; %bb.1205:                             ;   in Loop: Header=BB10_1196 Depth=3
	v_bfe_u32 v6, v7, 16, 1
	v_add3_u32 v12, v7, v6, s69
                                        ; implicit-def: $vgpr7
; %bb.1206:                             ;   in Loop: Header=BB10_1196 Depth=3
	s_andn2_saveexec_b64 s[30:31], s[40:41]
; %bb.1207:                             ;   in Loop: Header=BB10_1196 Depth=3
	v_or_b32_e32 v6, 0x10000, v7
	v_cmp_eq_u32_sdwa s[40:41], v7, v2 src0_sel:WORD_0 src1_sel:DWORD
	v_cndmask_b32_e64 v12, v6, v7, s[40:41]
; %bb.1208:                             ;   in Loop: Header=BB10_1196 Depth=3
	s_or_b64 exec, exec, s[30:31]
	v_and_b32_e32 v6, 0xffff0000, v13
	v_and_b32_e32 v7, 0xffff0000, v9
	v_max_f32_e32 v7, v7, v7
	v_max_f32_e32 v6, v6, v6
	v_min_f32_e32 v9, v6, v7
	v_max_f32_e32 v6, v6, v7
	v_cndmask_b32_e64 v7, v6, v9, s[28:29]
	v_and_b32_e32 v6, 0x7f800000, v7
	v_cmp_ne_u32_e64 s[40:41], s68, v6
                                        ; implicit-def: $vgpr9
	s_and_saveexec_b64 s[30:31], s[40:41]
	s_xor_b64 s[40:41], exec, s[30:31]
; %bb.1209:                             ;   in Loop: Header=BB10_1196 Depth=3
	v_bfe_u32 v6, v7, 16, 1
	v_add3_u32 v9, v7, v6, s69
                                        ; implicit-def: $vgpr7
; %bb.1210:                             ;   in Loop: Header=BB10_1196 Depth=3
	s_andn2_saveexec_b64 s[30:31], s[40:41]
; %bb.1211:                             ;   in Loop: Header=BB10_1196 Depth=3
	v_or_b32_e32 v6, 0x10000, v7
	v_cmp_eq_u32_sdwa s[40:41], v7, v2 src0_sel:WORD_0 src1_sel:DWORD
	v_cndmask_b32_e64 v9, v6, v7, s[40:41]
; %bb.1212:                             ;   in Loop: Header=BB10_1196 Depth=3
	s_or_b64 exec, exec, s[30:31]
	v_lshlrev_b32_e32 v6, 16, v10
	v_lshlrev_b32_e32 v7, 16, v14
	v_max_f32_e32 v6, v6, v6
	v_max_f32_e32 v7, v7, v7
	v_min_f32_e32 v13, v7, v6
	v_max_f32_e32 v6, v7, v6
	v_cndmask_b32_e64 v7, v6, v13, s[28:29]
	v_and_b32_e32 v6, 0x7f800000, v7
	v_cmp_ne_u32_e64 s[40:41], s68, v6
                                        ; implicit-def: $vgpr13
	s_and_saveexec_b64 s[30:31], s[40:41]
	s_xor_b64 s[40:41], exec, s[30:31]
; %bb.1213:                             ;   in Loop: Header=BB10_1196 Depth=3
	v_bfe_u32 v6, v7, 16, 1
	v_add3_u32 v13, v7, v6, s69
                                        ; implicit-def: $vgpr7
; %bb.1214:                             ;   in Loop: Header=BB10_1196 Depth=3
	s_andn2_saveexec_b64 s[30:31], s[40:41]
; %bb.1215:                             ;   in Loop: Header=BB10_1196 Depth=3
	v_or_b32_e32 v6, 0x10000, v7
	v_cmp_eq_u32_sdwa s[40:41], v7, v2 src0_sel:WORD_0 src1_sel:DWORD
	v_cndmask_b32_e64 v13, v6, v7, s[40:41]
; %bb.1216:                             ;   in Loop: Header=BB10_1196 Depth=3
	s_or_b64 exec, exec, s[30:31]
	v_and_b32_e32 v6, 0xffff0000, v14
	v_and_b32_e32 v7, 0xffff0000, v10
	v_max_f32_e32 v7, v7, v7
	v_max_f32_e32 v6, v6, v6
	v_min_f32_e32 v10, v6, v7
	v_max_f32_e32 v6, v6, v7
	v_cndmask_b32_e64 v7, v6, v10, s[28:29]
	v_and_b32_e32 v6, 0x7f800000, v7
	v_cmp_ne_u32_e64 s[40:41], s68, v6
                                        ; implicit-def: $vgpr10
	s_and_saveexec_b64 s[30:31], s[40:41]
	s_xor_b64 s[40:41], exec, s[30:31]
; %bb.1217:                             ;   in Loop: Header=BB10_1196 Depth=3
	v_bfe_u32 v6, v7, 16, 1
	v_add3_u32 v10, v7, v6, s69
                                        ; implicit-def: $vgpr7
; %bb.1218:                             ;   in Loop: Header=BB10_1196 Depth=3
	s_andn2_saveexec_b64 s[30:31], s[40:41]
; %bb.1219:                             ;   in Loop: Header=BB10_1196 Depth=3
	v_or_b32_e32 v6, 0x10000, v7
	v_cmp_eq_u32_sdwa s[40:41], v7, v2 src0_sel:WORD_0 src1_sel:DWORD
	v_cndmask_b32_e64 v10, v6, v7, s[40:41]
; %bb.1220:                             ;   in Loop: Header=BB10_1196 Depth=3
	s_or_b64 exec, exec, s[30:31]
	v_lshlrev_b32_e32 v6, 16, v11
	v_lshlrev_b32_e32 v7, 16, v15
	v_max_f32_e32 v6, v6, v6
	v_max_f32_e32 v7, v7, v7
	v_min_f32_e32 v14, v7, v6
	v_max_f32_e32 v6, v7, v6
	v_cndmask_b32_e64 v7, v6, v14, s[28:29]
	v_and_b32_e32 v6, 0x7f800000, v7
	v_cmp_ne_u32_e64 s[40:41], s68, v6
                                        ; implicit-def: $vgpr14
	s_and_saveexec_b64 s[30:31], s[40:41]
	s_xor_b64 s[40:41], exec, s[30:31]
; %bb.1221:                             ;   in Loop: Header=BB10_1196 Depth=3
	v_bfe_u32 v6, v7, 16, 1
	v_add3_u32 v14, v7, v6, s69
                                        ; implicit-def: $vgpr7
; %bb.1222:                             ;   in Loop: Header=BB10_1196 Depth=3
	s_andn2_saveexec_b64 s[30:31], s[40:41]
; %bb.1223:                             ;   in Loop: Header=BB10_1196 Depth=3
	v_or_b32_e32 v6, 0x10000, v7
	v_cmp_eq_u32_sdwa s[40:41], v7, v2 src0_sel:WORD_0 src1_sel:DWORD
	v_cndmask_b32_e64 v14, v6, v7, s[40:41]
; %bb.1224:                             ;   in Loop: Header=BB10_1196 Depth=3
	s_or_b64 exec, exec, s[30:31]
	v_and_b32_e32 v6, 0xffff0000, v15
	v_and_b32_e32 v7, 0xffff0000, v11
	v_max_f32_e32 v7, v7, v7
	v_max_f32_e32 v6, v6, v6
	v_min_f32_e32 v11, v6, v7
	v_max_f32_e32 v6, v6, v7
	v_cndmask_b32_e64 v11, v6, v11, s[28:29]
	v_and_b32_e32 v6, 0x7f800000, v11
	v_cmp_ne_u32_e64 s[40:41], s68, v6
                                        ; implicit-def: $vgpr7
	s_and_saveexec_b64 s[30:31], s[40:41]
	s_xor_b64 s[40:41], exec, s[30:31]
; %bb.1225:                             ;   in Loop: Header=BB10_1196 Depth=3
	v_bfe_u32 v6, v11, 16, 1
	v_add3_u32 v7, v11, v6, s69
                                        ; implicit-def: $vgpr11
; %bb.1226:                             ;   in Loop: Header=BB10_1196 Depth=3
	s_andn2_saveexec_b64 s[30:31], s[40:41]
	s_cbranch_execz .LBB10_1195
; %bb.1227:                             ;   in Loop: Header=BB10_1196 Depth=3
	v_or_b32_e32 v6, 0x10000, v11
	v_cmp_eq_u32_sdwa s[40:41], v11, v2 src0_sel:WORD_0 src1_sel:DWORD
	v_cndmask_b32_e64 v7, v6, v11, s[40:41]
	s_branch .LBB10_1195
.LBB10_1228:                            ;   in Loop: Header=BB10_720 Depth=2
	s_or_b64 exec, exec, s[94:95]
.LBB10_1229:                            ;   in Loop: Header=BB10_720 Depth=2
	s_or_b64 exec, exec, s[44:45]
	v_and_b32_e32 v0, 14, v61
	v_sub_u32_e32 v1, v21, v0
	v_cndmask_b32_e32 v61, v21, v0, vcc
	buffer_load_dword v0, off, s[0:3], s33 offset:68 ; 4-byte Folded Reload
	v_cndmask_b32_e32 v1, 0, v1, vcc
	v_cmp_lt_i32_e32 vcc, 0, v22
	v_add3_u32 v10, v20, v18, v1
	s_waitcnt vmcnt(0)
	v_cndmask_b32_e32 v0, 0, v0, vcc
	v_sub_u32_e32 v0, v0, v22
	v_cmp_ne_u32_e32 vcc, 0, v61
	v_lshl_add_u32 v11, v0, 6, v19
	s_and_b64 s[28:29], vcc, exec
.LBB10_1230:                            ;   in Loop: Header=BB10_720 Depth=2
	s_or_b64 exec, exec, s[42:43]
	s_and_saveexec_b64 s[40:41], s[28:29]
	s_cbranch_execz .LBB10_1307
.LBB10_1231:                            ;   in Loop: Header=BB10_720 Depth=2
	v_ashrrev_i32_e32 v0, 31, v11
	s_waitcnt vmcnt(0)
	v_ashrrev_i32_e32 v1, 31, v61
	v_lshrrev_b32_e32 v0, 26, v0
	v_lshrrev_b32_e32 v1, 21, v1
	v_add_u32_e32 v0, v11, v0
	v_add_u32_e32 v1, v61, v1
	v_ashrrev_i32_e32 v12, 6, v0
	v_ashrrev_i32_e32 v14, 11, v1
	v_sub_u32_e32 v13, v14, v12
	v_cmp_lt_i32_e32 vcc, 0, v13
	s_and_saveexec_b64 s[42:43], vcc
	s_cbranch_execz .LBB10_1299
; %bb.1232:                             ;   in Loop: Header=BB10_720 Depth=2
	v_and_b32_e32 v0, 0x7fffffc0, v0
	v_sub_u32_e32 v0, v11, v0
	v_lshlrev_b32_e32 v0, 1, v0
	v_lshlrev_b32_e32 v1, 11, v12
	v_add3_u32 v6, v0, v10, v1
	s_trap 2
	ds_read_b64 v[4:5], v0
	buffer_load_dword v0, off, s[0:3], s33 offset:144 ; 4-byte Folded Reload
	buffer_load_dword v1, off, s[0:3], s33 offset:148 ; 4-byte Folded Reload
	;; [unrolled: 1-line block ×4, first 2 shown]
	v_ashrrev_i32_e32 v7, 31, v6
	s_and_b32 s58, s48, 1
	s_cmp_eq_u64 s[58:59], 0
	s_mov_b64 s[44:45], 0
	s_cselect_b64 s[28:29], -1, 0
	s_waitcnt vmcnt(0)
	v_add_co_u32_e32 v0, vcc, v6, v0
	v_addc_co_u32_e32 v1, vcc, v7, v1, vcc
	s_waitcnt lgkmcnt(0)
	v_add_co_u32_e32 v4, vcc, v4, v6
	v_addc_co_u32_e32 v5, vcc, v5, v7, vcc
	v_add_co_u32_e32 v8, vcc, 0x780, v8
	v_addc_co_u32_e32 v9, vcc, 0, v9, vcc
	;; [unrolled: 2-line block ×3, first 2 shown]
	s_branch .LBB10_1234
.LBB10_1233:                            ;   in Loop: Header=BB10_1234 Depth=3
	s_or_b64 exec, exec, s[94:95]
	v_add_co_u32_e32 v37, vcc, 0xfffff880, v8
	v_addc_co_u32_e32 v38, vcc, -1, v9, vcc
	flat_store_short_d16_hi v[37:38], v16 glc slc
	v_add_co_u32_e32 v37, vcc, 0xfffff900, v8
	v_addc_co_u32_e32 v38, vcc, -1, v9, vcc
	v_add_co_u32_e32 v18, vcc, 0xfffff980, v8
	flat_store_short_d16_hi v[37:38], v19 glc slc
	v_addc_co_u32_e32 v19, vcc, -1, v9, vcc
	flat_store_short_d16_hi v[18:19], v20 glc slc
	v_add_co_u32_e32 v18, vcc, 0xfffffa00, v8
	v_addc_co_u32_e32 v19, vcc, -1, v9, vcc
	flat_store_short_d16_hi v[18:19], v23 glc slc
	v_add_co_u32_e32 v18, vcc, 0xfffffa80, v8
	;; [unrolled: 3-line block ×12, first 2 shown]
	v_addc_co_u32_e32 v19, vcc, -1, v9, vcc
	flat_store_short_d16_hi v[18:19], v17 glc slc
	flat_store_short_d16_hi v[8:9], v15 glc slc
	buffer_load_dword v7, off, s[0:3], s33 offset:76 ; 4-byte Folded Reload
	buffer_load_dword v6, off, s[0:3], s33 offset:68 ; 4-byte Folded Reload
	s_waitcnt vmcnt(0)
	v_add_co_u32_e32 v0, vcc, v0, v7
	v_addc_co_u32_e32 v1, vcc, 0, v1, vcc
	v_add_co_u32_e32 v4, vcc, v4, v7
	v_addc_co_u32_e32 v5, vcc, 0, v5, vcc
	v_sub_u32_e32 v13, v13, v6
	v_cmp_gt_i32_e32 vcc, 1, v13
	s_or_b64 s[44:45], vcc, s[44:45]
	v_add_co_u32_e32 v8, vcc, v8, v7
	v_addc_co_u32_e32 v9, vcc, 0, v9, vcc
	s_andn2_b64 exec, exec, s[44:45]
	s_cbranch_execz .LBB10_1298
.LBB10_1234:                            ;   Parent Loop BB10_47 Depth=1
                                        ;     Parent Loop BB10_720 Depth=2
                                        ; =>    This Inner Loop Header: Depth=3
	flat_load_ushort v36, v[0:1] offset:1024 glc slc
	flat_load_ushort v34, v[0:1] offset:1152 glc slc
	;; [unrolled: 1-line block ×15, first 2 shown]
	flat_load_ushort v6, v[0:1] glc slc
	flat_load_ushort v53, v[4:5] offset:128 glc slc
	flat_load_ushort v52, v[4:5] offset:256 glc slc
	;; [unrolled: 1-line block ×7, first 2 shown]
	flat_load_ushort v7, v[4:5] glc slc
	flat_load_ushort v38, v[4:5] offset:1024 glc slc
	flat_load_ushort v37, v[4:5] offset:1152 glc slc
	flat_load_ushort v35, v[4:5] offset:1280 glc slc
	flat_load_ushort v31, v[4:5] offset:1408 glc slc
	flat_load_ushort v28, v[4:5] offset:1536 glc slc
	flat_load_ushort v25, v[4:5] offset:1664 glc slc
	flat_load_ushort v22, v[4:5] offset:1792 glc slc
	flat_load_ushort v18, v[4:5] offset:1920 glc slc
	s_waitcnt vmcnt(0) lgkmcnt(0)
	v_lshlrev_b32_e32 v6, 16, v6
	v_max_f32_e32 v6, v6, v6
	v_lshlrev_b32_e32 v7, 16, v7
	v_max_f32_e32 v7, v7, v7
	v_min_f32_e32 v16, v6, v7
	v_max_f32_e32 v6, v6, v7
	v_cndmask_b32_e64 v7, v6, v16, s[28:29]
	v_and_b32_e32 v6, 0x7f800000, v7
	v_cmp_ne_u32_e32 vcc, s68, v6
                                        ; implicit-def: $vgpr16
	s_and_saveexec_b64 s[94:95], vcc
	s_xor_b64 s[94:95], exec, s[94:95]
; %bb.1235:                             ;   in Loop: Header=BB10_1234 Depth=3
	v_bfe_u32 v6, v7, 16, 1
	v_add3_u32 v16, v7, v6, s69
                                        ; implicit-def: $vgpr7
; %bb.1236:                             ;   in Loop: Header=BB10_1234 Depth=3
	s_andn2_saveexec_b64 s[94:95], s[94:95]
; %bb.1237:                             ;   in Loop: Header=BB10_1234 Depth=3
	v_or_b32_e32 v6, 0x10000, v7
	v_cmp_eq_u32_sdwa vcc, v7, v2 src0_sel:WORD_0 src1_sel:DWORD
	v_cndmask_b32_e32 v16, v6, v7, vcc
; %bb.1238:                             ;   in Loop: Header=BB10_1234 Depth=3
	s_or_b64 exec, exec, s[94:95]
	v_lshlrev_b32_e32 v6, 16, v19
	v_lshlrev_b32_e32 v7, 16, v53
	v_max_f32_e32 v7, v7, v7
	v_max_f32_e32 v6, v6, v6
	v_min_f32_e32 v19, v6, v7
	v_max_f32_e32 v6, v6, v7
	v_cndmask_b32_e64 v7, v6, v19, s[28:29]
	v_and_b32_e32 v6, 0x7f800000, v7
	v_cmp_ne_u32_e32 vcc, s68, v6
                                        ; implicit-def: $vgpr19
	s_and_saveexec_b64 s[94:95], vcc
	s_xor_b64 s[94:95], exec, s[94:95]
; %bb.1239:                             ;   in Loop: Header=BB10_1234 Depth=3
	v_bfe_u32 v6, v7, 16, 1
	v_add3_u32 v19, v7, v6, s69
                                        ; implicit-def: $vgpr7
; %bb.1240:                             ;   in Loop: Header=BB10_1234 Depth=3
	s_andn2_saveexec_b64 s[94:95], s[94:95]
; %bb.1241:                             ;   in Loop: Header=BB10_1234 Depth=3
	v_or_b32_e32 v6, 0x10000, v7
	v_cmp_eq_u32_sdwa vcc, v7, v2 src0_sel:WORD_0 src1_sel:DWORD
	v_cndmask_b32_e32 v19, v6, v7, vcc
; %bb.1242:                             ;   in Loop: Header=BB10_1234 Depth=3
	s_or_b64 exec, exec, s[94:95]
	v_lshlrev_b32_e32 v6, 16, v20
	v_lshlrev_b32_e32 v7, 16, v52
	v_max_f32_e32 v7, v7, v7
	v_max_f32_e32 v6, v6, v6
	v_min_f32_e32 v20, v6, v7
	v_max_f32_e32 v6, v6, v7
	v_cndmask_b32_e64 v7, v6, v20, s[28:29]
	v_and_b32_e32 v6, 0x7f800000, v7
	v_cmp_ne_u32_e32 vcc, s68, v6
                                        ; implicit-def: $vgpr20
	s_and_saveexec_b64 s[94:95], vcc
	s_xor_b64 s[94:95], exec, s[94:95]
; %bb.1243:                             ;   in Loop: Header=BB10_1234 Depth=3
	v_bfe_u32 v6, v7, 16, 1
	v_add3_u32 v20, v7, v6, s69
                                        ; implicit-def: $vgpr7
; %bb.1244:                             ;   in Loop: Header=BB10_1234 Depth=3
	s_andn2_saveexec_b64 s[94:95], s[94:95]
; %bb.1245:                             ;   in Loop: Header=BB10_1234 Depth=3
	v_or_b32_e32 v6, 0x10000, v7
	v_cmp_eq_u32_sdwa vcc, v7, v2 src0_sel:WORD_0 src1_sel:DWORD
	v_cndmask_b32_e32 v20, v6, v7, vcc
; %bb.1246:                             ;   in Loop: Header=BB10_1234 Depth=3
	s_or_b64 exec, exec, s[94:95]
	v_lshlrev_b32_e32 v6, 16, v23
	v_lshlrev_b32_e32 v7, 16, v51
	v_max_f32_e32 v7, v7, v7
	v_max_f32_e32 v6, v6, v6
	v_min_f32_e32 v23, v6, v7
	v_max_f32_e32 v6, v6, v7
	v_cndmask_b32_e64 v7, v6, v23, s[28:29]
	v_and_b32_e32 v6, 0x7f800000, v7
	v_cmp_ne_u32_e32 vcc, s68, v6
                                        ; implicit-def: $vgpr23
	s_and_saveexec_b64 s[94:95], vcc
	s_xor_b64 s[94:95], exec, s[94:95]
; %bb.1247:                             ;   in Loop: Header=BB10_1234 Depth=3
	v_bfe_u32 v6, v7, 16, 1
	v_add3_u32 v23, v7, v6, s69
                                        ; implicit-def: $vgpr7
; %bb.1248:                             ;   in Loop: Header=BB10_1234 Depth=3
	s_andn2_saveexec_b64 s[94:95], s[94:95]
; %bb.1249:                             ;   in Loop: Header=BB10_1234 Depth=3
	v_or_b32_e32 v6, 0x10000, v7
	v_cmp_eq_u32_sdwa vcc, v7, v2 src0_sel:WORD_0 src1_sel:DWORD
	v_cndmask_b32_e32 v23, v6, v7, vcc
; %bb.1250:                             ;   in Loop: Header=BB10_1234 Depth=3
	s_or_b64 exec, exec, s[94:95]
	v_lshlrev_b32_e32 v6, 16, v26
	v_lshlrev_b32_e32 v7, 16, v50
	v_max_f32_e32 v7, v7, v7
	v_max_f32_e32 v6, v6, v6
	v_min_f32_e32 v26, v6, v7
	v_max_f32_e32 v6, v6, v7
	v_cndmask_b32_e64 v7, v6, v26, s[28:29]
	v_and_b32_e32 v6, 0x7f800000, v7
	v_cmp_ne_u32_e32 vcc, s68, v6
                                        ; implicit-def: $vgpr26
	s_and_saveexec_b64 s[94:95], vcc
	s_xor_b64 s[94:95], exec, s[94:95]
; %bb.1251:                             ;   in Loop: Header=BB10_1234 Depth=3
	v_bfe_u32 v6, v7, 16, 1
	v_add3_u32 v26, v7, v6, s69
                                        ; implicit-def: $vgpr7
; %bb.1252:                             ;   in Loop: Header=BB10_1234 Depth=3
	s_andn2_saveexec_b64 s[94:95], s[94:95]
; %bb.1253:                             ;   in Loop: Header=BB10_1234 Depth=3
	v_or_b32_e32 v6, 0x10000, v7
	v_cmp_eq_u32_sdwa vcc, v7, v2 src0_sel:WORD_0 src1_sel:DWORD
	v_cndmask_b32_e32 v26, v6, v7, vcc
; %bb.1254:                             ;   in Loop: Header=BB10_1234 Depth=3
	s_or_b64 exec, exec, s[94:95]
	v_lshlrev_b32_e32 v6, 16, v29
	v_lshlrev_b32_e32 v7, 16, v49
	v_max_f32_e32 v7, v7, v7
	v_max_f32_e32 v6, v6, v6
	v_min_f32_e32 v29, v6, v7
	v_max_f32_e32 v6, v6, v7
	v_cndmask_b32_e64 v7, v6, v29, s[28:29]
	v_and_b32_e32 v6, 0x7f800000, v7
	v_cmp_ne_u32_e32 vcc, s68, v6
                                        ; implicit-def: $vgpr29
	s_and_saveexec_b64 s[94:95], vcc
	s_xor_b64 s[94:95], exec, s[94:95]
; %bb.1255:                             ;   in Loop: Header=BB10_1234 Depth=3
	v_bfe_u32 v6, v7, 16, 1
	v_add3_u32 v29, v7, v6, s69
                                        ; implicit-def: $vgpr7
; %bb.1256:                             ;   in Loop: Header=BB10_1234 Depth=3
	s_andn2_saveexec_b64 s[94:95], s[94:95]
; %bb.1257:                             ;   in Loop: Header=BB10_1234 Depth=3
	v_or_b32_e32 v6, 0x10000, v7
	v_cmp_eq_u32_sdwa vcc, v7, v2 src0_sel:WORD_0 src1_sel:DWORD
	v_cndmask_b32_e32 v29, v6, v7, vcc
; %bb.1258:                             ;   in Loop: Header=BB10_1234 Depth=3
	s_or_b64 exec, exec, s[94:95]
	v_lshlrev_b32_e32 v6, 16, v32
	v_lshlrev_b32_e32 v7, 16, v48
	v_max_f32_e32 v7, v7, v7
	v_max_f32_e32 v6, v6, v6
	v_min_f32_e32 v32, v6, v7
	v_max_f32_e32 v6, v6, v7
	v_cndmask_b32_e64 v7, v6, v32, s[28:29]
	v_and_b32_e32 v6, 0x7f800000, v7
	v_cmp_ne_u32_e32 vcc, s68, v6
                                        ; implicit-def: $vgpr32
	s_and_saveexec_b64 s[94:95], vcc
	s_xor_b64 s[94:95], exec, s[94:95]
; %bb.1259:                             ;   in Loop: Header=BB10_1234 Depth=3
	v_bfe_u32 v6, v7, 16, 1
	v_add3_u32 v32, v7, v6, s69
                                        ; implicit-def: $vgpr7
; %bb.1260:                             ;   in Loop: Header=BB10_1234 Depth=3
	s_andn2_saveexec_b64 s[94:95], s[94:95]
; %bb.1261:                             ;   in Loop: Header=BB10_1234 Depth=3
	v_or_b32_e32 v6, 0x10000, v7
	v_cmp_eq_u32_sdwa vcc, v7, v2 src0_sel:WORD_0 src1_sel:DWORD
	v_cndmask_b32_e32 v32, v6, v7, vcc
; %bb.1262:                             ;   in Loop: Header=BB10_1234 Depth=3
	s_or_b64 exec, exec, s[94:95]
	v_lshlrev_b32_e32 v6, 16, v33
	v_lshlrev_b32_e32 v7, 16, v39
	v_max_f32_e32 v7, v7, v7
	v_max_f32_e32 v6, v6, v6
	v_min_f32_e32 v33, v6, v7
	v_max_f32_e32 v6, v6, v7
	v_cndmask_b32_e64 v7, v6, v33, s[28:29]
	v_and_b32_e32 v6, 0x7f800000, v7
	v_cmp_ne_u32_e32 vcc, s68, v6
                                        ; implicit-def: $vgpr33
	s_and_saveexec_b64 s[94:95], vcc
	s_xor_b64 s[94:95], exec, s[94:95]
; %bb.1263:                             ;   in Loop: Header=BB10_1234 Depth=3
	v_bfe_u32 v6, v7, 16, 1
	v_add3_u32 v33, v7, v6, s69
                                        ; implicit-def: $vgpr7
; %bb.1264:                             ;   in Loop: Header=BB10_1234 Depth=3
	s_andn2_saveexec_b64 s[94:95], s[94:95]
; %bb.1265:                             ;   in Loop: Header=BB10_1234 Depth=3
	v_or_b32_e32 v6, 0x10000, v7
	v_cmp_eq_u32_sdwa vcc, v7, v2 src0_sel:WORD_0 src1_sel:DWORD
	v_cndmask_b32_e32 v33, v6, v7, vcc
; %bb.1266:                             ;   in Loop: Header=BB10_1234 Depth=3
	s_or_b64 exec, exec, s[94:95]
	v_lshlrev_b32_e32 v6, 16, v36
	v_lshlrev_b32_e32 v7, 16, v38
	v_max_f32_e32 v7, v7, v7
	v_max_f32_e32 v6, v6, v6
	v_min_f32_e32 v36, v6, v7
	v_max_f32_e32 v6, v6, v7
	v_cndmask_b32_e64 v7, v6, v36, s[28:29]
	v_and_b32_e32 v6, 0x7f800000, v7
	v_cmp_ne_u32_e32 vcc, s68, v6
                                        ; implicit-def: $vgpr36
	s_and_saveexec_b64 s[94:95], vcc
	s_xor_b64 s[94:95], exec, s[94:95]
; %bb.1267:                             ;   in Loop: Header=BB10_1234 Depth=3
	v_bfe_u32 v6, v7, 16, 1
	v_add3_u32 v36, v7, v6, s69
                                        ; implicit-def: $vgpr7
; %bb.1268:                             ;   in Loop: Header=BB10_1234 Depth=3
	s_andn2_saveexec_b64 s[94:95], s[94:95]
; %bb.1269:                             ;   in Loop: Header=BB10_1234 Depth=3
	v_or_b32_e32 v6, 0x10000, v7
	v_cmp_eq_u32_sdwa vcc, v7, v2 src0_sel:WORD_0 src1_sel:DWORD
	v_cndmask_b32_e32 v36, v6, v7, vcc
; %bb.1270:                             ;   in Loop: Header=BB10_1234 Depth=3
	s_or_b64 exec, exec, s[94:95]
	v_lshlrev_b32_e32 v6, 16, v34
	v_lshlrev_b32_e32 v7, 16, v37
	v_max_f32_e32 v7, v7, v7
	v_max_f32_e32 v6, v6, v6
	v_min_f32_e32 v34, v6, v7
	v_max_f32_e32 v6, v6, v7
	v_cndmask_b32_e64 v7, v6, v34, s[28:29]
	v_and_b32_e32 v6, 0x7f800000, v7
	v_cmp_ne_u32_e32 vcc, s68, v6
                                        ; implicit-def: $vgpr34
	s_and_saveexec_b64 s[94:95], vcc
	s_xor_b64 s[94:95], exec, s[94:95]
; %bb.1271:                             ;   in Loop: Header=BB10_1234 Depth=3
	v_bfe_u32 v6, v7, 16, 1
	v_add3_u32 v34, v7, v6, s69
                                        ; implicit-def: $vgpr7
; %bb.1272:                             ;   in Loop: Header=BB10_1234 Depth=3
	s_andn2_saveexec_b64 s[94:95], s[94:95]
; %bb.1273:                             ;   in Loop: Header=BB10_1234 Depth=3
	v_or_b32_e32 v6, 0x10000, v7
	v_cmp_eq_u32_sdwa vcc, v7, v2 src0_sel:WORD_0 src1_sel:DWORD
	v_cndmask_b32_e32 v34, v6, v7, vcc
; %bb.1274:                             ;   in Loop: Header=BB10_1234 Depth=3
	s_or_b64 exec, exec, s[94:95]
	v_lshlrev_b32_e32 v6, 16, v30
	v_lshlrev_b32_e32 v7, 16, v35
	v_max_f32_e32 v7, v7, v7
	v_max_f32_e32 v6, v6, v6
	v_min_f32_e32 v30, v6, v7
	v_max_f32_e32 v6, v6, v7
	v_cndmask_b32_e64 v7, v6, v30, s[28:29]
	v_and_b32_e32 v6, 0x7f800000, v7
	v_cmp_ne_u32_e32 vcc, s68, v6
                                        ; implicit-def: $vgpr30
	s_and_saveexec_b64 s[94:95], vcc
	s_xor_b64 s[94:95], exec, s[94:95]
; %bb.1275:                             ;   in Loop: Header=BB10_1234 Depth=3
	v_bfe_u32 v6, v7, 16, 1
	v_add3_u32 v30, v7, v6, s69
                                        ; implicit-def: $vgpr7
; %bb.1276:                             ;   in Loop: Header=BB10_1234 Depth=3
	s_andn2_saveexec_b64 s[94:95], s[94:95]
; %bb.1277:                             ;   in Loop: Header=BB10_1234 Depth=3
	v_or_b32_e32 v6, 0x10000, v7
	v_cmp_eq_u32_sdwa vcc, v7, v2 src0_sel:WORD_0 src1_sel:DWORD
	v_cndmask_b32_e32 v30, v6, v7, vcc
; %bb.1278:                             ;   in Loop: Header=BB10_1234 Depth=3
	s_or_b64 exec, exec, s[94:95]
	v_lshlrev_b32_e32 v6, 16, v27
	v_lshlrev_b32_e32 v7, 16, v31
	v_max_f32_e32 v7, v7, v7
	v_max_f32_e32 v6, v6, v6
	v_min_f32_e32 v27, v6, v7
	v_max_f32_e32 v6, v6, v7
	v_cndmask_b32_e64 v7, v6, v27, s[28:29]
	v_and_b32_e32 v6, 0x7f800000, v7
	v_cmp_ne_u32_e32 vcc, s68, v6
                                        ; implicit-def: $vgpr27
	s_and_saveexec_b64 s[94:95], vcc
	s_xor_b64 s[94:95], exec, s[94:95]
; %bb.1279:                             ;   in Loop: Header=BB10_1234 Depth=3
	v_bfe_u32 v6, v7, 16, 1
	v_add3_u32 v27, v7, v6, s69
                                        ; implicit-def: $vgpr7
; %bb.1280:                             ;   in Loop: Header=BB10_1234 Depth=3
	s_andn2_saveexec_b64 s[94:95], s[94:95]
; %bb.1281:                             ;   in Loop: Header=BB10_1234 Depth=3
	v_or_b32_e32 v6, 0x10000, v7
	v_cmp_eq_u32_sdwa vcc, v7, v2 src0_sel:WORD_0 src1_sel:DWORD
	v_cndmask_b32_e32 v27, v6, v7, vcc
; %bb.1282:                             ;   in Loop: Header=BB10_1234 Depth=3
	s_or_b64 exec, exec, s[94:95]
	v_lshlrev_b32_e32 v6, 16, v24
	v_lshlrev_b32_e32 v7, 16, v28
	v_max_f32_e32 v7, v7, v7
	v_max_f32_e32 v6, v6, v6
	v_min_f32_e32 v24, v6, v7
	v_max_f32_e32 v6, v6, v7
	v_cndmask_b32_e64 v7, v6, v24, s[28:29]
	v_and_b32_e32 v6, 0x7f800000, v7
	v_cmp_ne_u32_e32 vcc, s68, v6
                                        ; implicit-def: $vgpr24
	s_and_saveexec_b64 s[94:95], vcc
	s_xor_b64 s[94:95], exec, s[94:95]
; %bb.1283:                             ;   in Loop: Header=BB10_1234 Depth=3
	v_bfe_u32 v6, v7, 16, 1
	v_add3_u32 v24, v7, v6, s69
                                        ; implicit-def: $vgpr7
; %bb.1284:                             ;   in Loop: Header=BB10_1234 Depth=3
	s_andn2_saveexec_b64 s[94:95], s[94:95]
; %bb.1285:                             ;   in Loop: Header=BB10_1234 Depth=3
	v_or_b32_e32 v6, 0x10000, v7
	v_cmp_eq_u32_sdwa vcc, v7, v2 src0_sel:WORD_0 src1_sel:DWORD
	v_cndmask_b32_e32 v24, v6, v7, vcc
; %bb.1286:                             ;   in Loop: Header=BB10_1234 Depth=3
	s_or_b64 exec, exec, s[94:95]
	v_lshlrev_b32_e32 v6, 16, v21
	v_lshlrev_b32_e32 v7, 16, v25
	v_max_f32_e32 v7, v7, v7
	v_max_f32_e32 v6, v6, v6
	v_min_f32_e32 v21, v6, v7
	v_max_f32_e32 v6, v6, v7
	v_cndmask_b32_e64 v7, v6, v21, s[28:29]
	v_and_b32_e32 v6, 0x7f800000, v7
	v_cmp_ne_u32_e32 vcc, s68, v6
                                        ; implicit-def: $vgpr21
	s_and_saveexec_b64 s[94:95], vcc
	s_xor_b64 s[94:95], exec, s[94:95]
; %bb.1287:                             ;   in Loop: Header=BB10_1234 Depth=3
	v_bfe_u32 v6, v7, 16, 1
	v_add3_u32 v21, v7, v6, s69
                                        ; implicit-def: $vgpr7
; %bb.1288:                             ;   in Loop: Header=BB10_1234 Depth=3
	s_andn2_saveexec_b64 s[94:95], s[94:95]
; %bb.1289:                             ;   in Loop: Header=BB10_1234 Depth=3
	v_or_b32_e32 v6, 0x10000, v7
	v_cmp_eq_u32_sdwa vcc, v7, v2 src0_sel:WORD_0 src1_sel:DWORD
	v_cndmask_b32_e32 v21, v6, v7, vcc
; %bb.1290:                             ;   in Loop: Header=BB10_1234 Depth=3
	s_or_b64 exec, exec, s[94:95]
	v_lshlrev_b32_e32 v6, 16, v17
	v_lshlrev_b32_e32 v7, 16, v22
	v_max_f32_e32 v7, v7, v7
	v_max_f32_e32 v6, v6, v6
	v_min_f32_e32 v17, v6, v7
	v_max_f32_e32 v6, v6, v7
	v_cndmask_b32_e64 v7, v6, v17, s[28:29]
	v_and_b32_e32 v6, 0x7f800000, v7
	v_cmp_ne_u32_e32 vcc, s68, v6
                                        ; implicit-def: $vgpr17
	s_and_saveexec_b64 s[94:95], vcc
	s_xor_b64 s[94:95], exec, s[94:95]
; %bb.1291:                             ;   in Loop: Header=BB10_1234 Depth=3
	v_bfe_u32 v6, v7, 16, 1
	v_add3_u32 v17, v7, v6, s69
                                        ; implicit-def: $vgpr7
; %bb.1292:                             ;   in Loop: Header=BB10_1234 Depth=3
	s_andn2_saveexec_b64 s[94:95], s[94:95]
; %bb.1293:                             ;   in Loop: Header=BB10_1234 Depth=3
	v_or_b32_e32 v6, 0x10000, v7
	v_cmp_eq_u32_sdwa vcc, v7, v2 src0_sel:WORD_0 src1_sel:DWORD
	v_cndmask_b32_e32 v17, v6, v7, vcc
; %bb.1294:                             ;   in Loop: Header=BB10_1234 Depth=3
	s_or_b64 exec, exec, s[94:95]
	v_lshlrev_b32_e32 v6, 16, v15
	v_lshlrev_b32_e32 v7, 16, v18
	v_max_f32_e32 v7, v7, v7
	v_max_f32_e32 v6, v6, v6
	v_min_f32_e32 v15, v6, v7
	v_max_f32_e32 v6, v6, v7
	v_cndmask_b32_e64 v7, v6, v15, s[28:29]
	v_and_b32_e32 v6, 0x7f800000, v7
	v_cmp_ne_u32_e32 vcc, s68, v6
                                        ; implicit-def: $vgpr15
	s_and_saveexec_b64 s[94:95], vcc
	s_xor_b64 s[94:95], exec, s[94:95]
; %bb.1295:                             ;   in Loop: Header=BB10_1234 Depth=3
	v_bfe_u32 v6, v7, 16, 1
	v_add3_u32 v15, v7, v6, s69
                                        ; implicit-def: $vgpr7
; %bb.1296:                             ;   in Loop: Header=BB10_1234 Depth=3
	s_andn2_saveexec_b64 s[94:95], s[94:95]
	s_cbranch_execz .LBB10_1233
; %bb.1297:                             ;   in Loop: Header=BB10_1234 Depth=3
	v_or_b32_e32 v6, 0x10000, v7
	v_cmp_eq_u32_sdwa vcc, v7, v2 src0_sel:WORD_0 src1_sel:DWORD
	v_cndmask_b32_e32 v15, v6, v7, vcc
	s_branch .LBB10_1233
.LBB10_1298:                            ;   in Loop: Header=BB10_720 Depth=2
	s_or_b64 exec, exec, s[44:45]
	buffer_load_dword v53, off, s[0:3], s33 offset:80 ; 4-byte Folded Reload
.LBB10_1299:                            ;   in Loop: Header=BB10_720 Depth=2
	s_or_b64 exec, exec, s[42:43]
	v_lshlrev_b32_e32 v0, 11, v14
	v_cmp_ne_u32_e32 vcc, v61, v0
	s_and_b64 exec, exec, vcc
	s_cbranch_execz .LBB10_1307
; %bb.1300:                             ;   in Loop: Header=BB10_720 Depth=2
	v_lshlrev_b32_e32 v1, 6, v12
	v_sub_u32_e32 v1, v11, v1
	v_lshlrev_b32_e32 v4, 6, v13
	v_sub_u32_e32 v1, v1, v4
	v_ashrrev_i32_e32 v4, 31, v1
	v_lshrrev_b32_e32 v4, 26, v4
	v_add_u32_e32 v4, v1, v4
	v_and_b32_e32 v5, 0x7fffffc0, v4
	v_sub_u32_e32 v1, v1, v5
	v_lshlrev_b32_e32 v4, 1, v4
	v_and_b32_e32 v4, 0xffffff80, v4
	v_lshlrev_b32_e32 v1, 1, v1
	v_add3_u32 v0, v4, v1, v0
	v_sub_u32_e32 v11, v61, v0
	v_cmp_lt_i32_e32 vcc, 1, v11
	s_and_b64 exec, exec, vcc
	s_cbranch_execz .LBB10_1307
; %bb.1301:                             ;   in Loop: Header=BB10_720 Depth=2
	v_add_u32_e32 v6, v0, v10
	s_trap 2
	ds_read_b64 v[4:5], v0
	buffer_load_dword v0, off, s[0:3], s33 offset:144 ; 4-byte Folded Reload
	buffer_load_dword v1, off, s[0:3], s33 offset:148 ; 4-byte Folded Reload
	;; [unrolled: 1-line block ×4, first 2 shown]
	v_ashrrev_i32_e32 v7, 31, v6
	s_and_b32 s58, s48, 1
	s_cmp_eq_u64 s[58:59], 0
	s_mov_b64 s[42:43], 0
	s_waitcnt vmcnt(0)
	v_add_co_u32_e32 v0, vcc, v6, v0
	v_addc_co_u32_e32 v1, vcc, v7, v1, vcc
	s_waitcnt lgkmcnt(0)
	v_add_co_u32_e32 v4, vcc, v4, v6
	v_addc_co_u32_e32 v5, vcc, v5, v7, vcc
	v_add_co_u32_e32 v8, vcc, v6, v8
	v_addc_co_u32_e32 v9, vcc, v7, v9, vcc
	s_cselect_b64 vcc, -1, 0
	s_branch .LBB10_1303
.LBB10_1302:                            ;   in Loop: Header=BB10_1303 Depth=3
	s_or_b64 exec, exec, s[44:45]
	v_add_co_u32_e64 v0, s[28:29], v0, v53
	v_addc_co_u32_e64 v1, s[28:29], 0, v1, s[28:29]
	v_add_co_u32_e64 v4, s[28:29], v4, v53
	v_addc_co_u32_e64 v5, s[28:29], 0, v5, s[28:29]
	v_sub_u32_e32 v11, v11, v53
	v_cmp_gt_i32_e64 s[28:29], 2, v11
	flat_store_short_d16_hi v[8:9], v10 glc slc
	s_or_b64 s[42:43], s[28:29], s[42:43]
	v_add_co_u32_e64 v8, s[28:29], v8, v53
	v_addc_co_u32_e64 v9, s[28:29], 0, v9, s[28:29]
	s_andn2_b64 exec, exec, s[42:43]
	s_cbranch_execz .LBB10_1307
.LBB10_1303:                            ;   Parent Loop BB10_47 Depth=1
                                        ;     Parent Loop BB10_720 Depth=2
                                        ; =>    This Inner Loop Header: Depth=3
	flat_load_ushort v6, v[4:5] glc slc
	flat_load_ushort v7, v[0:1] glc slc
	s_waitcnt vmcnt(0) lgkmcnt(0)
	v_lshlrev_b32_e32 v6, 16, v6
	v_lshlrev_b32_e32 v7, 16, v7
	v_max_f32_e32 v6, v6, v6
	v_max_f32_e32 v7, v7, v7
	v_min_f32_e32 v10, v7, v6
	v_max_f32_e32 v6, v7, v6
	v_cndmask_b32_e32 v7, v6, v10, vcc
	v_and_b32_e32 v6, 0x7f800000, v7
	v_cmp_ne_u32_e64 s[28:29], s68, v6
                                        ; implicit-def: $vgpr10
	s_and_saveexec_b64 s[44:45], s[28:29]
	s_xor_b64 s[28:29], exec, s[44:45]
; %bb.1304:                             ;   in Loop: Header=BB10_1303 Depth=3
	v_bfe_u32 v6, v7, 16, 1
	v_add3_u32 v10, v7, v6, s69
                                        ; implicit-def: $vgpr7
; %bb.1305:                             ;   in Loop: Header=BB10_1303 Depth=3
	s_andn2_saveexec_b64 s[44:45], s[28:29]
	s_cbranch_execz .LBB10_1302
; %bb.1306:                             ;   in Loop: Header=BB10_1303 Depth=3
	v_or_b32_e32 v6, 0x10000, v7
	v_cmp_eq_u32_sdwa s[28:29], v7, v2 src0_sel:WORD_0 src1_sel:DWORD
	v_cndmask_b32_e64 v10, v6, v7, s[28:29]
	s_branch .LBB10_1302
.LBB10_1307:                            ;   in Loop: Header=BB10_720 Depth=2
	s_or_b64 exec, exec, s[40:41]
	s_waitcnt vmcnt(0)
	v_cmp_lt_i32_e64 s[28:29], 0, v45
	s_and_saveexec_b64 s[40:41], s[10:11]
	s_cbranch_execz .LBB10_796
.LBB10_1308:                            ;   in Loop: Header=BB10_720 Depth=2
	s_and_saveexec_b64 s[42:43], s[60:61]
	s_xor_b64 s[42:43], exec, s[42:43]
	s_cbranch_execz .LBB10_1323
; %bb.1309:                             ;   in Loop: Header=BB10_720 Depth=2
	s_and_saveexec_b64 s[44:45], s[16:17]
	s_cbranch_execz .LBB10_1322
; %bb.1310:                             ;   in Loop: Header=BB10_720 Depth=2
	s_mov_b64 s[30:31], exec
	v_mbcnt_lo_u32_b32 v0, s30, 0
	v_mbcnt_hi_u32_b32 v0, s31, v0
	v_cmp_eq_u32_e32 vcc, 0, v0
	s_waitcnt vmcnt(0) lgkmcnt(0)
	buffer_wbinvl1_vol
	s_and_saveexec_b64 s[94:95], vcc
	s_cbranch_execz .LBB10_1312
; %bb.1311:                             ;   in Loop: Header=BB10_720 Depth=2
	s_bcnt1_i32_b64 s58, s[30:31]
	v_mov_b32_e32 v0, s58
	v_mov_b32_e32 v1, v2
	ds_add_u64 v0, v[0:1]
	s_trap 2
.LBB10_1312:                            ;   in Loop: Header=BB10_720 Depth=2
	s_or_b64 exec, exec, s[94:95]
	s_trap 2
	ds_read_b64 v[0:1], v0
	s_waitcnt lgkmcnt(0)
	buffer_load_dword v4, off, s[0:3], s33 offset:68 ; 4-byte Folded Reload
	s_waitcnt vmcnt(0)
	v_add_co_u32_e32 v46, vcc, v46, v4
	v_addc_co_u32_e32 v47, vcc, 0, v47, vcc
	v_cmp_lt_u64_e32 vcc, v[0:1], v[46:47]
	s_and_saveexec_b64 s[94:95], vcc
	s_cbranch_execz .LBB10_1321
; %bb.1313:                             ;   in Loop: Header=BB10_720 Depth=2
	s_mov_b32 s58, 0
	s_mov_b64 s[30:31], 0
                                        ; implicit-def: $sgpr34_sgpr35
                                        ; implicit-def: $sgpr36_sgpr37
	s_branch .LBB10_1315
.LBB10_1314:                            ;   in Loop: Header=BB10_1315 Depth=3
	s_or_b64 exec, exec, s[48:49]
	s_and_b64 vcc, exec, vcc
	s_or_b64 s[30:31], vcc, s[30:31]
	s_andn2_b64 vcc, s[34:35], exec
	s_and_b64 s[34:35], s[36:37], exec
	s_or_b64 s[34:35], vcc, s[34:35]
	s_andn2_b64 exec, exec, s[30:31]
	s_cbranch_execz .LBB10_1319
.LBB10_1315:                            ;   Parent Loop BB10_47 Depth=1
                                        ;     Parent Loop BB10_720 Depth=2
                                        ; =>    This Inner Loop Header: Depth=3
	s_add_i32 s58, s58, 1
	s_cmpk_lg_i32 s58, 0x2710
	s_cselect_b64 s[38:39], -1, 0
	s_and_b64 vcc, exec, s[38:39]
	s_cbranch_vccz .LBB10_1317
; %bb.1316:                             ;   in Loop: Header=BB10_1315 Depth=3
	s_mov_b64 vcc, -1
	s_or_b64 s[36:37], s[36:37], exec
	s_and_saveexec_b64 s[48:49], s[38:39]
	s_cbranch_execz .LBB10_1314
	s_branch .LBB10_1318
.LBB10_1317:                            ;   in Loop: Header=BB10_1315 Depth=3
	s_trap 2
	ds_read_b64 v[0:1], v0
	s_andn2_b64 s[38:39], s[38:39], exec
	s_mov_b32 s58, 0
	s_waitcnt lgkmcnt(0)
	flat_load_dword v0, v[0:1] glc
	s_waitcnt vmcnt(0) lgkmcnt(0)
	buffer_wbinvl1_vol
	v_cmp_eq_u32_e32 vcc, 0, v0
	s_and_b64 vcc, vcc, exec
	s_or_b64 s[38:39], s[38:39], vcc
	s_mov_b64 vcc, -1
	s_or_b64 s[36:37], s[36:37], exec
	s_and_saveexec_b64 s[48:49], s[38:39]
	s_cbranch_execz .LBB10_1314
.LBB10_1318:                            ;   in Loop: Header=BB10_1315 Depth=3
	s_sleep 1
	s_trap 2
	ds_read_b64 v[0:1], v0
	s_waitcnt lgkmcnt(0)
	s_andn2_b64 s[36:37], s[36:37], exec
	v_cmp_ge_u64_e32 vcc, v[0:1], v[46:47]
	s_orn2_b64 vcc, vcc, exec
	s_branch .LBB10_1314
.LBB10_1319:                            ;   in Loop: Header=BB10_720 Depth=2
	s_or_b64 exec, exec, s[30:31]
	s_and_saveexec_b64 vcc, s[34:35]
	s_xor_b64 vcc, exec, vcc
	s_cbranch_execz .LBB10_1321
; %bb.1320:                             ;   in Loop: Header=BB10_720 Depth=2
	v_mov_b32_e32 v0, 1
	ds_write_b32 v0, v0
	s_trap 2
.LBB10_1321:                            ;   in Loop: Header=BB10_720 Depth=2
	s_or_b64 exec, exec, s[94:95]
	;;#ASMSTART
	s_wakeup
	;;#ASMEND
.LBB10_1322:                            ;   in Loop: Header=BB10_720 Depth=2
	s_or_b64 exec, exec, s[44:45]
.LBB10_1323:                            ;   in Loop: Header=BB10_720 Depth=2
	s_andn2_saveexec_b64 s[42:43], s[42:43]
	s_cbranch_execz .LBB10_1325
; %bb.1324:                             ;   in Loop: Header=BB10_720 Depth=2
	s_waitcnt vmcnt(0) lgkmcnt(0)
	buffer_wbinvl1_vol
	s_barrier
.LBB10_1325:                            ;   in Loop: Header=BB10_720 Depth=2
	s_or_b64 exec, exec, s[42:43]
	s_or_b64 exec, exec, s[40:41]
                                        ; implicit-def: $vgpr0
	s_and_saveexec_b64 s[40:41], s[24:25]
	s_xor_b64 s[40:41], exec, s[40:41]
	s_cbranch_execnz .LBB10_797
.LBB10_1326:                            ;   in Loop: Header=BB10_720 Depth=2
	s_andn2_saveexec_b64 s[28:29], s[40:41]
	s_cbranch_execz .LBB10_1345
.LBB10_1327:                            ;   in Loop: Header=BB10_720 Depth=2
	s_and_saveexec_b64 s[40:41], s[60:61]
	s_xor_b64 s[40:41], exec, s[40:41]
	s_cbranch_execz .LBB10_1342
; %bb.1328:                             ;   in Loop: Header=BB10_720 Depth=2
	s_and_saveexec_b64 s[42:43], s[16:17]
	s_cbranch_execz .LBB10_1341
; %bb.1329:                             ;   in Loop: Header=BB10_720 Depth=2
	s_mov_b64 s[94:95], exec
	v_mbcnt_lo_u32_b32 v0, s94, 0
	v_mbcnt_hi_u32_b32 v0, s95, v0
	v_cmp_eq_u32_e32 vcc, 0, v0
	;;#ASMSTART
	s_waitcnt lgkmcnt(0) vmcnt(0)
	;;#ASMEND
	s_and_saveexec_b64 s[44:45], vcc
	s_cbranch_execz .LBB10_1331
; %bb.1330:                             ;   in Loop: Header=BB10_720 Depth=2
	s_bcnt1_i32_b64 s58, s[94:95]
	v_mov_b32_e32 v0, s58
	v_mov_b32_e32 v1, v2
	s_waitcnt lgkmcnt(0)
	ds_add_u64 v0, v[0:1]
	s_trap 2
.LBB10_1331:                            ;   in Loop: Header=BB10_720 Depth=2
	s_or_b64 exec, exec, s[44:45]
	s_trap 2
	ds_read_b64 v[0:1], v0
	s_waitcnt lgkmcnt(0)
	buffer_load_dword v4, off, s[0:3], s33 offset:68 ; 4-byte Folded Reload
	s_waitcnt vmcnt(0)
	v_add_co_u32_e32 v46, vcc, v46, v4
	v_addc_co_u32_e32 v47, vcc, 0, v47, vcc
	v_cmp_lt_u64_e32 vcc, v[0:1], v[46:47]
	s_and_saveexec_b64 s[44:45], vcc
	s_cbranch_execz .LBB10_1340
; %bb.1332:                             ;   in Loop: Header=BB10_720 Depth=2
	s_mov_b32 s58, 0
	s_mov_b64 s[94:95], 0
                                        ; implicit-def: $sgpr30_sgpr31
                                        ; implicit-def: $sgpr34_sgpr35
	s_branch .LBB10_1334
.LBB10_1333:                            ;   in Loop: Header=BB10_1334 Depth=3
	s_or_b64 exec, exec, s[38:39]
	s_and_b64 vcc, exec, vcc
	s_or_b64 s[94:95], vcc, s[94:95]
	s_andn2_b64 vcc, s[30:31], exec
	s_and_b64 s[30:31], s[34:35], exec
	s_or_b64 s[30:31], vcc, s[30:31]
	s_andn2_b64 exec, exec, s[94:95]
	s_cbranch_execz .LBB10_1338
.LBB10_1334:                            ;   Parent Loop BB10_47 Depth=1
                                        ;     Parent Loop BB10_720 Depth=2
                                        ; =>    This Inner Loop Header: Depth=3
	s_add_i32 s58, s58, 1
	s_cmpk_lg_i32 s58, 0x2710
	s_cselect_b64 s[36:37], -1, 0
	s_and_b64 vcc, exec, s[36:37]
	s_cbranch_vccz .LBB10_1336
; %bb.1335:                             ;   in Loop: Header=BB10_1334 Depth=3
	s_mov_b64 vcc, -1
	s_or_b64 s[34:35], s[34:35], exec
	s_and_saveexec_b64 s[38:39], s[36:37]
	s_cbranch_execz .LBB10_1333
	s_branch .LBB10_1337
.LBB10_1336:                            ;   in Loop: Header=BB10_1334 Depth=3
	s_trap 2
	ds_read_b64 v[0:1], v0
	s_andn2_b64 s[36:37], s[36:37], exec
	s_mov_b32 s58, 0
	s_waitcnt lgkmcnt(0)
	flat_load_dword v0, v[0:1] glc
	s_waitcnt vmcnt(0) lgkmcnt(0)
	buffer_wbinvl1_vol
	v_cmp_eq_u32_e32 vcc, 0, v0
	s_and_b64 vcc, vcc, exec
	s_or_b64 s[36:37], s[36:37], vcc
	s_mov_b64 vcc, -1
	s_or_b64 s[34:35], s[34:35], exec
	s_and_saveexec_b64 s[38:39], s[36:37]
	s_cbranch_execz .LBB10_1333
.LBB10_1337:                            ;   in Loop: Header=BB10_1334 Depth=3
	s_sleep 1
	s_trap 2
	ds_read_b64 v[0:1], v0
	s_waitcnt lgkmcnt(0)
	s_andn2_b64 s[34:35], s[34:35], exec
	v_cmp_ge_u64_e32 vcc, v[0:1], v[46:47]
	s_orn2_b64 vcc, vcc, exec
	s_branch .LBB10_1333
.LBB10_1338:                            ;   in Loop: Header=BB10_720 Depth=2
	s_or_b64 exec, exec, s[94:95]
	s_and_saveexec_b64 s[94:95], s[30:31]
	s_xor_b64 s[94:95], exec, s[94:95]
	s_cbranch_execz .LBB10_1340
; %bb.1339:                             ;   in Loop: Header=BB10_720 Depth=2
	v_mov_b32_e32 v0, 1
	ds_write_b32 v0, v0
	s_trap 2
.LBB10_1340:                            ;   in Loop: Header=BB10_720 Depth=2
	s_or_b64 exec, exec, s[44:45]
	;;#ASMSTART
	s_wakeup
	;;#ASMEND
.LBB10_1341:                            ;   in Loop: Header=BB10_720 Depth=2
	s_or_b64 exec, exec, s[42:43]
.LBB10_1342:                            ;   in Loop: Header=BB10_720 Depth=2
	s_andn2_saveexec_b64 s[40:41], s[40:41]
	s_cbranch_execz .LBB10_1344
; %bb.1343:                             ;   in Loop: Header=BB10_720 Depth=2
	;;#ASMSTART
	s_waitcnt lgkmcnt(0) vmcnt(0)
	;;#ASMEND
	s_waitcnt vmcnt(0) lgkmcnt(0)
	s_barrier
.LBB10_1344:                            ;   in Loop: Header=BB10_720 Depth=2
	s_or_b64 exec, exec, s[40:41]
	v_and_b32_e32 v0, 16, v62
.LBB10_1345:                            ;   in Loop: Header=BB10_720 Depth=2
	s_or_b64 exec, exec, s[28:29]
	v_cmp_ne_u32_e32 vcc, 0, v0
	s_xor_b64 s[28:29], s[12:13], -1
	s_and_b64 s[40:41], vcc, s[28:29]
	s_and_saveexec_b64 s[28:29], s[40:41]
	s_cbranch_execz .LBB10_1347
; %bb.1346:                             ;   in Loop: Header=BB10_720 Depth=2
	buffer_load_dword v0, off, s[0:3], s33 offset:92 ; 4-byte Folded Reload
	buffer_load_dword v1, off, s[0:3], s33 offset:96 ; 4-byte Folded Reload
	v_mov_b32_e32 v4, 1
	s_waitcnt vmcnt(0)
	flat_store_dword v[0:1], v4
.LBB10_1347:                            ;   in Loop: Header=BB10_720 Depth=2
	s_or_b64 exec, exec, s[28:29]
	v_and_b32_e32 v0, 48, v62
	v_cmp_ne_u32_e32 vcc, 0, v0
	s_and_saveexec_b64 s[28:29], vcc
	s_cbranch_execz .LBB10_719
; %bb.1348:                             ;   in Loop: Header=BB10_720 Depth=2
	buffer_load_dword v0, off, s[0:3], s33 offset:60 ; 4-byte Folded Reload
	buffer_load_dword v1, off, s[0:3], s33 offset:64 ; 4-byte Folded Reload
	s_waitcnt vmcnt(0)
	v_add_co_u32_e32 v0, vcc, 2, v0
	v_addc_co_u32_e32 v1, vcc, 0, v1, vcc
	buffer_store_dword v0, off, s[0:3], s33 offset:60 ; 4-byte Folded Spill
	s_nop 0
	buffer_store_dword v1, off, s[0:3], s33 offset:64 ; 4-byte Folded Spill
	flat_store_dwordx2 v[40:41], v[0:1]
	s_branch .LBB10_719
.LBB10_1349:                            ;   in Loop: Header=BB10_47 Depth=1
	s_or_b64 exec, exec, s[90:91]
.LBB10_1350:                            ;   in Loop: Header=BB10_47 Depth=1
	s_or_b64 exec, exec, s[88:89]
	v_cmp_gt_i32_e32 vcc, 2, v4
	s_and_saveexec_b64 s[40:41], vcc
	s_cbranch_execz .LBB10_1426
; %bb.1351:                             ;   in Loop: Header=BB10_47 Depth=1
	v_cmp_eq_u32_e64 s[44:45], 0, v4
	s_mov_b64 s[42:43], 0
	s_branch .LBB10_1353
.LBB10_1352:                            ;   in Loop: Header=BB10_1353 Depth=2
	s_or_b64 exec, exec, s[28:29]
	v_add_u32_e32 v3, v58, v3
	s_mov_b64 s[44:45], 0
	s_andn2_b64 exec, exec, s[42:43]
	s_cbranch_execz .LBB10_1425
.LBB10_1353:                            ;   Parent Loop BB10_47 Depth=1
                                        ; =>  This Loop Header: Depth=2
                                        ;       Child Loop BB10_1359 Depth 3
                                        ;       Child Loop BB10_1387 Depth 3
	;; [unrolled: 1-line block ×3, first 2 shown]
	v_sub_u32_e32 v0, v44, v3
	v_min_i32_e32 v58, v58, v0
	v_and_b32_e32 v0, 12, v62
	v_cmp_ne_u32_e32 vcc, 0, v0
	s_and_saveexec_b64 s[88:89], vcc
	s_cbranch_execz .LBB10_1379
; %bb.1354:                             ;   in Loop: Header=BB10_1353 Depth=2
	buffer_load_dword v0, off, s[0:3], s33 offset:60 ; 4-byte Folded Reload
	buffer_load_dword v1, off, s[0:3], s33 offset:64 ; 4-byte Folded Reload
	v_and_b32_e32 v12, 8, v62
	s_waitcnt lgkmcnt(0)
	v_add_co_u32_e32 v4, vcc, v56, v12
	v_addc_co_u32_e32 v5, vcc, 0, v57, vcc
	s_waitcnt vmcnt(0)
	v_add_co_u32_e32 v0, vcc, 2, v0
	v_addc_co_u32_e32 v1, vcc, 0, v1, vcc
	v_cmp_lt_u64_e32 vcc, v[4:5], v[0:1]
	s_and_saveexec_b64 s[90:91], vcc
	s_cbranch_execz .LBB10_1366
; %bb.1355:                             ;   in Loop: Header=BB10_1353 Depth=2
	v_and_b32_e32 v4, 64, v62
	s_mov_b32 s58, 0
	v_cmp_eq_u32_e32 vcc, 0, v4
	s_mov_b64 s[92:93], 0
                                        ; implicit-def: $sgpr94_sgpr95
                                        ; implicit-def: $sgpr30_sgpr31
                                        ; implicit-def: $sgpr34_sgpr35
	s_branch .LBB10_1359
.LBB10_1356:                            ;   in Loop: Header=BB10_1359 Depth=3
	s_waitcnt vmcnt(0) lgkmcnt(0)
	v_add_co_u32_e64 v7, s[28:29], v56, v12
	v_addc_co_u32_e64 v8, s[28:29], 0, v57, s[28:29]
	v_cmp_ge_u64_e64 s[28:29], v[7:8], v[0:1]
	s_or_b64 s[48:49], s[48:49], exec
	s_orn2_b64 s[38:39], s[28:29], exec
.LBB10_1357:                            ;   in Loop: Header=BB10_1359 Depth=3
	s_or_b64 exec, exec, s[52:53]
	s_andn2_b64 s[28:29], s[34:35], exec
	s_and_b64 s[34:35], s[48:49], exec
	s_or_b64 s[34:35], s[28:29], s[34:35]
	s_andn2_b64 s[28:29], s[30:31], exec
	s_and_b64 s[30:31], s[38:39], exec
	s_or_b64 s[30:31], s[28:29], s[30:31]
.LBB10_1358:                            ;   in Loop: Header=BB10_1359 Depth=3
	s_or_b64 exec, exec, s[36:37]
	s_and_b64 s[28:29], exec, s[30:31]
	s_or_b64 s[92:93], s[28:29], s[92:93]
	s_andn2_b64 s[28:29], s[94:95], exec
	s_and_b64 s[94:95], s[34:35], exec
	s_or_b64 s[94:95], s[28:29], s[94:95]
	s_andn2_b64 exec, exec, s[92:93]
	s_cbranch_execz .LBB10_1363
.LBB10_1359:                            ;   Parent Loop BB10_47 Depth=1
                                        ;     Parent Loop BB10_1353 Depth=2
                                        ; =>    This Inner Loop Header: Depth=3
	s_sleep 1
	s_waitcnt vmcnt(0) lgkmcnt(0)
	flat_load_dwordx2 v[56:57], v[40:41] glc
	s_or_b64 s[34:35], s[34:35], exec
	s_or_b64 s[30:31], s[30:31], exec
                                        ; implicit-def: $vgpr4
	s_and_saveexec_b64 s[36:37], vcc
	s_cbranch_execz .LBB10_1358
; %bb.1360:                             ;   in Loop: Header=BB10_1359 Depth=3
	s_cmpk_lt_i32 s58, 0x270f
	s_cselect_b64 s[50:51], -1, 0
	s_cmpk_gt_i32 s58, 0x270e
	s_mov_b64 s[38:39], -1
	s_cbranch_scc0 .LBB10_1362
; %bb.1361:                             ;   in Loop: Header=BB10_1359 Depth=3
	s_trap 2
	ds_read_b64 v[4:5], v0
	s_andn2_b64 s[50:51], s[50:51], exec
	s_mov_b32 s58, 0
	s_mov_b64 s[48:49], 0
	s_waitcnt vmcnt(0) lgkmcnt(0)
	flat_load_dword v4, v[4:5] glc
	s_waitcnt vmcnt(0) lgkmcnt(0)
	buffer_wbinvl1_vol
	v_cmp_eq_u32_e64 s[28:29], 0, v4
	s_and_b64 s[28:29], s[28:29], exec
	s_or_b64 s[50:51], s[50:51], s[28:29]
	s_and_saveexec_b64 s[52:53], s[50:51]
	s_cbranch_execz .LBB10_1357
	s_branch .LBB10_1356
.LBB10_1362:                            ;   in Loop: Header=BB10_1359 Depth=3
	s_add_i32 s58, s58, 1
	s_mov_b64 s[48:49], -1
                                        ; implicit-def: $vgpr4
	s_and_saveexec_b64 s[52:53], s[50:51]
	s_cbranch_execz .LBB10_1357
	s_branch .LBB10_1356
.LBB10_1363:                            ;   in Loop: Header=BB10_1353 Depth=2
	s_or_b64 exec, exec, s[92:93]
	s_xor_b64 s[28:29], s[94:95], -1
	s_and_saveexec_b64 s[92:93], s[28:29]
	s_xor_b64 s[28:29], exec, s[92:93]
	s_cbranch_execz .LBB10_1365
; %bb.1364:                             ;   in Loop: Header=BB10_1353 Depth=2
	v_or_b32_e32 v62, 64, v62
	s_waitcnt lgkmcnt(0)
	ds_write_b32 v0, v4
	s_trap 2
.LBB10_1365:                            ;   in Loop: Header=BB10_1353 Depth=2
	s_or_b64 exec, exec, s[28:29]
.LBB10_1366:                            ;   in Loop: Header=BB10_1353 Depth=2
	s_or_b64 exec, exec, s[90:91]
	v_and_b32_e32 v4, 0x108, v62
	v_cmp_ne_u32_e32 vcc, s67, v4
	;;#ASMSTART
	s_wakeup
	;;#ASMEND
                                        ; implicit-def: $vgpr4_vgpr5
	s_and_saveexec_b64 s[28:29], vcc
	s_xor_b64 s[28:29], exec, s[28:29]
	s_cbranch_execz .LBB10_1368
; %bb.1367:                             ;   in Loop: Header=BB10_1353 Depth=2
	buffer_load_dword v4, off, s[0:3], s33 offset:60 ; 4-byte Folded Reload
	buffer_load_dword v5, off, s[0:3], s33 offset:64 ; 4-byte Folded Reload
	s_waitcnt vmcnt(0)
	v_mov_b32_e32 v5, v2
                                        ; implicit-def: $vgpr6_vgpr7
                                        ; kill: killed $vgpr6_vgpr7
	v_and_b32_e32 v4, 7, v4
.LBB10_1368:                            ;   in Loop: Header=BB10_1353 Depth=2
	s_andn2_saveexec_b64 s[28:29], s[28:29]
	s_cbranch_execz .LBB10_1370
; %bb.1369:                             ;   in Loop: Header=BB10_1353 Depth=2
	buffer_load_dword v4, off, s[0:3], s33 offset:60 ; 4-byte Folded Reload
	buffer_load_dword v5, off, s[0:3], s33 offset:64 ; 4-byte Folded Reload
	;; [unrolled: 1-line block ×6, first 2 shown]
	v_ashrrev_i32_e32 v59, 31, v58
	v_lshlrev_b64 v[9:10], 1, v[58:59]
	buffer_load_dword v59, off, s[0:3], s33 offset:156 ; 4-byte Folded Reload
	s_waitcnt vmcnt(0)
	v_and_b32_e32 v4, 7, v4
	v_mad_u64_u32 v[7:8], s[90:91], v4, 24, v[5:6]
	v_mov_b32_e32 v5, v2
	flat_store_dwordx2 v[7:8], v[9:10] offset:8
.LBB10_1370:                            ;   in Loop: Header=BB10_1353 Depth=2
	s_or_b64 exec, exec, s[28:29]
	v_and_b32_e32 v6, 0x100, v62
	v_cmp_ne_u32_e32 vcc, 0, v6
	s_mov_b64 s[28:29], -1
                                        ; implicit-def: $vgpr8_vgpr9
	s_and_saveexec_b64 s[90:91], vcc
	s_cbranch_execz .LBB10_1374
; %bb.1371:                             ;   in Loop: Header=BB10_1353 Depth=2
	buffer_load_dword v6, off, s[0:3], s33 offset:168 ; 4-byte Folded Reload
	buffer_load_dword v7, off, s[0:3], s33 offset:172 ; 4-byte Folded Reload
	;; [unrolled: 1-line block ×4, first 2 shown]
	s_waitcnt vmcnt(0)
	v_mad_u64_u32 v[10:11], s[28:29], v4, 24, v[6:7]
	v_mov_b32_e32 v7, v11
	v_mad_u64_u32 v[7:8], s[28:29], v5, 24, v[7:8]
                                        ; implicit-def: $vgpr8_vgpr9
	v_mov_b32_e32 v11, v7
	flat_load_dword v6, v[10:11]
	s_waitcnt vmcnt(0) lgkmcnt(0)
	v_cmp_ne_u32_e32 vcc, 1, v6
	v_cmp_eq_u32_e64 s[28:29], 1, v6
	s_and_saveexec_b64 s[92:93], s[28:29]
	s_cbranch_execz .LBB10_1373
; %bb.1372:                             ;   in Loop: Header=BB10_1353 Depth=2
	flat_load_dword v7, v[10:11] offset:4 glc
	s_waitcnt vmcnt(0) lgkmcnt(0)
	v_ashrrev_i32_e32 v8, 31, v7
	v_lshrrev_b64 v[8:9], 1, v[7:8]
.LBB10_1373:                            ;   in Loop: Header=BB10_1353 Depth=2
	s_or_b64 exec, exec, s[92:93]
	s_orn2_b64 s[28:29], vcc, exec
.LBB10_1374:                            ;   in Loop: Header=BB10_1353 Depth=2
	s_or_b64 exec, exec, s[90:91]
	s_and_saveexec_b64 s[90:91], s[28:29]
	s_cbranch_execz .LBB10_1376
; %bb.1375:                             ;   in Loop: Header=BB10_1353 Depth=2
	v_mul_lo_u32 v5, v5, v54
	v_mul_lo_u32 v6, v4, v59
	v_mad_u64_u32 v[8:9], s[28:29], v4, v54, 0
	v_add3_u32 v9, v9, v6, v5
.LBB10_1376:                            ;   in Loop: Header=BB10_1353 Depth=2
	s_or_b64 exec, exec, s[90:91]
	v_cmp_eq_u32_e32 vcc, 0, v12
	v_mov_b32_e32 v4, 0x90
	v_mov_b32_e32 v5, 0xd0
	v_cndmask_b32_e32 v6, v5, v4, vcc
	v_lshlrev_b64 v[4:5], 1, v[8:9]
	buffer_load_dword v7, off, s[0:3], s33 offset:84 ; 4-byte Folded Reload
	buffer_load_dword v8, off, s[0:3], s33 offset:88 ; 4-byte Folded Reload
	v_add_u32_e32 v6, v0, v6
	s_waitcnt vmcnt(0)
	v_add_co_u32_e32 v4, vcc, v7, v4
	v_addc_co_u32_e32 v5, vcc, v8, v5, vcc
	ds_write_b64 v6, v[4:5] offset:584
	v_and_b32_e32 v4, 0x2000, v62
	v_cmp_ne_u32_e32 vcc, 0, v4
	s_and_saveexec_b64 s[28:29], vcc
	s_cbranch_execz .LBB10_1378
; %bb.1377:                             ;   in Loop: Header=BB10_1353 Depth=2
	ds_read_b64 v[4:5], v0 offset:872
	s_waitcnt lgkmcnt(0)
	v_add_co_u32_e32 v4, vcc, 1, v4
	v_addc_co_u32_e32 v5, vcc, 0, v5, vcc
	ds_write_b64 v0, v[4:5] offset:872
.LBB10_1378:                            ;   in Loop: Header=BB10_1353 Depth=2
	s_or_b64 exec, exec, s[28:29]
	buffer_store_dword v0, off, s[0:3], s33 offset:60 ; 4-byte Folded Spill
	s_nop 0
	buffer_store_dword v1, off, s[0:3], s33 offset:64 ; 4-byte Folded Spill
.LBB10_1379:                            ;   in Loop: Header=BB10_1353 Depth=2
	s_or_b64 exec, exec, s[88:89]
	s_xor_b64 s[28:29], s[44:45], -1
	s_and_b64 s[28:29], exec, s[28:29]
	s_or_b64 s[42:43], s[28:29], s[42:43]
	s_and_saveexec_b64 s[28:29], s[10:11]
	s_cbranch_execz .LBB10_1398
; %bb.1380:                             ;   in Loop: Header=BB10_1353 Depth=2
	s_and_saveexec_b64 s[44:45], s[60:61]
	s_xor_b64 s[44:45], exec, s[44:45]
	s_cbranch_execz .LBB10_1395
; %bb.1381:                             ;   in Loop: Header=BB10_1353 Depth=2
	s_and_saveexec_b64 s[88:89], s[16:17]
	s_cbranch_execz .LBB10_1394
; %bb.1382:                             ;   in Loop: Header=BB10_1353 Depth=2
	s_mov_b64 s[92:93], exec
	v_mbcnt_lo_u32_b32 v0, s92, 0
	v_mbcnt_hi_u32_b32 v0, s93, v0
	v_cmp_eq_u32_e32 vcc, 0, v0
	s_waitcnt vmcnt(0) lgkmcnt(0)
	buffer_wbinvl1_vol
	s_and_saveexec_b64 s[90:91], vcc
	s_cbranch_execz .LBB10_1384
; %bb.1383:                             ;   in Loop: Header=BB10_1353 Depth=2
	s_bcnt1_i32_b64 s58, s[92:93]
	v_mov_b32_e32 v0, s58
	v_mov_b32_e32 v1, v2
	ds_add_u64 v0, v[0:1]
	s_trap 2
.LBB10_1384:                            ;   in Loop: Header=BB10_1353 Depth=2
	s_or_b64 exec, exec, s[90:91]
	s_trap 2
	ds_read_b64 v[0:1], v0
	s_waitcnt lgkmcnt(0)
	buffer_load_dword v4, off, s[0:3], s33 offset:68 ; 4-byte Folded Reload
	s_waitcnt vmcnt(0)
	v_add_co_u32_e32 v46, vcc, v46, v4
	v_addc_co_u32_e32 v47, vcc, 0, v47, vcc
	v_cmp_lt_u64_e32 vcc, v[0:1], v[46:47]
	s_and_saveexec_b64 s[90:91], vcc
	s_cbranch_execz .LBB10_1393
; %bb.1385:                             ;   in Loop: Header=BB10_1353 Depth=2
	s_mov_b32 s58, 0
	s_mov_b64 s[92:93], 0
                                        ; implicit-def: $sgpr94_sgpr95
                                        ; implicit-def: $sgpr30_sgpr31
	s_branch .LBB10_1387
.LBB10_1386:                            ;   in Loop: Header=BB10_1387 Depth=3
	s_or_b64 exec, exec, s[36:37]
	s_and_b64 vcc, exec, vcc
	s_or_b64 s[92:93], vcc, s[92:93]
	s_andn2_b64 s[94:95], s[94:95], exec
	s_and_b64 vcc, s[30:31], exec
	s_or_b64 s[94:95], s[94:95], vcc
	s_andn2_b64 exec, exec, s[92:93]
	s_cbranch_execz .LBB10_1391
.LBB10_1387:                            ;   Parent Loop BB10_47 Depth=1
                                        ;     Parent Loop BB10_1353 Depth=2
                                        ; =>    This Inner Loop Header: Depth=3
	s_add_i32 s58, s58, 1
	s_cmpk_lg_i32 s58, 0x2710
	s_cselect_b64 s[34:35], -1, 0
	s_and_b64 vcc, exec, s[34:35]
	s_cbranch_vccz .LBB10_1389
; %bb.1388:                             ;   in Loop: Header=BB10_1387 Depth=3
	s_mov_b64 vcc, -1
	s_or_b64 s[30:31], s[30:31], exec
	s_and_saveexec_b64 s[36:37], s[34:35]
	s_cbranch_execz .LBB10_1386
	s_branch .LBB10_1390
.LBB10_1389:                            ;   in Loop: Header=BB10_1387 Depth=3
	s_trap 2
	ds_read_b64 v[0:1], v0
	s_andn2_b64 s[34:35], s[34:35], exec
	s_mov_b32 s58, 0
	s_waitcnt lgkmcnt(0)
	flat_load_dword v0, v[0:1] glc
	s_waitcnt vmcnt(0) lgkmcnt(0)
	buffer_wbinvl1_vol
	v_cmp_eq_u32_e32 vcc, 0, v0
	s_and_b64 vcc, vcc, exec
	s_or_b64 s[34:35], s[34:35], vcc
	s_mov_b64 vcc, -1
	s_or_b64 s[30:31], s[30:31], exec
	s_and_saveexec_b64 s[36:37], s[34:35]
	s_cbranch_execz .LBB10_1386
.LBB10_1390:                            ;   in Loop: Header=BB10_1387 Depth=3
	s_sleep 1
	s_trap 2
	ds_read_b64 v[0:1], v0
	s_waitcnt lgkmcnt(0)
	s_andn2_b64 s[30:31], s[30:31], exec
	v_cmp_ge_u64_e32 vcc, v[0:1], v[46:47]
	s_orn2_b64 vcc, vcc, exec
	s_branch .LBB10_1386
.LBB10_1391:                            ;   in Loop: Header=BB10_1353 Depth=2
	s_or_b64 exec, exec, s[92:93]
	s_and_saveexec_b64 s[92:93], s[94:95]
	s_xor_b64 s[92:93], exec, s[92:93]
	s_cbranch_execz .LBB10_1393
; %bb.1392:                             ;   in Loop: Header=BB10_1353 Depth=2
	v_mov_b32_e32 v0, 1
	ds_write_b32 v0, v0
	s_trap 2
.LBB10_1393:                            ;   in Loop: Header=BB10_1353 Depth=2
	s_or_b64 exec, exec, s[90:91]
	;;#ASMSTART
	s_wakeup
	;;#ASMEND
.LBB10_1394:                            ;   in Loop: Header=BB10_1353 Depth=2
	s_or_b64 exec, exec, s[88:89]
.LBB10_1395:                            ;   in Loop: Header=BB10_1353 Depth=2
	s_andn2_saveexec_b64 s[44:45], s[44:45]
	s_cbranch_execz .LBB10_1397
; %bb.1396:                             ;   in Loop: Header=BB10_1353 Depth=2
	s_waitcnt vmcnt(0) lgkmcnt(0)
	buffer_wbinvl1_vol
	s_barrier
.LBB10_1397:                            ;   in Loop: Header=BB10_1353 Depth=2
	s_or_b64 exec, exec, s[44:45]
.LBB10_1398:                            ;   in Loop: Header=BB10_1353 Depth=2
	s_or_b64 exec, exec, s[28:29]
                                        ; implicit-def: $vgpr0
	s_and_saveexec_b64 s[28:29], s[24:25]
	s_xor_b64 s[28:29], exec, s[28:29]
	s_cbranch_execz .LBB10_1402
; %bb.1399:                             ;   in Loop: Header=BB10_1353 Depth=2
	s_trap 2
	ds_read_b32 v0, v0
	v_cmp_lt_i32_e32 vcc, 0, v58
	v_and_b32_e32 v1, 16, v62
	s_waitcnt lgkmcnt(0)
	v_readfirstlane_b32 s44, v0
	s_cmp_eq_u32 s44, 0
	s_cselect_b64 s[44:45], -1, 0
	s_and_b64 s[44:45], vcc, s[44:45]
	v_cmp_ne_u32_e32 vcc, 0, v1
	v_and_b32_e32 v0, 16, v62
	s_and_b64 s[88:89], vcc, s[44:45]
	s_and_saveexec_b64 s[44:45], s[88:89]
	s_cbranch_execz .LBB10_1401
; %bb.1400:                             ;   in Loop: Header=BB10_1353 Depth=2
	v_mov_b32_e32 v0, 1
	s_waitcnt vmcnt(0)
	buffer_wbinvl1_vol
.LBB10_1401:                            ;   in Loop: Header=BB10_1353 Depth=2
	s_or_b64 exec, exec, s[44:45]
	s_andn2_saveexec_b64 s[28:29], s[28:29]
	s_cbranch_execz .LBB10_1421
	s_branch .LBB10_1403
.LBB10_1402:                            ;   in Loop: Header=BB10_1353 Depth=2
	s_andn2_saveexec_b64 s[28:29], s[28:29]
	s_cbranch_execz .LBB10_1421
.LBB10_1403:                            ;   in Loop: Header=BB10_1353 Depth=2
	s_and_saveexec_b64 s[44:45], s[60:61]
	s_xor_b64 s[44:45], exec, s[44:45]
	s_cbranch_execz .LBB10_1418
; %bb.1404:                             ;   in Loop: Header=BB10_1353 Depth=2
	s_and_saveexec_b64 s[88:89], s[16:17]
	s_cbranch_execz .LBB10_1417
; %bb.1405:                             ;   in Loop: Header=BB10_1353 Depth=2
	s_mov_b64 s[92:93], exec
	v_mbcnt_lo_u32_b32 v0, s92, 0
	v_mbcnt_hi_u32_b32 v0, s93, v0
	v_cmp_eq_u32_e32 vcc, 0, v0
	;;#ASMSTART
	s_waitcnt lgkmcnt(0) vmcnt(0)
	;;#ASMEND
	s_and_saveexec_b64 s[90:91], vcc
	s_cbranch_execz .LBB10_1407
; %bb.1406:                             ;   in Loop: Header=BB10_1353 Depth=2
	s_bcnt1_i32_b64 s58, s[92:93]
	v_mov_b32_e32 v0, s58
	v_mov_b32_e32 v1, v2
	s_waitcnt lgkmcnt(0)
	ds_add_u64 v0, v[0:1]
	s_trap 2
.LBB10_1407:                            ;   in Loop: Header=BB10_1353 Depth=2
	s_or_b64 exec, exec, s[90:91]
	s_trap 2
	ds_read_b64 v[0:1], v0
	s_waitcnt lgkmcnt(0)
	buffer_load_dword v4, off, s[0:3], s33 offset:68 ; 4-byte Folded Reload
	s_waitcnt vmcnt(0)
	v_add_co_u32_e32 v46, vcc, v46, v4
	v_addc_co_u32_e32 v47, vcc, 0, v47, vcc
	v_cmp_lt_u64_e32 vcc, v[0:1], v[46:47]
	s_and_saveexec_b64 s[90:91], vcc
	s_cbranch_execz .LBB10_1416
; %bb.1408:                             ;   in Loop: Header=BB10_1353 Depth=2
	s_mov_b32 s58, 0
	s_mov_b64 s[92:93], 0
                                        ; implicit-def: $sgpr94_sgpr95
                                        ; implicit-def: $sgpr30_sgpr31
	s_branch .LBB10_1410
.LBB10_1409:                            ;   in Loop: Header=BB10_1410 Depth=3
	s_or_b64 exec, exec, s[36:37]
	s_and_b64 vcc, exec, vcc
	s_or_b64 s[92:93], vcc, s[92:93]
	s_andn2_b64 s[94:95], s[94:95], exec
	s_and_b64 vcc, s[30:31], exec
	s_or_b64 s[94:95], s[94:95], vcc
	s_andn2_b64 exec, exec, s[92:93]
	s_cbranch_execz .LBB10_1414
.LBB10_1410:                            ;   Parent Loop BB10_47 Depth=1
                                        ;     Parent Loop BB10_1353 Depth=2
                                        ; =>    This Inner Loop Header: Depth=3
	s_add_i32 s58, s58, 1
	s_cmpk_lg_i32 s58, 0x2710
	s_cselect_b64 s[34:35], -1, 0
	s_and_b64 vcc, exec, s[34:35]
	s_cbranch_vccz .LBB10_1412
; %bb.1411:                             ;   in Loop: Header=BB10_1410 Depth=3
	s_mov_b64 vcc, -1
	s_or_b64 s[30:31], s[30:31], exec
	s_and_saveexec_b64 s[36:37], s[34:35]
	s_cbranch_execz .LBB10_1409
	s_branch .LBB10_1413
.LBB10_1412:                            ;   in Loop: Header=BB10_1410 Depth=3
	s_trap 2
	ds_read_b64 v[0:1], v0
	s_andn2_b64 s[34:35], s[34:35], exec
	s_mov_b32 s58, 0
	s_waitcnt lgkmcnt(0)
	flat_load_dword v0, v[0:1] glc
	s_waitcnt vmcnt(0) lgkmcnt(0)
	buffer_wbinvl1_vol
	v_cmp_eq_u32_e32 vcc, 0, v0
	s_and_b64 vcc, vcc, exec
	s_or_b64 s[34:35], s[34:35], vcc
	s_mov_b64 vcc, -1
	s_or_b64 s[30:31], s[30:31], exec
	s_and_saveexec_b64 s[36:37], s[34:35]
	s_cbranch_execz .LBB10_1409
.LBB10_1413:                            ;   in Loop: Header=BB10_1410 Depth=3
	s_sleep 1
	s_trap 2
	ds_read_b64 v[0:1], v0
	s_waitcnt lgkmcnt(0)
	s_andn2_b64 s[30:31], s[30:31], exec
	v_cmp_ge_u64_e32 vcc, v[0:1], v[46:47]
	s_orn2_b64 vcc, vcc, exec
	s_branch .LBB10_1409
.LBB10_1414:                            ;   in Loop: Header=BB10_1353 Depth=2
	s_or_b64 exec, exec, s[92:93]
	s_and_saveexec_b64 s[92:93], s[94:95]
	s_xor_b64 s[92:93], exec, s[92:93]
	s_cbranch_execz .LBB10_1416
; %bb.1415:                             ;   in Loop: Header=BB10_1353 Depth=2
	v_mov_b32_e32 v0, 1
	ds_write_b32 v0, v0
	s_trap 2
.LBB10_1416:                            ;   in Loop: Header=BB10_1353 Depth=2
	s_or_b64 exec, exec, s[90:91]
	;;#ASMSTART
	s_wakeup
	;;#ASMEND
.LBB10_1417:                            ;   in Loop: Header=BB10_1353 Depth=2
	s_or_b64 exec, exec, s[88:89]
.LBB10_1418:                            ;   in Loop: Header=BB10_1353 Depth=2
	s_andn2_saveexec_b64 s[44:45], s[44:45]
	s_cbranch_execz .LBB10_1420
; %bb.1419:                             ;   in Loop: Header=BB10_1353 Depth=2
	;;#ASMSTART
	s_waitcnt lgkmcnt(0) vmcnt(0)
	;;#ASMEND
	s_waitcnt vmcnt(0) lgkmcnt(0)
	s_barrier
.LBB10_1420:                            ;   in Loop: Header=BB10_1353 Depth=2
	s_or_b64 exec, exec, s[44:45]
	v_and_b32_e32 v0, 16, v62
.LBB10_1421:                            ;   in Loop: Header=BB10_1353 Depth=2
	s_or_b64 exec, exec, s[28:29]
	v_cmp_ne_u32_e32 vcc, 0, v0
	s_xor_b64 s[28:29], s[12:13], -1
	s_and_b64 s[44:45], vcc, s[28:29]
	s_and_saveexec_b64 s[28:29], s[44:45]
	s_cbranch_execz .LBB10_1423
; %bb.1422:                             ;   in Loop: Header=BB10_1353 Depth=2
	buffer_load_dword v0, off, s[0:3], s33 offset:92 ; 4-byte Folded Reload
	buffer_load_dword v1, off, s[0:3], s33 offset:96 ; 4-byte Folded Reload
	v_mov_b32_e32 v4, 1
	s_waitcnt vmcnt(0)
	flat_store_dword v[0:1], v4
.LBB10_1423:                            ;   in Loop: Header=BB10_1353 Depth=2
	s_or_b64 exec, exec, s[28:29]
	v_and_b32_e32 v0, 48, v62
	v_cmp_ne_u32_e32 vcc, 0, v0
	s_and_saveexec_b64 s[28:29], vcc
	s_cbranch_execz .LBB10_1352
; %bb.1424:                             ;   in Loop: Header=BB10_1353 Depth=2
	buffer_load_dword v0, off, s[0:3], s33 offset:60 ; 4-byte Folded Reload
	buffer_load_dword v1, off, s[0:3], s33 offset:64 ; 4-byte Folded Reload
	s_waitcnt vmcnt(0)
	v_add_co_u32_e32 v0, vcc, 2, v0
	v_addc_co_u32_e32 v1, vcc, 0, v1, vcc
	buffer_store_dword v0, off, s[0:3], s33 offset:60 ; 4-byte Folded Spill
	s_nop 0
	buffer_store_dword v1, off, s[0:3], s33 offset:64 ; 4-byte Folded Spill
	flat_store_dwordx2 v[40:41], v[0:1]
	s_branch .LBB10_1352
.LBB10_1425:                            ;   in Loop: Header=BB10_47 Depth=1
	s_or_b64 exec, exec, s[42:43]
.LBB10_1426:                            ;   in Loop: Header=BB10_47 Depth=1
	s_or_b64 exec, exec, s[40:41]
	buffer_load_dword v42, off, s[0:3], s33 offset:168 ; 4-byte Folded Reload
	buffer_load_dword v43, off, s[0:3], s33 offset:172 ; 4-byte Folded Reload
	;; [unrolled: 1-line block ×7, first 2 shown]
	s_and_b64 vcc, exec, s[26:27]
	s_cbranch_vccnz .LBB10_1683
; %bb.1427:                             ;   in Loop: Header=BB10_47 Depth=1
	s_mov_b32 s58, 1
.LBB10_1428:                            ;   Parent Loop BB10_47 Depth=1
                                        ; =>  This Loop Header: Depth=2
                                        ;       Child Loop BB10_1431 Depth 3
                                        ;         Child Loop BB10_1439 Depth 4
                                        ;         Child Loop BB10_1467 Depth 4
	;; [unrolled: 1-line block ×9, first 2 shown]
                                        ;           Child Loop BB10_1521 Depth 5
                                        ;         Child Loop BB10_1528 Depth 4
                                        ;         Child Loop BB10_1533 Depth 4
                                        ;           Child Loop BB10_1534 Depth 5
                                        ;         Child Loop BB10_1570 Depth 4
                                        ;         Child Loop BB10_1589 Depth 4
                                        ;       Child Loop BB10_1607 Depth 3
                                        ;         Child Loop BB10_1613 Depth 4
                                        ;         Child Loop BB10_1641 Depth 4
	;; [unrolled: 1-line block ×3, first 2 shown]
	buffer_load_dword v5, off, s[0:3], s33 offset:200 ; 4-byte Folded Reload
	buffer_load_dword v6, off, s[0:3], s33 offset:204 ; 4-byte Folded Reload
	s_sub_i32 s26, s81, s58
	s_cmp_ge_i32 s26, s54
	s_cselect_b32 s27, s54, 0
	s_sub_i32 s26, s26, s27
	s_ashr_i32 s28, s26, 31
	v_mov_b32_e32 v12, 0
	s_waitcnt vmcnt(0)
	v_mul_lo_u32 v4, v5, s28
	v_mul_lo_u32 v3, v6, s26
	v_mad_u64_u32 v[0:1], s[26:27], v5, s26, 0
	v_add3_u32 v1, v1, v4, v3
	buffer_load_dword v3, off, s[0:3], s33 offset:192 ; 4-byte Folded Reload
	buffer_load_dword v4, off, s[0:3], s33 offset:196 ; 4-byte Folded Reload
	s_waitcnt vmcnt(0)
	v_sub_co_u32_e32 v3, vcc, v3, v0
	v_subb_co_u32_e32 v4, vcc, v4, v1, vcc
	v_cmp_lt_i64_e32 vcc, v[5:6], v[3:4]
	v_cndmask_b32_e32 v4, v3, v5, vcc
	v_max_i32_e32 v20, 0, v4
	v_add_u32_e32 v3, 31, v20
	v_lshrrev_b32_e32 v3, 1, v3
	v_and_b32_e32 v3, 0x3ffffff0, v3
	v_cmp_lt_i32_e32 vcc, 0, v4
	v_max_i32_e32 v3, s84, v3
	s_and_b64 s[26:27], s[76:77], vcc
	v_mov_b32_e32 v4, 0
	s_and_saveexec_b64 s[42:43], s[26:27]
	s_cbranch_execz .LBB10_1604
; %bb.1429:                             ;   in Loop: Header=BB10_1428 Depth=2
	buffer_load_dword v4, off, s[0:3], s33 offset:136 ; 4-byte Folded Reload
	buffer_load_dword v5, off, s[0:3], s33 offset:140 ; 4-byte Folded Reload
	s_mov_b32 s79, 1
	s_mov_b64 s[88:89], -1
	v_mov_b32_e32 v12, 0
	s_mov_b64 s[44:45], 0
	s_waitcnt vmcnt(0)
	v_add_co_u32_e32 v0, vcc, v0, v4
	v_addc_co_u32_e32 v1, vcc, v1, v5, vcc
	v_lshlrev_b64 v[14:15], 1, v[0:1]
	s_branch .LBB10_1431
.LBB10_1430:                            ;   in Loop: Header=BB10_1431 Depth=3
	s_or_b64 exec, exec, s[26:27]
	v_add_u32_e32 v12, v3, v12
	v_cmp_ge_i32_e32 vcc, v12, v20
	s_xor_b64 s[26:27], s[88:89], -1
	s_or_b64 s[26:27], s[26:27], vcc
	s_and_b64 s[26:27], exec, s[26:27]
	s_or_b64 s[44:45], s[26:27], s[44:45]
	s_mov_b64 s[88:89], 0
	v_mov_b32_e32 v4, s79
	s_mov_b32 s79, 2
	s_andn2_b64 exec, exec, s[44:45]
	s_cbranch_execz .LBB10_1679
.LBB10_1431:                            ;   Parent Loop BB10_47 Depth=1
                                        ;     Parent Loop BB10_1428 Depth=2
                                        ; =>    This Loop Header: Depth=3
                                        ;         Child Loop BB10_1439 Depth 4
                                        ;         Child Loop BB10_1467 Depth 4
	;; [unrolled: 1-line block ×9, first 2 shown]
                                        ;           Child Loop BB10_1521 Depth 5
                                        ;         Child Loop BB10_1528 Depth 4
                                        ;         Child Loop BB10_1533 Depth 4
                                        ;           Child Loop BB10_1534 Depth 5
                                        ;         Child Loop BB10_1570 Depth 4
                                        ;         Child Loop BB10_1589 Depth 4
	s_and_saveexec_b64 s[26:27], s[4:5]
	s_cbranch_execz .LBB10_1433
; %bb.1432:                             ;   in Loop: Header=BB10_1431 Depth=3
	s_trap 2
	ds_read_b128 v[7:10], v0
	v_ashrrev_i32_e32 v13, 31, v12
	v_lshlrev_b64 v[0:1], 1, v[12:13]
	s_waitcnt lgkmcnt(0)
	v_add_co_u32_e32 v4, vcc, v7, v14
	v_addc_co_u32_e32 v5, vcc, v8, v15, vcc
	v_add_co_u32_e32 v4, vcc, v4, v0
	v_addc_co_u32_e32 v5, vcc, v5, v1, vcc
	ds_write_b64 v0, v[4:5]
	v_add_co_u32_e32 v4, vcc, v9, v14
	v_addc_co_u32_e32 v5, vcc, v10, v15, vcc
	v_add_co_u32_e32 v0, vcc, v4, v0
	v_addc_co_u32_e32 v1, vcc, v5, v1, vcc
	v_cmp_ne_u64_e32 vcc, 0, v[9:10]
	v_cndmask_b32_e32 v1, 0, v1, vcc
	v_cndmask_b32_e32 v0, 0, v0, vcc
	ds_write_b64 v0, v[0:1]
.LBB10_1433:                            ;   in Loop: Header=BB10_1431 Depth=3
	s_or_b64 exec, exec, s[26:27]
	v_sub_u32_e32 v0, v20, v12
	v_min_i32_e32 v3, v3, v0
	v_and_b32_e32 v0, 12, v62
	v_cmp_ne_u32_e32 vcc, 0, v0
	s_and_saveexec_b64 s[28:29], vcc
	s_cbranch_execz .LBB10_1459
; %bb.1434:                             ;   in Loop: Header=BB10_1431 Depth=3
	buffer_load_dword v0, off, s[0:3], s33 offset:60 ; 4-byte Folded Reload
	buffer_load_dword v1, off, s[0:3], s33 offset:64 ; 4-byte Folded Reload
	v_and_b32_e32 v13, 8, v62
	s_waitcnt lgkmcnt(0)
	v_add_co_u32_e32 v4, vcc, v56, v13
	v_addc_co_u32_e32 v5, vcc, 0, v57, vcc
	s_waitcnt vmcnt(0)
	v_add_co_u32_e32 v0, vcc, 2, v0
	s_waitcnt vmcnt(0)
	v_addc_co_u32_e32 v1, vcc, 0, v1, vcc
	v_cmp_lt_u64_e32 vcc, v[4:5], v[0:1]
	s_and_saveexec_b64 s[40:41], vcc
	s_cbranch_execz .LBB10_1446
; %bb.1435:                             ;   in Loop: Header=BB10_1431 Depth=3
	v_and_b32_e32 v4, 64, v62
	s_mov_b32 s52, 0
	v_cmp_eq_u32_e32 vcc, 0, v4
	s_mov_b64 s[90:91], 0
                                        ; implicit-def: $sgpr92_sgpr93
                                        ; implicit-def: $sgpr94_sgpr95
                                        ; implicit-def: $sgpr30_sgpr31
	s_branch .LBB10_1439
.LBB10_1436:                            ;   in Loop: Header=BB10_1439 Depth=4
	s_waitcnt vmcnt(0) lgkmcnt(0)
	v_add_co_u32_e64 v7, s[26:27], v56, v13
	v_addc_co_u32_e64 v8, s[26:27], 0, v57, s[26:27]
	v_cmp_ge_u64_e64 s[26:27], v[7:8], v[0:1]
	s_or_b64 s[38:39], s[38:39], exec
	s_orn2_b64 s[36:37], s[26:27], exec
.LBB10_1437:                            ;   in Loop: Header=BB10_1439 Depth=4
	s_or_b64 exec, exec, s[50:51]
	s_andn2_b64 s[26:27], s[30:31], exec
	s_and_b64 s[30:31], s[38:39], exec
	s_or_b64 s[30:31], s[26:27], s[30:31]
	s_andn2_b64 s[26:27], s[94:95], exec
	s_and_b64 s[94:95], s[36:37], exec
	s_or_b64 s[94:95], s[26:27], s[94:95]
.LBB10_1438:                            ;   in Loop: Header=BB10_1439 Depth=4
	s_or_b64 exec, exec, s[34:35]
	s_and_b64 s[26:27], exec, s[94:95]
	s_or_b64 s[90:91], s[26:27], s[90:91]
	s_andn2_b64 s[26:27], s[92:93], exec
	s_and_b64 s[92:93], s[30:31], exec
	s_or_b64 s[92:93], s[26:27], s[92:93]
	s_andn2_b64 exec, exec, s[90:91]
	s_cbranch_execz .LBB10_1443
.LBB10_1439:                            ;   Parent Loop BB10_47 Depth=1
                                        ;     Parent Loop BB10_1428 Depth=2
                                        ;       Parent Loop BB10_1431 Depth=3
                                        ; =>      This Inner Loop Header: Depth=4
	s_sleep 1
	s_waitcnt vmcnt(0) lgkmcnt(0)
	flat_load_dwordx2 v[56:57], v[40:41] glc
	s_or_b64 s[30:31], s[30:31], exec
	s_or_b64 s[94:95], s[94:95], exec
                                        ; implicit-def: $vgpr4
	s_and_saveexec_b64 s[34:35], vcc
	s_cbranch_execz .LBB10_1438
; %bb.1440:                             ;   in Loop: Header=BB10_1439 Depth=4
	s_cmpk_lt_i32 s52, 0x270f
	s_cselect_b64 s[48:49], -1, 0
	s_cmpk_gt_i32 s52, 0x270e
	s_mov_b64 s[36:37], -1
	s_cbranch_scc0 .LBB10_1442
; %bb.1441:                             ;   in Loop: Header=BB10_1439 Depth=4
	s_trap 2
	ds_read_b64 v[4:5], v0
	s_andn2_b64 s[48:49], s[48:49], exec
	s_mov_b32 s52, 0
	s_mov_b64 s[38:39], 0
	s_waitcnt vmcnt(0) lgkmcnt(0)
	flat_load_dword v4, v[4:5] glc
	s_waitcnt vmcnt(0) lgkmcnt(0)
	buffer_wbinvl1_vol
	v_cmp_eq_u32_e64 s[26:27], 0, v4
	s_and_b64 s[26:27], s[26:27], exec
	s_or_b64 s[48:49], s[48:49], s[26:27]
	s_and_saveexec_b64 s[50:51], s[48:49]
	s_cbranch_execz .LBB10_1437
	s_branch .LBB10_1436
.LBB10_1442:                            ;   in Loop: Header=BB10_1439 Depth=4
	s_add_i32 s52, s52, 1
	s_mov_b64 s[38:39], -1
                                        ; implicit-def: $vgpr4
	s_and_saveexec_b64 s[50:51], s[48:49]
	s_cbranch_execz .LBB10_1437
	s_branch .LBB10_1436
.LBB10_1443:                            ;   in Loop: Header=BB10_1431 Depth=3
	s_or_b64 exec, exec, s[90:91]
	s_xor_b64 s[26:27], s[92:93], -1
	s_and_saveexec_b64 s[90:91], s[26:27]
	s_xor_b64 s[26:27], exec, s[90:91]
	s_cbranch_execz .LBB10_1445
; %bb.1444:                             ;   in Loop: Header=BB10_1431 Depth=3
	v_or_b32_e32 v62, 64, v62
	s_waitcnt lgkmcnt(0)
	ds_write_b32 v0, v4
	s_trap 2
.LBB10_1445:                            ;   in Loop: Header=BB10_1431 Depth=3
	s_or_b64 exec, exec, s[26:27]
.LBB10_1446:                            ;   in Loop: Header=BB10_1431 Depth=3
	s_or_b64 exec, exec, s[40:41]
	v_and_b32_e32 v4, 0x108, v62
	v_cmp_ne_u32_e32 vcc, s67, v4
	;;#ASMSTART
	s_wakeup
	;;#ASMEND
                                        ; implicit-def: $vgpr8_vgpr9
	s_and_saveexec_b64 s[26:27], vcc
	s_xor_b64 s[26:27], exec, s[26:27]
	s_cbranch_execz .LBB10_1448
; %bb.1447:                             ;   in Loop: Header=BB10_1431 Depth=3
	buffer_load_dword v4, off, s[0:3], s33 offset:60 ; 4-byte Folded Reload
	buffer_load_dword v5, off, s[0:3], s33 offset:64 ; 4-byte Folded Reload
	v_mov_b32_e32 v9, v2
	s_waitcnt vmcnt(0)
	v_and_b32_e32 v8, 7, v4
                                        ; implicit-def: $vgpr4_vgpr5
                                        ; kill: killed $vgpr4_vgpr5
.LBB10_1448:                            ;   in Loop: Header=BB10_1431 Depth=3
	s_andn2_saveexec_b64 s[26:27], s[26:27]
	s_cbranch_execz .LBB10_1450
; %bb.1449:                             ;   in Loop: Header=BB10_1431 Depth=3
	buffer_load_dword v4, off, s[0:3], s33 offset:60 ; 4-byte Folded Reload
	buffer_load_dword v5, off, s[0:3], s33 offset:64 ; 4-byte Folded Reload
	v_mov_b32_e32 v9, v2
	s_waitcnt vmcnt(0)
	v_and_b32_e32 v8, 7, v4
	v_mad_u64_u32 v[10:11], s[40:41], v8, 24, v[42:43]
	v_ashrrev_i32_e32 v4, 31, v3
	v_lshlrev_b64 v[4:5], 1, v[3:4]
	flat_store_dwordx2 v[10:11], v[4:5] offset:8
.LBB10_1450:                            ;   in Loop: Header=BB10_1431 Depth=3
	s_or_b64 exec, exec, s[26:27]
	v_and_b32_e32 v4, 0x100, v62
	v_cmp_ne_u32_e32 vcc, 0, v4
	s_mov_b64 s[26:27], -1
                                        ; implicit-def: $vgpr4_vgpr5
	s_and_saveexec_b64 s[40:41], vcc
	s_cbranch_execz .LBB10_1454
; %bb.1451:                             ;   in Loop: Header=BB10_1431 Depth=3
	v_mad_u64_u32 v[10:11], s[26:27], v8, 24, v[42:43]
	v_mov_b32_e32 v4, v11
	v_mad_u64_u32 v[4:5], s[26:27], v9, 24, v[4:5]
	v_mov_b32_e32 v11, v4
	flat_load_dword v4, v[10:11]
	s_waitcnt vmcnt(0) lgkmcnt(0)
	v_cmp_ne_u32_e32 vcc, 1, v4
	v_cmp_eq_u32_e64 s[26:27], 1, v4
                                        ; implicit-def: $vgpr4_vgpr5
	s_and_saveexec_b64 s[90:91], s[26:27]
	s_cbranch_execz .LBB10_1453
; %bb.1452:                             ;   in Loop: Header=BB10_1431 Depth=3
	flat_load_dword v4, v[10:11] offset:4 glc
	s_waitcnt vmcnt(0) lgkmcnt(0)
	v_ashrrev_i32_e32 v5, 31, v4
	v_lshrrev_b64 v[4:5], 1, v[4:5]
.LBB10_1453:                            ;   in Loop: Header=BB10_1431 Depth=3
	s_or_b64 exec, exec, s[90:91]
	s_orn2_b64 s[26:27], vcc, exec
.LBB10_1454:                            ;   in Loop: Header=BB10_1431 Depth=3
	s_or_b64 exec, exec, s[40:41]
	s_and_saveexec_b64 s[40:41], s[26:27]
	s_cbranch_execz .LBB10_1456
; %bb.1455:                             ;   in Loop: Header=BB10_1431 Depth=3
	v_mul_lo_u32 v6, v9, v54
	v_mul_lo_u32 v7, v8, v59
	v_mad_u64_u32 v[4:5], s[26:27], v8, v54, 0
	v_add3_u32 v5, v5, v7, v6
.LBB10_1456:                            ;   in Loop: Header=BB10_1431 Depth=3
	s_or_b64 exec, exec, s[40:41]
	v_cmp_eq_u32_e32 vcc, 0, v13
	v_mov_b32_e32 v6, 0xd0
	v_mov_b32_e32 v7, 0x88
	v_cndmask_b32_e32 v6, v6, v7, vcc
	buffer_load_dword v7, off, s[0:3], s33 offset:84 ; 4-byte Folded Reload
	buffer_load_dword v8, off, s[0:3], s33 offset:88 ; 4-byte Folded Reload
	v_lshlrev_b64 v[4:5], 1, v[4:5]
	v_add_u32_e32 v6, v0, v6
	s_waitcnt vmcnt(0)
	v_add_co_u32_e32 v4, vcc, v7, v4
	v_addc_co_u32_e32 v5, vcc, v8, v5, vcc
	ds_write_b64 v6, v[4:5] offset:584
	v_and_b32_e32 v4, 0x2000, v62
	v_cmp_ne_u32_e32 vcc, 0, v4
	s_and_saveexec_b64 s[26:27], vcc
	s_cbranch_execz .LBB10_1458
; %bb.1457:                             ;   in Loop: Header=BB10_1431 Depth=3
	ds_read_b64 v[4:5], v0 offset:872
	s_waitcnt lgkmcnt(0)
	v_add_co_u32_e32 v4, vcc, 1, v4
	v_addc_co_u32_e32 v5, vcc, 0, v5, vcc
	ds_write_b64 v0, v[4:5] offset:872
.LBB10_1458:                            ;   in Loop: Header=BB10_1431 Depth=3
	s_or_b64 exec, exec, s[26:27]
	buffer_store_dword v0, off, s[0:3], s33 offset:60 ; 4-byte Folded Spill
	s_nop 0
	buffer_store_dword v1, off, s[0:3], s33 offset:64 ; 4-byte Folded Spill
.LBB10_1459:                            ;   in Loop: Header=BB10_1431 Depth=3
	s_or_b64 exec, exec, s[28:29]
	s_and_saveexec_b64 s[26:27], s[10:11]
	s_cbranch_execz .LBB10_1478
; %bb.1460:                             ;   in Loop: Header=BB10_1431 Depth=3
	s_and_saveexec_b64 s[28:29], s[60:61]
	s_xor_b64 s[28:29], exec, s[28:29]
	s_cbranch_execz .LBB10_1475
; %bb.1461:                             ;   in Loop: Header=BB10_1431 Depth=3
	s_and_saveexec_b64 s[40:41], s[16:17]
	s_cbranch_execz .LBB10_1474
; %bb.1462:                             ;   in Loop: Header=BB10_1431 Depth=3
	s_mov_b64 s[92:93], exec
	v_mbcnt_lo_u32_b32 v0, s92, 0
	v_mbcnt_hi_u32_b32 v0, s93, v0
	v_cmp_eq_u32_e32 vcc, 0, v0
	s_waitcnt vmcnt(0) lgkmcnt(0)
	buffer_wbinvl1_vol
	s_and_saveexec_b64 s[90:91], vcc
	s_cbranch_execz .LBB10_1464
; %bb.1463:                             ;   in Loop: Header=BB10_1431 Depth=3
	s_bcnt1_i32_b64 s92, s[92:93]
	v_mov_b32_e32 v0, s92
	v_mov_b32_e32 v1, v2
	ds_add_u64 v0, v[0:1]
	s_trap 2
.LBB10_1464:                            ;   in Loop: Header=BB10_1431 Depth=3
	s_or_b64 exec, exec, s[90:91]
	s_trap 2
	ds_read_b64 v[0:1], v0
	s_waitcnt lgkmcnt(0)
	v_add_co_u32_e32 v46, vcc, v46, v44
	v_addc_co_u32_e32 v47, vcc, 0, v47, vcc
	v_cmp_lt_u64_e32 vcc, v[0:1], v[46:47]
	s_and_saveexec_b64 s[90:91], vcc
	s_cbranch_execz .LBB10_1473
; %bb.1465:                             ;   in Loop: Header=BB10_1431 Depth=3
	s_mov_b32 s38, 0
	s_mov_b64 s[92:93], 0
                                        ; implicit-def: $sgpr94_sgpr95
                                        ; implicit-def: $sgpr30_sgpr31
	s_branch .LBB10_1467
.LBB10_1466:                            ;   in Loop: Header=BB10_1467 Depth=4
	s_or_b64 exec, exec, s[36:37]
	s_and_b64 vcc, exec, vcc
	s_or_b64 s[92:93], vcc, s[92:93]
	s_andn2_b64 s[94:95], s[94:95], exec
	s_and_b64 vcc, s[30:31], exec
	s_or_b64 s[94:95], s[94:95], vcc
	s_andn2_b64 exec, exec, s[92:93]
	s_cbranch_execz .LBB10_1471
.LBB10_1467:                            ;   Parent Loop BB10_47 Depth=1
                                        ;     Parent Loop BB10_1428 Depth=2
                                        ;       Parent Loop BB10_1431 Depth=3
                                        ; =>      This Inner Loop Header: Depth=4
	s_add_i32 s38, s38, 1
	s_cmpk_lg_i32 s38, 0x2710
	s_cselect_b64 s[34:35], -1, 0
	s_and_b64 vcc, exec, s[34:35]
	s_cbranch_vccz .LBB10_1469
; %bb.1468:                             ;   in Loop: Header=BB10_1467 Depth=4
	s_mov_b64 vcc, -1
	s_or_b64 s[30:31], s[30:31], exec
	s_and_saveexec_b64 s[36:37], s[34:35]
	s_cbranch_execz .LBB10_1466
	s_branch .LBB10_1470
.LBB10_1469:                            ;   in Loop: Header=BB10_1467 Depth=4
	s_trap 2
	ds_read_b64 v[0:1], v0
	s_andn2_b64 s[34:35], s[34:35], exec
	s_mov_b32 s38, 0
	s_waitcnt lgkmcnt(0)
	flat_load_dword v0, v[0:1] glc
	s_waitcnt vmcnt(0) lgkmcnt(0)
	buffer_wbinvl1_vol
	v_cmp_eq_u32_e32 vcc, 0, v0
	s_and_b64 vcc, vcc, exec
	s_or_b64 s[34:35], s[34:35], vcc
	s_mov_b64 vcc, -1
	s_or_b64 s[30:31], s[30:31], exec
	s_and_saveexec_b64 s[36:37], s[34:35]
	s_cbranch_execz .LBB10_1466
.LBB10_1470:                            ;   in Loop: Header=BB10_1467 Depth=4
	s_sleep 1
	s_trap 2
	ds_read_b64 v[0:1], v0
	s_waitcnt lgkmcnt(0)
	s_andn2_b64 s[30:31], s[30:31], exec
	v_cmp_ge_u64_e32 vcc, v[0:1], v[46:47]
	s_orn2_b64 vcc, vcc, exec
	s_branch .LBB10_1466
.LBB10_1471:                            ;   in Loop: Header=BB10_1431 Depth=3
	s_or_b64 exec, exec, s[92:93]
	s_and_saveexec_b64 s[92:93], s[94:95]
	s_xor_b64 s[92:93], exec, s[92:93]
	s_cbranch_execz .LBB10_1473
; %bb.1472:                             ;   in Loop: Header=BB10_1431 Depth=3
	v_mov_b32_e32 v0, 1
	ds_write_b32 v0, v0
	s_trap 2
.LBB10_1473:                            ;   in Loop: Header=BB10_1431 Depth=3
	s_or_b64 exec, exec, s[90:91]
	;;#ASMSTART
	s_wakeup
	;;#ASMEND
.LBB10_1474:                            ;   in Loop: Header=BB10_1431 Depth=3
	s_or_b64 exec, exec, s[40:41]
.LBB10_1475:                            ;   in Loop: Header=BB10_1431 Depth=3
	s_andn2_saveexec_b64 s[28:29], s[28:29]
	s_cbranch_execz .LBB10_1477
; %bb.1476:                             ;   in Loop: Header=BB10_1431 Depth=3
	s_waitcnt vmcnt(0) lgkmcnt(0)
	buffer_wbinvl1_vol
	s_barrier
.LBB10_1477:                            ;   in Loop: Header=BB10_1431 Depth=3
	s_or_b64 exec, exec, s[28:29]
.LBB10_1478:                            ;   in Loop: Header=BB10_1431 Depth=3
	s_or_b64 exec, exec, s[26:27]
	s_trap 2
	ds_read_b32 v0, v0
	v_and_b32_e32 v1, 0x4000, v62
	v_cmp_ne_u32_e32 vcc, 0, v1
	s_xor_b64 s[26:27], s[6:7], -1
	s_and_b64 s[28:29], s[26:27], vcc
	s_and_saveexec_b64 s[26:27], s[28:29]
	s_cbranch_execz .LBB10_1497
; %bb.1479:                             ;   in Loop: Header=BB10_1431 Depth=3
	s_and_saveexec_b64 s[28:29], s[60:61]
	s_xor_b64 s[28:29], exec, s[28:29]
	s_cbranch_execz .LBB10_1494
; %bb.1480:                             ;   in Loop: Header=BB10_1431 Depth=3
	s_and_saveexec_b64 s[40:41], s[16:17]
	s_cbranch_execz .LBB10_1493
; %bb.1481:                             ;   in Loop: Header=BB10_1431 Depth=3
	s_mov_b64 s[92:93], exec
	v_mbcnt_lo_u32_b32 v1, s92, 0
	v_mbcnt_hi_u32_b32 v1, s93, v1
	v_cmp_eq_u32_e32 vcc, 0, v1
	s_waitcnt vmcnt(0) lgkmcnt(0)
	buffer_wbinvl1_vol
	s_and_saveexec_b64 s[90:91], vcc
	s_cbranch_execz .LBB10_1483
; %bb.1482:                             ;   in Loop: Header=BB10_1431 Depth=3
	s_bcnt1_i32_b64 s92, s[92:93]
	v_mov_b32_e32 v4, s92
	v_mov_b32_e32 v5, v2
	ds_add_u64 v0, v[4:5]
	s_trap 2
.LBB10_1483:                            ;   in Loop: Header=BB10_1431 Depth=3
	s_or_b64 exec, exec, s[90:91]
	s_trap 2
	ds_read_b64 v[4:5], v0
	s_waitcnt lgkmcnt(0)
	v_add_co_u32_e32 v46, vcc, v46, v44
	v_addc_co_u32_e32 v47, vcc, 0, v47, vcc
	v_cmp_lt_u64_e32 vcc, v[4:5], v[46:47]
	s_and_saveexec_b64 s[90:91], vcc
	s_cbranch_execz .LBB10_1492
; %bb.1484:                             ;   in Loop: Header=BB10_1431 Depth=3
	s_mov_b32 s38, 0
	s_mov_b64 s[92:93], 0
                                        ; implicit-def: $sgpr94_sgpr95
                                        ; implicit-def: $sgpr30_sgpr31
	s_branch .LBB10_1486
.LBB10_1485:                            ;   in Loop: Header=BB10_1486 Depth=4
	s_or_b64 exec, exec, s[36:37]
	s_and_b64 vcc, exec, vcc
	s_or_b64 s[92:93], vcc, s[92:93]
	s_andn2_b64 s[94:95], s[94:95], exec
	s_and_b64 vcc, s[30:31], exec
	s_or_b64 s[94:95], s[94:95], vcc
	s_andn2_b64 exec, exec, s[92:93]
	s_cbranch_execz .LBB10_1490
.LBB10_1486:                            ;   Parent Loop BB10_47 Depth=1
                                        ;     Parent Loop BB10_1428 Depth=2
                                        ;       Parent Loop BB10_1431 Depth=3
                                        ; =>      This Inner Loop Header: Depth=4
	s_add_i32 s38, s38, 1
	s_cmpk_lg_i32 s38, 0x2710
	s_cselect_b64 s[34:35], -1, 0
	s_and_b64 vcc, exec, s[34:35]
	s_cbranch_vccz .LBB10_1488
; %bb.1487:                             ;   in Loop: Header=BB10_1486 Depth=4
	s_mov_b64 vcc, -1
	s_or_b64 s[30:31], s[30:31], exec
	s_and_saveexec_b64 s[36:37], s[34:35]
	s_cbranch_execz .LBB10_1485
	s_branch .LBB10_1489
.LBB10_1488:                            ;   in Loop: Header=BB10_1486 Depth=4
	s_trap 2
	ds_read_b64 v[4:5], v0
	s_andn2_b64 s[34:35], s[34:35], exec
	s_mov_b32 s38, 0
	s_waitcnt lgkmcnt(0)
	flat_load_dword v1, v[4:5] glc
	s_waitcnt vmcnt(0) lgkmcnt(0)
	buffer_wbinvl1_vol
	v_cmp_eq_u32_e32 vcc, 0, v1
	s_and_b64 vcc, vcc, exec
	s_or_b64 s[34:35], s[34:35], vcc
	s_mov_b64 vcc, -1
	s_or_b64 s[30:31], s[30:31], exec
	s_and_saveexec_b64 s[36:37], s[34:35]
	s_cbranch_execz .LBB10_1485
.LBB10_1489:                            ;   in Loop: Header=BB10_1486 Depth=4
	s_sleep 1
	s_trap 2
	ds_read_b64 v[4:5], v0
	s_waitcnt lgkmcnt(0)
	s_andn2_b64 s[30:31], s[30:31], exec
	v_cmp_ge_u64_e32 vcc, v[4:5], v[46:47]
	s_orn2_b64 vcc, vcc, exec
	s_branch .LBB10_1485
.LBB10_1490:                            ;   in Loop: Header=BB10_1431 Depth=3
	s_or_b64 exec, exec, s[92:93]
	s_and_saveexec_b64 s[92:93], s[94:95]
	s_xor_b64 s[92:93], exec, s[92:93]
	s_cbranch_execz .LBB10_1492
; %bb.1491:                             ;   in Loop: Header=BB10_1431 Depth=3
	v_mov_b32_e32 v1, 1
	ds_write_b32 v0, v1
	s_trap 2
.LBB10_1492:                            ;   in Loop: Header=BB10_1431 Depth=3
	s_or_b64 exec, exec, s[90:91]
	;;#ASMSTART
	s_wakeup
	;;#ASMEND
.LBB10_1493:                            ;   in Loop: Header=BB10_1431 Depth=3
	s_or_b64 exec, exec, s[40:41]
.LBB10_1494:                            ;   in Loop: Header=BB10_1431 Depth=3
	s_andn2_saveexec_b64 s[28:29], s[28:29]
	s_cbranch_execz .LBB10_1496
; %bb.1495:                             ;   in Loop: Header=BB10_1431 Depth=3
	s_waitcnt vmcnt(0) lgkmcnt(0)
	buffer_wbinvl1_vol
	s_barrier
.LBB10_1496:                            ;   in Loop: Header=BB10_1431 Depth=3
	s_or_b64 exec, exec, s[28:29]
.LBB10_1497:                            ;   in Loop: Header=BB10_1431 Depth=3
	s_or_b64 exec, exec, s[26:27]
	s_trap 2
	s_waitcnt lgkmcnt(0)
	ds_read_b64 v[4:5], v0
	s_waitcnt lgkmcnt(0)
	v_cmp_eq_u64_e32 vcc, 0, v[4:5]
	s_cbranch_vccnz .LBB10_1506
; %bb.1498:                             ;   in Loop: Header=BB10_1431 Depth=3
	s_trap 2
	ds_read_b64 v[16:17], v0
	s_waitcnt lgkmcnt(0)
	v_cmp_eq_u64_e32 vcc, 0, v[16:17]
	s_cbranch_vccnz .LBB10_1506
; %bb.1499:                             ;   in Loop: Header=BB10_1431 Depth=3
	v_cmp_eq_u32_e32 vcc, 0, v0
	s_trap 2
	ds_read_b64 v[0:1], v0
	v_cndmask_b32_e32 v13, 0, v3, vcc
	v_lshlrev_b32_e32 v21, 1, v13
	s_waitcnt lgkmcnt(0)
	v_cmp_ne_u64_e32 vcc, 0, v[0:1]
	s_cbranch_vccz .LBB10_1511
; %bb.1500:                             ;   in Loop: Header=BB10_1431 Depth=3
	s_mov_b64 s[28:29], -1
	s_and_saveexec_b64 s[26:27], s[20:21]
	s_cbranch_execz .LBB10_1502
; %bb.1501:                             ;   in Loop: Header=BB10_1431 Depth=3
	ds_read_b32 v6, v0 offset:720
	s_waitcnt lgkmcnt(0)
	v_and_b32_e32 v6, 15, v6
	v_cmp_eq_u32_e32 vcc, 0, v6
	s_orn2_b64 s[28:29], vcc, exec
.LBB10_1502:                            ;   in Loop: Header=BB10_1431 Depth=3
	s_or_b64 exec, exec, s[26:27]
	s_and_saveexec_b64 s[26:27], s[22:23]
	s_cbranch_execz .LBB10_1504
; %bb.1503:                             ;   in Loop: Header=BB10_1431 Depth=3
	ds_read_b32 v6, v0 offset:784
	s_waitcnt lgkmcnt(0)
	v_and_b32_e32 v6, 15, v6
	v_cmp_eq_u32_e32 vcc, 0, v6
	s_and_b64 s[40:41], s[28:29], vcc
	s_andn2_b64 s[28:29], s[28:29], exec
	s_and_b64 s[40:41], s[40:41], exec
	s_or_b64 s[28:29], s[28:29], s[40:41]
.LBB10_1504:                            ;   in Loop: Header=BB10_1431 Depth=3
	s_or_b64 exec, exec, s[26:27]
	s_xor_b64 s[28:29], s[28:29], -1
	v_cndmask_b32_e64 v6, 0, 1, s[28:29]
	s_mov_b64 s[26:27], -1
	v_mov_b32_e32 v22, 0
	v_cmp_ne_u32_e32 vcc, 0, v6
	v_mov_b32_e32 v23, v21
	v_mov_b32_e32 v24, v55
	s_cbranch_vccz .LBB10_1513
; %bb.1505:                             ;   in Loop: Header=BB10_1431 Depth=3
	s_and_saveexec_b64 s[40:41], s[26:27]
	s_cbranch_execnz .LBB10_1526
	s_branch .LBB10_1536
.LBB10_1506:                            ;   in Loop: Header=BB10_1431 Depth=3
	s_mov_b64 s[26:27], 0
	s_and_saveexec_b64 s[28:29], s[10:11]
	s_cbranch_execnz .LBB10_1563
.LBB10_1507:                            ;   in Loop: Header=BB10_1431 Depth=3
	s_or_b64 exec, exec, s[28:29]
                                        ; implicit-def: $vgpr0
	s_and_saveexec_b64 s[28:29], s[24:25]
	s_xor_b64 s[28:29], exec, s[28:29]
	s_cbranch_execz .LBB10_1581
.LBB10_1508:                            ;   in Loop: Header=BB10_1431 Depth=3
	v_and_b32_e32 v1, 16, v62
	v_cmp_ne_u32_e32 vcc, 0, v1
	v_and_b32_e32 v0, 16, v62
	s_and_b64 s[40:41], vcc, s[26:27]
	s_and_saveexec_b64 s[26:27], s[40:41]
	s_cbranch_execz .LBB10_1510
; %bb.1509:                             ;   in Loop: Header=BB10_1431 Depth=3
	v_mov_b32_e32 v0, 1
	s_waitcnt vmcnt(0) lgkmcnt(0)
	buffer_wbinvl1_vol
.LBB10_1510:                            ;   in Loop: Header=BB10_1431 Depth=3
	s_or_b64 exec, exec, s[26:27]
	s_andn2_saveexec_b64 s[26:27], s[28:29]
	s_cbranch_execz .LBB10_1600
	s_branch .LBB10_1582
.LBB10_1511:                            ;   in Loop: Header=BB10_1431 Depth=3
	s_cbranch_execnz .LBB10_1537
.LBB10_1512:                            ;   in Loop: Header=BB10_1431 Depth=3
	v_cmp_lt_i32_e64 s[26:27], 0, v13
	s_and_saveexec_b64 s[28:29], s[10:11]
	s_cbranch_execnz .LBB10_1563
	s_branch .LBB10_1507
.LBB10_1513:                            ;   in Loop: Header=BB10_1431 Depth=3
	v_ashrrev_i32_e32 v6, 31, v21
	v_lshrrev_b32_e32 v6, 20, v6
	v_add_u32_e32 v6, v21, v6
	v_ashrrev_i32_e32 v22, 12, v6
	buffer_load_dword v6, off, s[0:3], s33 offset:152 ; 4-byte Folded Reload
	s_waitcnt vmcnt(0)
	v_sub_u32_e32 v26, v22, v6
	v_cmp_lt_i32_e32 vcc, 0, v26
	s_and_saveexec_b64 s[26:27], vcc
	s_cbranch_execz .LBB10_1517
; %bb.1514:                             ;   in Loop: Header=BB10_1431 Depth=3
	buffer_load_dword v6, off, s[0:3], s33 offset:184 ; 4-byte Folded Reload
	s_mov_b64 s[28:29], 0
	s_waitcnt vmcnt(0)
	v_add_co_u32_e32 v8, vcc, v4, v6
	v_addc_co_u32_e32 v9, vcc, 0, v5, vcc
	v_add_co_u32_e32 v10, vcc, v16, v6
	v_addc_co_u32_e32 v11, vcc, 0, v17, vcc
	;; [unrolled: 2-line block ×3, first 2 shown]
.LBB10_1515:                            ;   Parent Loop BB10_47 Depth=1
                                        ;     Parent Loop BB10_1428 Depth=2
                                        ;       Parent Loop BB10_1431 Depth=3
                                        ; =>      This Inner Loop Header: Depth=4
	global_load_dwordx4 v[27:30], v[8:9], off glc slc
	global_load_dwordx4 v[31:34], v[8:9], off offset:1024 glc slc
	global_load_dwordx4 v[35:38], v[8:9], off offset:2048 glc slc
	;; [unrolled: 1-line block ×3, first 2 shown]
	buffer_load_dword v6, off, s[0:3], s33 offset:72 ; 4-byte Folded Reload
	v_sub_u32_e32 v26, v26, v44
	s_waitcnt vmcnt(4)
	global_store_dwordx4 v[10:11], v[27:30], off glc slc
	s_waitcnt vmcnt(4)
	global_store_dwordx4 v[10:11], v[31:34], off offset:1024 glc slc
	s_waitcnt vmcnt(4)
	global_store_dwordx4 v[10:11], v[35:38], off offset:2048 glc slc
	;; [unrolled: 2-line block ×3, first 2 shown]
	global_store_dwordx4 v[18:19], v[27:30], off glc slc
	global_store_dwordx4 v[18:19], v[31:34], off offset:1024 glc slc
	global_store_dwordx4 v[18:19], v[35:38], off offset:2048 glc slc
	;; [unrolled: 1-line block ×3, first 2 shown]
	s_waitcnt vmcnt(8)
	v_add_co_u32_e32 v8, vcc, v8, v6
	buffer_load_dword v6, off, s[0:3], s33 offset:72 ; 4-byte Folded Reload
	v_addc_co_u32_e32 v9, vcc, 0, v9, vcc
	v_cmp_gt_i32_e32 vcc, 1, v26
	s_or_b64 s[28:29], vcc, s[28:29]
	s_waitcnt vmcnt(0)
	v_add_co_u32_e32 v10, vcc, v10, v6
	v_addc_co_u32_e32 v11, vcc, 0, v11, vcc
	v_add_co_u32_e32 v18, vcc, v18, v6
	v_addc_co_u32_e32 v19, vcc, 0, v19, vcc
	s_andn2_b64 exec, exec, s[28:29]
	s_cbranch_execnz .LBB10_1515
; %bb.1516:                             ;   in Loop: Header=BB10_1431 Depth=3
	s_or_b64 exec, exec, s[28:29]
.LBB10_1517:                            ;   in Loop: Header=BB10_1431 Depth=3
	s_or_b64 exec, exec, s[26:27]
	v_lshlrev_b32_e32 v25, 12, v22
	v_cmp_ne_u32_e32 vcc, v21, v25
	s_mov_b64 s[26:27], 0
	v_mov_b32_e32 v22, 0
                                        ; implicit-def: $vgpr23
                                        ; implicit-def: $vgpr24
	s_and_saveexec_b64 s[90:91], vcc
	s_cbranch_execz .LBB10_1525
; %bb.1518:                             ;   in Loop: Header=BB10_1431 Depth=3
	buffer_load_dword v8, off, s[0:3], s33 offset:188 ; 4-byte Folded Reload
	v_lshlrev_b32_e32 v7, 6, v26
	v_sub_u32_e32 v6, v21, v25
	s_waitcnt vmcnt(0)
	v_sub_u32_e32 v7, v8, v7
	v_ashrrev_i32_e32 v8, 31, v7
	v_lshrrev_b32_e32 v8, 26, v8
	v_add_u32_e32 v8, v7, v8
	v_ashrrev_i32_e32 v9, 6, v8
	v_and_b32_e32 v8, 0xffffffc0, v8
	v_sub_u32_e32 v24, v7, v8
	v_ashrrev_i32_e32 v8, 31, v6
	v_lshrrev_b32_e32 v8, 22, v8
	v_add_u32_e32 v8, v6, v8
	v_and_b32_e32 v22, 0xfffffc00, v8
	v_lshlrev_b32_e32 v7, 4, v24
	v_sub_u32_e32 v23, v6, v22
	v_lshl_add_u32 v7, v9, 10, v7
	v_ashrrev_i32_e32 v10, 10, v8
	v_cmp_lt_i32_e64 s[26:27], 15, v23
	v_sub_u32_e32 v27, v6, v7
	v_addc_co_u32_e64 v6, vcc, 0, v10, s[26:27]
	v_sub_u32_e32 v26, v6, v9
	v_cmp_lt_i32_e32 vcc, 15, v27
	s_and_saveexec_b64 s[92:93], vcc
	s_cbranch_execz .LBB10_1524
; %bb.1519:                             ;   in Loop: Header=BB10_1431 Depth=3
	v_add_u32_e32 v6, v7, v25
	v_ashrrev_i32_e32 v7, 31, v6
	v_add_co_u32_e32 v18, vcc, v6, v4
	v_addc_co_u32_e32 v19, vcc, v7, v5, vcc
	v_add_co_u32_e32 v28, vcc, v6, v16
	v_addc_co_u32_e32 v29, vcc, v7, v17, vcc
	;; [unrolled: 2-line block ×3, first 2 shown]
	s_mov_b64 s[94:95], 0
.LBB10_1520:                            ;   Parent Loop BB10_47 Depth=1
                                        ;     Parent Loop BB10_1428 Depth=2
                                        ;       Parent Loop BB10_1431 Depth=3
                                        ; =>      This Loop Header: Depth=4
                                        ;           Child Loop BB10_1521 Depth 5
	global_load_dwordx4 v[8:11], v[18:19], off glc slc
	s_mov_b64 s[30:31], -1
	s_mov_b64 s[34:35], 0
	s_waitcnt vmcnt(0)
.LBB10_1521:                            ;   Parent Loop BB10_47 Depth=1
                                        ;     Parent Loop BB10_1428 Depth=2
                                        ;       Parent Loop BB10_1431 Depth=3
                                        ;         Parent Loop BB10_1520 Depth=4
                                        ; =>        This Inner Loop Header: Depth=5
	s_cmp_eq_u32 s34, 1
	s_cselect_b64 s[28:29], -1, 0
	v_cndmask_b32_e64 v7, v29, v31, s[28:29]
	v_cndmask_b32_e64 v6, v28, v30, s[28:29]
	global_store_dwordx4 v[6:7], v[8:11], off glc slc
	v_add_co_u32_e32 v6, vcc, 0x400, v6
	s_cmp_eq_u32 s34, 0
	v_addc_co_u32_e32 v7, vcc, 0, v7, vcc
	s_cselect_b64 vcc, -1, 0
	s_and_b64 s[40:41], exec, s[30:31]
	s_mov_b64 s[34:35], 1
	v_cndmask_b32_e64 v30, v30, v6, s[28:29]
	s_mov_b64 s[30:31], 0
	v_cndmask_b32_e64 v31, v31, v7, s[28:29]
	v_cndmask_b32_e32 v29, v29, v7, vcc
	v_cndmask_b32_e32 v28, v28, v6, vcc
	s_mov_b64 vcc, s[40:41]
	s_cbranch_vccnz .LBB10_1521
; %bb.1522:                             ;   in Loop: Header=BB10_1520 Depth=4
	buffer_load_dword v6, off, s[0:3], s33 offset:120 ; 4-byte Folded Reload
	buffer_load_dword v7, off, s[0:3], s33 offset:124 ; 4-byte Folded Reload
	v_sub_u32_e32 v27, v27, v45
	v_sub_u32_e32 v26, v26, v44
	s_waitcnt vmcnt(1)
	v_add_co_u32_e32 v28, vcc, v28, v6
	s_waitcnt vmcnt(0)
	v_addc_co_u32_e32 v29, vcc, v29, v7, vcc
	v_add_co_u32_e32 v30, vcc, v30, v6
	buffer_load_dword v6, off, s[0:3], s33 offset:128 ; 4-byte Folded Reload
	v_addc_co_u32_e32 v31, vcc, v31, v7, vcc
	s_waitcnt vmcnt(0)
	v_add_co_u32_e32 v18, vcc, v6, v18
	buffer_load_dword v6, off, s[0:3], s33 offset:132 ; 4-byte Folded Reload
	s_waitcnt vmcnt(0)
	v_addc_co_u32_e32 v19, vcc, v6, v19, vcc
	v_cmp_gt_i32_e32 vcc, 16, v27
	s_or_b64 s[94:95], vcc, s[94:95]
	s_andn2_b64 exec, exec, s[94:95]
	s_cbranch_execnz .LBB10_1520
; %bb.1523:                             ;   in Loop: Header=BB10_1431 Depth=3
	s_or_b64 exec, exec, s[94:95]
.LBB10_1524:                            ;   in Loop: Header=BB10_1431 Depth=3
	s_or_b64 exec, exec, s[92:93]
	v_and_b32_e32 v6, 14, v21
	v_cmp_lt_i32_e32 vcc, 0, v26
	v_sub_u32_e32 v7, v23, v6
	v_cndmask_b32_e64 v23, v23, v6, s[26:27]
	v_cndmask_b32_e32 v6, 0, v44, vcc
	v_cndmask_b32_e64 v7, 0, v7, s[26:27]
	v_sub_u32_e32 v6, v6, v26
	v_cmp_ne_u32_e32 vcc, 0, v23
	v_add3_u32 v22, v22, v25, v7
	v_lshl_add_u32 v24, v6, 6, v24
	s_and_b64 s[26:27], vcc, exec
.LBB10_1525:                            ;   in Loop: Header=BB10_1431 Depth=3
	s_or_b64 exec, exec, s[90:91]
	s_and_saveexec_b64 s[40:41], s[26:27]
	s_cbranch_execz .LBB10_1536
.LBB10_1526:                            ;   in Loop: Header=BB10_1431 Depth=3
	v_ashrrev_i32_e32 v6, 31, v24
	v_lshrrev_b32_e32 v6, 26, v6
	v_add_u32_e32 v7, v24, v6
	v_ashrrev_i32_e32 v6, 31, v23
	v_lshrrev_b32_e32 v6, 21, v6
	v_add_u32_e32 v6, v23, v6
	v_ashrrev_i32_e32 v25, 6, v7
	v_ashrrev_i32_e32 v27, 11, v6
	v_sub_u32_e32 v26, v27, v25
	v_cmp_lt_i32_e32 vcc, 0, v26
	s_and_saveexec_b64 s[26:27], vcc
	s_cbranch_execz .LBB10_1530
; %bb.1527:                             ;   in Loop: Header=BB10_1431 Depth=3
	v_and_b32_e32 v6, 0x7fffffc0, v7
	v_sub_u32_e32 v6, v24, v6
	v_lshlrev_b32_e32 v6, 1, v6
	v_lshlrev_b32_e32 v7, 11, v25
	v_add3_u32 v6, v6, v22, v7
	v_ashrrev_i32_e32 v7, 31, v6
	v_add_co_u32_e32 v8, vcc, v6, v16
	v_addc_co_u32_e32 v9, vcc, v7, v17, vcc
	v_add_co_u32_e32 v10, vcc, v6, v0
	v_addc_co_u32_e32 v11, vcc, v7, v1, vcc
	;; [unrolled: 2-line block ×4, first 2 shown]
	s_mov_b64 s[28:29], 0
.LBB10_1528:                            ;   Parent Loop BB10_47 Depth=1
                                        ;     Parent Loop BB10_1428 Depth=2
                                        ;       Parent Loop BB10_1431 Depth=3
                                        ; =>      This Inner Loop Header: Depth=4
	v_add_co_u32_e32 v6, vcc, 0xfffff880, v18
	v_addc_co_u32_e32 v7, vcc, -1, v19, vcc
	flat_load_ushort v28, v[6:7] glc slc
	v_add_co_u32_e32 v6, vcc, 0xfffff900, v18
	v_addc_co_u32_e32 v7, vcc, -1, v19, vcc
	flat_load_ushort v29, v[6:7] glc slc
	;; [unrolled: 3-line block ×15, first 2 shown]
	s_nop 0
	flat_load_ushort v6, v[18:19] glc slc
	v_sub_u32_e32 v26, v26, v44
	s_waitcnt vmcnt(0) lgkmcnt(0)
	flat_store_short v[8:9], v28 glc slc
	flat_store_short v[8:9], v29 offset:128 glc slc
	flat_store_short v[8:9], v30 offset:256 glc slc
	;; [unrolled: 1-line block ×15, first 2 shown]
	flat_store_short v[10:11], v28 glc slc
	flat_store_short v[10:11], v29 offset:128 glc slc
	flat_store_short v[10:11], v30 offset:256 glc slc
	;; [unrolled: 1-line block ×15, first 2 shown]
	v_add_co_u32_e32 v8, vcc, v8, v58
	v_addc_co_u32_e32 v9, vcc, 0, v9, vcc
	v_add_co_u32_e32 v10, vcc, v10, v58
	v_addc_co_u32_e32 v11, vcc, 0, v11, vcc
	;; [unrolled: 2-line block ×3, first 2 shown]
	v_cmp_gt_i32_e32 vcc, 1, v26
	s_or_b64 s[28:29], vcc, s[28:29]
	s_andn2_b64 exec, exec, s[28:29]
	s_cbranch_execnz .LBB10_1528
; %bb.1529:                             ;   in Loop: Header=BB10_1431 Depth=3
	s_or_b64 exec, exec, s[28:29]
.LBB10_1530:                            ;   in Loop: Header=BB10_1431 Depth=3
	s_or_b64 exec, exec, s[26:27]
	v_lshlrev_b32_e32 v7, 11, v27
	v_cmp_ne_u32_e32 vcc, v23, v7
	s_and_b64 exec, exec, vcc
	s_cbranch_execz .LBB10_1536
; %bb.1531:                             ;   in Loop: Header=BB10_1431 Depth=3
	v_lshlrev_b32_e32 v6, 6, v25
	v_sub_u32_e32 v6, v24, v6
	v_lshlrev_b32_e32 v8, 6, v26
	v_sub_u32_e32 v6, v6, v8
	v_ashrrev_i32_e32 v8, 31, v6
	v_lshrrev_b32_e32 v8, 26, v8
	v_add_u32_e32 v8, v6, v8
	v_and_b32_e32 v9, 0x7fffffc0, v8
	v_sub_u32_e32 v6, v6, v9
	v_lshlrev_b32_e32 v8, 1, v8
	v_and_b32_e32 v8, 0xffffff80, v8
	v_lshlrev_b32_e32 v6, 1, v6
	v_add3_u32 v7, v8, v6, v7
	v_sub_u32_e32 v10, v23, v7
	v_cmp_lt_i32_e32 vcc, 1, v10
	s_and_b64 exec, exec, vcc
	s_cbranch_execz .LBB10_1536
; %bb.1532:                             ;   in Loop: Header=BB10_1431 Depth=3
	v_add_u32_e32 v6, v7, v22
	v_ashrrev_i32_e32 v7, 31, v6
	v_add_co_u32_e32 v8, vcc, v6, v4
	v_addc_co_u32_e32 v9, vcc, v7, v5, vcc
	v_add_co_u32_e32 v11, vcc, v6, v16
	v_addc_co_u32_e32 v18, vcc, v7, v17, vcc
	v_add_co_u32_e32 v0, vcc, v6, v0
	v_addc_co_u32_e32 v1, vcc, v7, v1, vcc
	s_mov_b64 s[90:91], 0
.LBB10_1533:                            ;   Parent Loop BB10_47 Depth=1
                                        ;     Parent Loop BB10_1428 Depth=2
                                        ;       Parent Loop BB10_1431 Depth=3
                                        ; =>      This Loop Header: Depth=4
                                        ;           Child Loop BB10_1534 Depth 5
	flat_load_ushort v19, v[8:9] glc slc
	s_mov_b64 s[92:93], -1
	s_mov_b64 s[94:95], 0
	s_waitcnt vmcnt(0)
.LBB10_1534:                            ;   Parent Loop BB10_47 Depth=1
                                        ;     Parent Loop BB10_1428 Depth=2
                                        ;       Parent Loop BB10_1431 Depth=3
                                        ;         Parent Loop BB10_1533 Depth=4
                                        ; =>        This Inner Loop Header: Depth=5
	s_cmp_eq_u32 s94, 1
	s_cselect_b64 s[26:27], -1, 0
	v_cndmask_b32_e64 v7, v18, v1, s[26:27]
	v_cndmask_b32_e64 v6, v11, v0, s[26:27]
	s_waitcnt lgkmcnt(0)
	flat_store_short v[6:7], v19 glc slc
	v_add_co_u32_e32 v6, vcc, 0x80, v6
	s_cmp_eq_u32 s94, 0
	v_addc_co_u32_e32 v7, vcc, 0, v7, vcc
	s_cselect_b64 vcc, -1, 0
	s_and_b64 s[28:29], exec, s[92:93]
	s_mov_b64 s[94:95], 1
	v_cndmask_b32_e64 v0, v0, v6, s[26:27]
	s_mov_b64 s[92:93], 0
	v_cndmask_b32_e64 v1, v1, v7, s[26:27]
	v_cndmask_b32_e32 v18, v18, v7, vcc
	v_cndmask_b32_e32 v11, v11, v6, vcc
	s_mov_b64 vcc, s[28:29]
	s_cbranch_vccnz .LBB10_1534
; %bb.1535:                             ;   in Loop: Header=BB10_1533 Depth=4
	buffer_load_dword v6, off, s[0:3], s33 offset:104 ; 4-byte Folded Reload
	buffer_load_dword v7, off, s[0:3], s33 offset:108 ; 4-byte Folded Reload
	v_sub_u32_e32 v10, v10, v53
	s_waitcnt vmcnt(0)
	v_add_co_u32_e32 v11, vcc, v11, v6
	v_addc_co_u32_e32 v18, vcc, v18, v7, vcc
	v_add_co_u32_e32 v0, vcc, v0, v6
	buffer_load_dword v6, off, s[0:3], s33 offset:112 ; 4-byte Folded Reload
	v_addc_co_u32_e32 v1, vcc, v1, v7, vcc
	v_cmp_gt_i32_e32 vcc, 2, v10
	s_or_b64 s[90:91], vcc, s[90:91]
	s_waitcnt vmcnt(0)
	v_add_co_u32_e32 v8, vcc, v6, v8
	buffer_load_dword v6, off, s[0:3], s33 offset:116 ; 4-byte Folded Reload
	s_waitcnt vmcnt(0)
	v_addc_co_u32_e32 v9, vcc, v6, v9, vcc
	s_andn2_b64 exec, exec, s[90:91]
	s_cbranch_execnz .LBB10_1533
.LBB10_1536:                            ;   in Loop: Header=BB10_1431 Depth=3
	s_or_b64 exec, exec, s[40:41]
	s_branch .LBB10_1512
.LBB10_1537:                            ;   in Loop: Header=BB10_1431 Depth=3
	s_mov_b64 s[26:27], -1
	s_and_saveexec_b64 s[28:29], s[20:21]
	s_cbranch_execz .LBB10_1539
; %bb.1538:                             ;   in Loop: Header=BB10_1431 Depth=3
	ds_read_b32 v0, v0 offset:720
	s_waitcnt lgkmcnt(0)
	v_and_b32_e32 v0, 15, v0
	v_cmp_eq_u32_e32 vcc, 0, v0
	s_orn2_b64 s[26:27], vcc, exec
.LBB10_1539:                            ;   in Loop: Header=BB10_1431 Depth=3
	s_or_b64 exec, exec, s[28:29]
	s_and_saveexec_b64 s[28:29], s[18:19]
	s_cbranch_execz .LBB10_1541
; %bb.1540:                             ;   in Loop: Header=BB10_1431 Depth=3
	ds_read_b32 v0, v0 offset:784
	s_waitcnt lgkmcnt(0)
	v_and_b32_e32 v0, 15, v0
	v_cmp_eq_u32_e32 vcc, 0, v0
	s_and_b64 s[40:41], s[26:27], vcc
	s_andn2_b64 s[26:27], s[26:27], exec
	s_and_b64 s[40:41], s[40:41], exec
	s_or_b64 s[26:27], s[26:27], s[40:41]
.LBB10_1541:                            ;   in Loop: Header=BB10_1431 Depth=3
	s_or_b64 exec, exec, s[28:29]
	s_xor_b64 s[26:27], s[26:27], -1
	v_cndmask_b32_e64 v0, 0, 1, s[26:27]
	s_mov_b64 s[40:41], -1
	v_mov_b32_e32 v10, 0
	v_cmp_ne_u32_e32 vcc, 0, v0
	s_cbranch_vccz .LBB10_1543
; %bb.1542:                             ;   in Loop: Header=BB10_1431 Depth=3
	v_mov_b32_e32 v11, v55
	s_and_saveexec_b64 s[26:27], s[40:41]
	s_cbranch_execnz .LBB10_1554
	s_branch .LBB10_1562
.LBB10_1543:                            ;   in Loop: Header=BB10_1431 Depth=3
	v_ashrrev_i32_e32 v0, 31, v21
	v_lshrrev_b32_e32 v0, 19, v0
	v_add_u32_e32 v0, v21, v0
	v_ashrrev_i32_e32 v10, 13, v0
	buffer_load_dword v0, off, s[0:3], s33 offset:152 ; 4-byte Folded Reload
	s_waitcnt vmcnt(0)
	v_sub_u32_e32 v18, v10, v0
	v_cmp_lt_i32_e32 vcc, 0, v18
	s_and_saveexec_b64 s[28:29], vcc
	s_cbranch_execz .LBB10_1547
; %bb.1544:                             ;   in Loop: Header=BB10_1431 Depth=3
	buffer_store_dword v13, off, s[0:3], s33 offset:144 ; 4-byte Folded Spill
	buffer_load_dword v19, off, s[0:3], s33 offset:216 ; 4-byte Folded Reload
	s_nop 0
	buffer_load_dword v13, off, s[0:3], s33 offset:220 ; 4-byte Folded Reload
	v_mov_b32_e32 v0, v16
	v_mov_b32_e32 v9, v5
	s_mov_b64 s[40:41], 0
	v_mov_b32_e32 v1, v17
	v_mov_b32_e32 v8, v4
	;; [unrolled: 1-line block ×3, first 2 shown]
.LBB10_1545:                            ;   Parent Loop BB10_47 Depth=1
                                        ;     Parent Loop BB10_1428 Depth=2
                                        ;       Parent Loop BB10_1431 Depth=3
                                        ; =>      This Inner Loop Header: Depth=4
	s_waitcnt vmcnt(0)
	v_add_co_u32_e32 v38, vcc, v13, v8
	v_addc_co_u32_e32 v39, vcc, 0, v9, vcc
	global_load_dwordx4 v[22:25], v[38:39], off glc slc
	global_load_dwordx4 v[26:29], v[38:39], off offset:1024 glc slc
	global_load_dwordx4 v[30:33], v[38:39], off offset:2048 glc slc
	global_load_dwordx4 v[34:37], v[38:39], off offset:3072 glc slc
	v_add_co_u32_e32 v38, vcc, s66, v38
	v_addc_co_u32_e32 v39, vcc, 0, v39, vcc
	global_load_dwordx4 v[48:51], v[38:39], off glc slc
	global_load_dwordx4 v[42:45], v[38:39], off offset:1024 glc slc
	global_load_dwordx4 v[58:61], v[38:39], off offset:2048 glc slc
	;; [unrolled: 1-line block ×3, first 2 shown]
	v_add_co_u32_e32 v38, vcc, v13, v0
	v_addc_co_u32_e32 v39, vcc, 0, v1, vcc
	v_add_co_u32_e32 v8, vcc, v8, v19
	v_addc_co_u32_e32 v9, vcc, 0, v9, vcc
	v_sub_u32_e32 v18, v18, v11
	v_add_co_u32_e32 v0, vcc, v0, v19
	v_addc_co_u32_e32 v1, vcc, 0, v1, vcc
	v_cmp_gt_i32_e64 s[26:27], 1, v18
	v_add_co_u32_e32 v6, vcc, s66, v38
	s_or_b64 s[40:41], s[26:27], s[40:41]
	v_addc_co_u32_e32 v7, vcc, 0, v39, vcc
	s_waitcnt vmcnt(0)
	global_store_dwordx4 v[38:39], v[22:25], off glc slc
	global_store_dwordx4 v[38:39], v[26:29], off offset:1024 glc slc
	global_store_dwordx4 v[38:39], v[30:33], off offset:2048 glc slc
	;; [unrolled: 1-line block ×3, first 2 shown]
	global_store_dwordx4 v[6:7], v[48:51], off glc slc
	global_store_dwordx4 v[6:7], v[42:45], off offset:1024 glc slc
	global_store_dwordx4 v[6:7], v[58:61], off offset:2048 glc slc
	;; [unrolled: 1-line block ×3, first 2 shown]
	s_andn2_b64 exec, exec, s[40:41]
	s_cbranch_execnz .LBB10_1545
; %bb.1546:                             ;   in Loop: Header=BB10_1431 Depth=3
	s_or_b64 exec, exec, s[40:41]
	buffer_load_dword v55, off, s[0:3], s33 offset:164 ; 4-byte Folded Reload
	buffer_load_dword v42, off, s[0:3], s33 offset:168 ; 4-byte Folded Reload
	;; [unrolled: 1-line block ×11, first 2 shown]
	s_waitcnt vmcnt(0)
	v_mov_b32_e32 v44, v11
.LBB10_1547:                            ;   in Loop: Header=BB10_1431 Depth=3
	s_or_b64 exec, exec, s[28:29]
	v_lshlrev_b32_e32 v0, 13, v10
	v_cmp_ne_u32_e32 vcc, v21, v0
	s_mov_b64 s[40:41], 0
	v_mov_b32_e32 v10, 0
                                        ; implicit-def: $vgpr11
	s_and_saveexec_b64 s[28:29], vcc
	s_cbranch_execz .LBB10_1553
; %bb.1548:                             ;   in Loop: Header=BB10_1431 Depth=3
	buffer_load_dword v7, off, s[0:3], s33 offset:188 ; 4-byte Folded Reload
	v_lshlrev_b32_e32 v1, 6, v18
	v_sub_u32_e32 v6, v21, v0
	v_ashrrev_i32_e32 v8, 31, v6
	v_lshrrev_b32_e32 v8, 22, v8
	v_add_u32_e32 v8, v6, v8
	v_ashrrev_i32_e32 v18, 10, v8
	v_and_b32_e32 v8, 0xfffffc00, v8
	v_sub_u32_e32 v9, v6, v8
	v_cmp_lt_i32_e32 vcc, 15, v9
	s_waitcnt vmcnt(0)
	v_sub_u32_e32 v1, v7, v1
	v_ashrrev_i32_e32 v7, 31, v1
	v_lshrrev_b32_e32 v7, 26, v7
	v_add_u32_e32 v7, v1, v7
	v_ashrrev_i32_e32 v11, 6, v7
	v_and_b32_e32 v7, 0xffffffc0, v7
	v_sub_u32_e32 v1, v1, v7
	v_lshlrev_b32_e32 v7, 4, v1
	v_lshl_add_u32 v7, v11, 10, v7
	v_sub_u32_e32 v10, v6, v7
	v_addc_co_u32_e64 v6, s[26:27], 0, v18, vcc
	v_sub_u32_e32 v11, v6, v11
	v_cmp_lt_i32_e64 s[26:27], 15, v10
	s_and_saveexec_b64 s[40:41], s[26:27]
	s_cbranch_execz .LBB10_1552
; %bb.1549:                             ;   in Loop: Header=BB10_1431 Depth=3
	v_add_u32_e32 v7, v7, v0
	v_ashrrev_i32_e32 v18, 31, v7
	s_mov_b64 s[90:91], 0
.LBB10_1550:                            ;   Parent Loop BB10_47 Depth=1
                                        ;     Parent Loop BB10_1428 Depth=2
                                        ;       Parent Loop BB10_1431 Depth=3
                                        ; =>      This Inner Loop Header: Depth=4
	v_add_co_u32_e64 v22, s[26:27], v4, v7
	v_addc_co_u32_e64 v23, s[26:27], v5, v18, s[26:27]
	global_load_dwordx4 v[22:25], v[22:23], off glc slc
	v_add_co_u32_e64 v26, s[26:27], v16, v7
	v_addc_co_u32_e64 v27, s[26:27], v17, v18, s[26:27]
	v_add_co_u32_e64 v7, s[26:27], v7, v45
	v_sub_u32_e32 v10, v10, v45
	v_addc_co_u32_e64 v18, s[26:27], 0, v18, s[26:27]
	v_cmp_gt_i32_e64 s[26:27], 16, v10
	v_sub_u32_e32 v11, v11, v44
	s_or_b64 s[90:91], s[26:27], s[90:91]
	s_waitcnt vmcnt(0)
	global_store_dwordx4 v[26:27], v[22:25], off glc slc
	s_andn2_b64 exec, exec, s[90:91]
	s_cbranch_execnz .LBB10_1550
; %bb.1551:                             ;   in Loop: Header=BB10_1431 Depth=3
	s_or_b64 exec, exec, s[90:91]
.LBB10_1552:                            ;   in Loop: Header=BB10_1431 Depth=3
	s_or_b64 exec, exec, s[40:41]
	v_and_b32_e32 v6, 14, v21
	v_sub_u32_e32 v7, v9, v6
	v_cndmask_b32_e32 v7, 0, v7, vcc
	v_cndmask_b32_e32 v21, v9, v6, vcc
	v_cmp_lt_i32_e32 vcc, 0, v11
	v_add3_u32 v10, v8, v0, v7
	v_cndmask_b32_e32 v0, 0, v44, vcc
	v_sub_u32_e32 v0, v0, v11
	v_cmp_ne_u32_e32 vcc, 0, v21
	v_lshl_add_u32 v11, v0, 6, v1
	s_and_b64 s[40:41], vcc, exec
.LBB10_1553:                            ;   in Loop: Header=BB10_1431 Depth=3
	s_or_b64 exec, exec, s[28:29]
	s_and_saveexec_b64 s[26:27], s[40:41]
	s_cbranch_execz .LBB10_1562
.LBB10_1554:                            ;   in Loop: Header=BB10_1431 Depth=3
	v_ashrrev_i32_e32 v0, 31, v11
	v_ashrrev_i32_e32 v1, 31, v21
	v_lshrrev_b32_e32 v0, 26, v0
	v_lshrrev_b32_e32 v1, 21, v1
	v_add_u32_e32 v0, v11, v0
	v_add_u32_e32 v1, v21, v1
	v_ashrrev_i32_e32 v18, 6, v0
	v_ashrrev_i32_e32 v22, 11, v1
	v_sub_u32_e32 v19, v22, v18
	v_cmp_lt_i32_e32 vcc, 0, v19
	s_and_saveexec_b64 s[28:29], vcc
	s_cbranch_execz .LBB10_1558
; %bb.1555:                             ;   in Loop: Header=BB10_1431 Depth=3
	v_and_b32_e32 v0, 0x7fffffc0, v0
	v_sub_u32_e32 v0, v11, v0
	v_lshlrev_b32_e32 v0, 1, v0
	v_lshlrev_b32_e32 v1, 11, v18
	v_add3_u32 v23, v0, v10, v1
	v_mov_b32_e32 v0, v16
	v_mov_b32_e32 v9, v5
	v_ashrrev_i32_e32 v24, 31, v23
	s_mov_b64 s[40:41], 0
	v_mov_b32_e32 v1, v17
	v_mov_b32_e32 v8, v4
.LBB10_1556:                            ;   Parent Loop BB10_47 Depth=1
                                        ;     Parent Loop BB10_1428 Depth=2
                                        ;       Parent Loop BB10_1431 Depth=3
                                        ; =>      This Inner Loop Header: Depth=4
	v_add_co_u32_e32 v6, vcc, v23, v8
	v_addc_co_u32_e32 v7, vcc, v24, v9, vcc
	flat_load_ushort v25, v[6:7] glc slc
	flat_load_ushort v26, v[6:7] offset:128 glc slc
	flat_load_ushort v27, v[6:7] offset:256 glc slc
	;; [unrolled: 1-line block ×15, first 2 shown]
	v_add_co_u32_e32 v6, vcc, v23, v0
	v_addc_co_u32_e32 v7, vcc, v24, v1, vcc
	v_add_co_u32_e32 v8, vcc, v8, v58
	v_addc_co_u32_e32 v9, vcc, 0, v9, vcc
	v_add_co_u32_e32 v0, vcc, v0, v58
	v_sub_u32_e32 v19, v19, v44
	v_addc_co_u32_e32 v1, vcc, 0, v1, vcc
	v_cmp_gt_i32_e32 vcc, 1, v19
	s_or_b64 s[40:41], vcc, s[40:41]
	s_waitcnt vmcnt(0) lgkmcnt(0)
	flat_store_short v[6:7], v25 glc slc
	flat_store_short v[6:7], v26 offset:128 glc slc
	flat_store_short v[6:7], v27 offset:256 glc slc
	;; [unrolled: 1-line block ×15, first 2 shown]
	s_andn2_b64 exec, exec, s[40:41]
	s_cbranch_execnz .LBB10_1556
; %bb.1557:                             ;   in Loop: Header=BB10_1431 Depth=3
	s_or_b64 exec, exec, s[40:41]
.LBB10_1558:                            ;   in Loop: Header=BB10_1431 Depth=3
	s_or_b64 exec, exec, s[28:29]
	v_lshlrev_b32_e32 v0, 11, v22
	v_cmp_ne_u32_e32 vcc, v21, v0
	s_and_b64 exec, exec, vcc
	s_cbranch_execz .LBB10_1562
; %bb.1559:                             ;   in Loop: Header=BB10_1431 Depth=3
	v_lshlrev_b32_e32 v1, 6, v18
	v_sub_u32_e32 v1, v11, v1
	v_lshlrev_b32_e32 v6, 6, v19
	v_sub_u32_e32 v1, v1, v6
	v_ashrrev_i32_e32 v6, 31, v1
	v_lshrrev_b32_e32 v6, 26, v6
	v_add_u32_e32 v6, v1, v6
	v_and_b32_e32 v7, 0x7fffffc0, v6
	v_sub_u32_e32 v1, v1, v7
	v_lshlrev_b32_e32 v6, 1, v6
	v_and_b32_e32 v6, 0xffffff80, v6
	v_lshlrev_b32_e32 v1, 1, v1
	v_add3_u32 v1, v6, v1, v0
	v_sub_u32_e32 v0, v21, v1
	v_cmp_lt_i32_e32 vcc, 1, v0
	s_and_b64 exec, exec, vcc
	s_cbranch_execz .LBB10_1562
; %bb.1560:                             ;   in Loop: Header=BB10_1431 Depth=3
	v_add_u32_e32 v1, v1, v10
	v_ashrrev_i32_e32 v7, 31, v1
	s_mov_b64 s[28:29], 0
.LBB10_1561:                            ;   Parent Loop BB10_47 Depth=1
                                        ;     Parent Loop BB10_1428 Depth=2
                                        ;       Parent Loop BB10_1431 Depth=3
                                        ; =>      This Inner Loop Header: Depth=4
	v_add_co_u32_e32 v8, vcc, v4, v1
	v_addc_co_u32_e32 v9, vcc, v5, v7, vcc
	flat_load_ushort v6, v[8:9] glc slc
	v_add_co_u32_e32 v8, vcc, v16, v1
	v_addc_co_u32_e32 v9, vcc, v17, v7, vcc
	v_add_co_u32_e32 v1, vcc, v1, v53
	v_sub_u32_e32 v0, v0, v53
	v_addc_co_u32_e32 v7, vcc, 0, v7, vcc
	v_cmp_gt_i32_e32 vcc, 2, v0
	s_or_b64 s[28:29], vcc, s[28:29]
	s_waitcnt vmcnt(0) lgkmcnt(0)
	flat_store_short v[8:9], v6 glc slc
	s_andn2_b64 exec, exec, s[28:29]
	s_cbranch_execnz .LBB10_1561
.LBB10_1562:                            ;   in Loop: Header=BB10_1431 Depth=3
	s_or_b64 exec, exec, s[26:27]
	v_cmp_lt_i32_e64 s[26:27], 0, v13
	s_and_saveexec_b64 s[28:29], s[10:11]
	s_cbranch_execz .LBB10_1507
.LBB10_1563:                            ;   in Loop: Header=BB10_1431 Depth=3
	s_and_saveexec_b64 s[40:41], s[60:61]
	s_xor_b64 s[40:41], exec, s[40:41]
	s_cbranch_execz .LBB10_1578
; %bb.1564:                             ;   in Loop: Header=BB10_1431 Depth=3
	s_and_saveexec_b64 s[90:91], s[16:17]
	s_cbranch_execz .LBB10_1577
; %bb.1565:                             ;   in Loop: Header=BB10_1431 Depth=3
	s_mov_b64 s[94:95], exec
	v_mbcnt_lo_u32_b32 v0, s94, 0
	v_mbcnt_hi_u32_b32 v0, s95, v0
	v_cmp_eq_u32_e32 vcc, 0, v0
	s_waitcnt vmcnt(0) lgkmcnt(0)
	buffer_wbinvl1_vol
	s_and_saveexec_b64 s[92:93], vcc
	s_cbranch_execz .LBB10_1567
; %bb.1566:                             ;   in Loop: Header=BB10_1431 Depth=3
	s_bcnt1_i32_b64 s94, s[94:95]
	v_mov_b32_e32 v0, s94
	v_mov_b32_e32 v1, v2
	ds_add_u64 v0, v[0:1]
	s_trap 2
.LBB10_1567:                            ;   in Loop: Header=BB10_1431 Depth=3
	s_or_b64 exec, exec, s[92:93]
	s_trap 2
	ds_read_b64 v[0:1], v0
	s_waitcnt lgkmcnt(0)
	v_add_co_u32_e32 v46, vcc, v46, v44
	v_addc_co_u32_e32 v47, vcc, 0, v47, vcc
	v_cmp_lt_u64_e32 vcc, v[0:1], v[46:47]
	s_and_saveexec_b64 s[92:93], vcc
	s_cbranch_execz .LBB10_1576
; %bb.1568:                             ;   in Loop: Header=BB10_1431 Depth=3
	s_mov_b32 s48, 0
	s_mov_b64 s[94:95], 0
                                        ; implicit-def: $sgpr30_sgpr31
                                        ; implicit-def: $sgpr34_sgpr35
	s_branch .LBB10_1570
.LBB10_1569:                            ;   in Loop: Header=BB10_1570 Depth=4
	s_or_b64 exec, exec, s[38:39]
	s_and_b64 vcc, exec, vcc
	s_or_b64 s[94:95], vcc, s[94:95]
	s_andn2_b64 vcc, s[30:31], exec
	s_and_b64 s[30:31], s[34:35], exec
	s_or_b64 s[30:31], vcc, s[30:31]
	s_andn2_b64 exec, exec, s[94:95]
	s_cbranch_execz .LBB10_1574
.LBB10_1570:                            ;   Parent Loop BB10_47 Depth=1
                                        ;     Parent Loop BB10_1428 Depth=2
                                        ;       Parent Loop BB10_1431 Depth=3
                                        ; =>      This Inner Loop Header: Depth=4
	s_add_i32 s48, s48, 1
	s_cmpk_lg_i32 s48, 0x2710
	s_cselect_b64 s[36:37], -1, 0
	s_and_b64 vcc, exec, s[36:37]
	s_cbranch_vccz .LBB10_1572
; %bb.1571:                             ;   in Loop: Header=BB10_1570 Depth=4
	s_mov_b64 vcc, -1
	s_or_b64 s[34:35], s[34:35], exec
	s_and_saveexec_b64 s[38:39], s[36:37]
	s_cbranch_execz .LBB10_1569
	s_branch .LBB10_1573
.LBB10_1572:                            ;   in Loop: Header=BB10_1570 Depth=4
	s_trap 2
	ds_read_b64 v[0:1], v0
	s_andn2_b64 s[36:37], s[36:37], exec
	s_mov_b32 s48, 0
	s_waitcnt lgkmcnt(0)
	flat_load_dword v0, v[0:1] glc
	s_waitcnt vmcnt(0) lgkmcnt(0)
	buffer_wbinvl1_vol
	v_cmp_eq_u32_e32 vcc, 0, v0
	s_and_b64 vcc, vcc, exec
	s_or_b64 s[36:37], s[36:37], vcc
	s_mov_b64 vcc, -1
	s_or_b64 s[34:35], s[34:35], exec
	s_and_saveexec_b64 s[38:39], s[36:37]
	s_cbranch_execz .LBB10_1569
.LBB10_1573:                            ;   in Loop: Header=BB10_1570 Depth=4
	s_sleep 1
	s_trap 2
	ds_read_b64 v[0:1], v0
	s_waitcnt lgkmcnt(0)
	s_andn2_b64 s[34:35], s[34:35], exec
	v_cmp_ge_u64_e32 vcc, v[0:1], v[46:47]
	s_orn2_b64 vcc, vcc, exec
	s_branch .LBB10_1569
.LBB10_1574:                            ;   in Loop: Header=BB10_1431 Depth=3
	s_or_b64 exec, exec, s[94:95]
	s_and_saveexec_b64 s[94:95], s[30:31]
	s_xor_b64 s[94:95], exec, s[94:95]
	s_cbranch_execz .LBB10_1576
; %bb.1575:                             ;   in Loop: Header=BB10_1431 Depth=3
	v_mov_b32_e32 v0, 1
	ds_write_b32 v0, v0
	s_trap 2
.LBB10_1576:                            ;   in Loop: Header=BB10_1431 Depth=3
	s_or_b64 exec, exec, s[92:93]
	;;#ASMSTART
	s_wakeup
	;;#ASMEND
.LBB10_1577:                            ;   in Loop: Header=BB10_1431 Depth=3
	s_or_b64 exec, exec, s[90:91]
.LBB10_1578:                            ;   in Loop: Header=BB10_1431 Depth=3
	s_andn2_saveexec_b64 s[40:41], s[40:41]
	s_cbranch_execz .LBB10_1580
; %bb.1579:                             ;   in Loop: Header=BB10_1431 Depth=3
	s_waitcnt vmcnt(0) lgkmcnt(0)
	buffer_wbinvl1_vol
	s_barrier
.LBB10_1580:                            ;   in Loop: Header=BB10_1431 Depth=3
	s_or_b64 exec, exec, s[40:41]
	s_or_b64 exec, exec, s[28:29]
                                        ; implicit-def: $vgpr0
	s_and_saveexec_b64 s[28:29], s[24:25]
	s_xor_b64 s[28:29], exec, s[28:29]
	s_cbranch_execnz .LBB10_1508
.LBB10_1581:                            ;   in Loop: Header=BB10_1431 Depth=3
	s_andn2_saveexec_b64 s[26:27], s[28:29]
	s_cbranch_execz .LBB10_1600
.LBB10_1582:                            ;   in Loop: Header=BB10_1431 Depth=3
	s_and_saveexec_b64 s[28:29], s[60:61]
	s_xor_b64 s[28:29], exec, s[28:29]
	s_cbranch_execz .LBB10_1597
; %bb.1583:                             ;   in Loop: Header=BB10_1431 Depth=3
	s_and_saveexec_b64 s[40:41], s[16:17]
	s_cbranch_execz .LBB10_1596
; %bb.1584:                             ;   in Loop: Header=BB10_1431 Depth=3
	s_mov_b64 s[92:93], exec
	v_mbcnt_lo_u32_b32 v0, s92, 0
	v_mbcnt_hi_u32_b32 v0, s93, v0
	v_cmp_eq_u32_e32 vcc, 0, v0
	;;#ASMSTART
	s_waitcnt lgkmcnt(0) vmcnt(0)
	;;#ASMEND
	s_and_saveexec_b64 s[90:91], vcc
	s_cbranch_execz .LBB10_1586
; %bb.1585:                             ;   in Loop: Header=BB10_1431 Depth=3
	s_bcnt1_i32_b64 s92, s[92:93]
	v_mov_b32_e32 v0, s92
	v_mov_b32_e32 v1, v2
	s_waitcnt lgkmcnt(0)
	ds_add_u64 v0, v[0:1]
	s_trap 2
.LBB10_1586:                            ;   in Loop: Header=BB10_1431 Depth=3
	s_or_b64 exec, exec, s[90:91]
	s_trap 2
	ds_read_b64 v[0:1], v0
	s_waitcnt lgkmcnt(0)
	v_add_co_u32_e32 v46, vcc, v46, v44
	v_addc_co_u32_e32 v47, vcc, 0, v47, vcc
	v_cmp_lt_u64_e32 vcc, v[0:1], v[46:47]
	s_and_saveexec_b64 s[90:91], vcc
	s_cbranch_execz .LBB10_1595
; %bb.1587:                             ;   in Loop: Header=BB10_1431 Depth=3
	s_mov_b32 s38, 0
	s_mov_b64 s[92:93], 0
                                        ; implicit-def: $sgpr94_sgpr95
                                        ; implicit-def: $sgpr30_sgpr31
	s_branch .LBB10_1589
.LBB10_1588:                            ;   in Loop: Header=BB10_1589 Depth=4
	s_or_b64 exec, exec, s[36:37]
	s_and_b64 vcc, exec, vcc
	s_or_b64 s[92:93], vcc, s[92:93]
	s_andn2_b64 s[94:95], s[94:95], exec
	s_and_b64 vcc, s[30:31], exec
	s_or_b64 s[94:95], s[94:95], vcc
	s_andn2_b64 exec, exec, s[92:93]
	s_cbranch_execz .LBB10_1593
.LBB10_1589:                            ;   Parent Loop BB10_47 Depth=1
                                        ;     Parent Loop BB10_1428 Depth=2
                                        ;       Parent Loop BB10_1431 Depth=3
                                        ; =>      This Inner Loop Header: Depth=4
	s_add_i32 s38, s38, 1
	s_cmpk_lg_i32 s38, 0x2710
	s_cselect_b64 s[34:35], -1, 0
	s_and_b64 vcc, exec, s[34:35]
	s_cbranch_vccz .LBB10_1591
; %bb.1590:                             ;   in Loop: Header=BB10_1589 Depth=4
	s_mov_b64 vcc, -1
	s_or_b64 s[30:31], s[30:31], exec
	s_and_saveexec_b64 s[36:37], s[34:35]
	s_cbranch_execz .LBB10_1588
	s_branch .LBB10_1592
.LBB10_1591:                            ;   in Loop: Header=BB10_1589 Depth=4
	s_trap 2
	ds_read_b64 v[0:1], v0
	s_andn2_b64 s[34:35], s[34:35], exec
	s_mov_b32 s38, 0
	s_waitcnt vmcnt(0) lgkmcnt(0)
	flat_load_dword v0, v[0:1] glc
	s_waitcnt vmcnt(0) lgkmcnt(0)
	buffer_wbinvl1_vol
	v_cmp_eq_u32_e32 vcc, 0, v0
	s_and_b64 vcc, vcc, exec
	s_or_b64 s[34:35], s[34:35], vcc
	s_mov_b64 vcc, -1
	s_or_b64 s[30:31], s[30:31], exec
	s_and_saveexec_b64 s[36:37], s[34:35]
	s_cbranch_execz .LBB10_1588
.LBB10_1592:                            ;   in Loop: Header=BB10_1589 Depth=4
	s_sleep 1
	s_trap 2
	ds_read_b64 v[0:1], v0
	s_waitcnt lgkmcnt(0)
	s_andn2_b64 s[30:31], s[30:31], exec
	v_cmp_ge_u64_e32 vcc, v[0:1], v[46:47]
	s_orn2_b64 vcc, vcc, exec
	s_branch .LBB10_1588
.LBB10_1593:                            ;   in Loop: Header=BB10_1431 Depth=3
	s_or_b64 exec, exec, s[92:93]
	s_and_saveexec_b64 s[92:93], s[94:95]
	s_xor_b64 s[92:93], exec, s[92:93]
	s_cbranch_execz .LBB10_1595
; %bb.1594:                             ;   in Loop: Header=BB10_1431 Depth=3
	v_mov_b32_e32 v0, 1
	ds_write_b32 v0, v0
	s_trap 2
.LBB10_1595:                            ;   in Loop: Header=BB10_1431 Depth=3
	s_or_b64 exec, exec, s[90:91]
	;;#ASMSTART
	s_wakeup
	;;#ASMEND
.LBB10_1596:                            ;   in Loop: Header=BB10_1431 Depth=3
	s_or_b64 exec, exec, s[40:41]
.LBB10_1597:                            ;   in Loop: Header=BB10_1431 Depth=3
	s_andn2_saveexec_b64 s[28:29], s[28:29]
	s_cbranch_execz .LBB10_1599
; %bb.1598:                             ;   in Loop: Header=BB10_1431 Depth=3
	;;#ASMSTART
	s_waitcnt lgkmcnt(0) vmcnt(0)
	;;#ASMEND
	s_waitcnt vmcnt(0) lgkmcnt(0)
	s_barrier
.LBB10_1599:                            ;   in Loop: Header=BB10_1431 Depth=3
	s_or_b64 exec, exec, s[28:29]
	v_and_b32_e32 v0, 16, v62
.LBB10_1600:                            ;   in Loop: Header=BB10_1431 Depth=3
	s_or_b64 exec, exec, s[26:27]
	v_cmp_ne_u32_e32 vcc, 0, v0
	s_xor_b64 s[26:27], s[12:13], -1
	s_and_b64 s[28:29], vcc, s[26:27]
	s_and_saveexec_b64 s[26:27], s[28:29]
	s_cbranch_execz .LBB10_1602
; %bb.1601:                             ;   in Loop: Header=BB10_1431 Depth=3
	buffer_load_dword v0, off, s[0:3], s33 offset:92 ; 4-byte Folded Reload
	buffer_load_dword v1, off, s[0:3], s33 offset:96 ; 4-byte Folded Reload
	v_mov_b32_e32 v4, 1
	s_waitcnt vmcnt(0)
	flat_store_dword v[0:1], v4
.LBB10_1602:                            ;   in Loop: Header=BB10_1431 Depth=3
	s_or_b64 exec, exec, s[26:27]
	v_and_b32_e32 v0, 48, v62
	v_cmp_ne_u32_e32 vcc, 0, v0
	s_and_saveexec_b64 s[26:27], vcc
	s_cbranch_execz .LBB10_1430
; %bb.1603:                             ;   in Loop: Header=BB10_1431 Depth=3
	buffer_load_dword v0, off, s[0:3], s33 offset:60 ; 4-byte Folded Reload
	buffer_load_dword v1, off, s[0:3], s33 offset:64 ; 4-byte Folded Reload
	s_waitcnt vmcnt(0)
	v_add_co_u32_e32 v0, vcc, 2, v0
	v_addc_co_u32_e32 v1, vcc, 0, v1, vcc
	buffer_store_dword v0, off, s[0:3], s33 offset:60 ; 4-byte Folded Spill
	s_nop 0
	buffer_store_dword v1, off, s[0:3], s33 offset:64 ; 4-byte Folded Spill
	flat_store_dwordx2 v[40:41], v[0:1]
	s_branch .LBB10_1430
.LBB10_1604:                            ;   in Loop: Header=BB10_1428 Depth=2
	s_or_b64 exec, exec, s[42:43]
	v_cmp_gt_i32_e32 vcc, 2, v4
	s_and_saveexec_b64 s[28:29], vcc
	s_cbranch_execz .LBB10_1680
.LBB10_1605:                            ;   in Loop: Header=BB10_1428 Depth=2
	v_cmp_eq_u32_e64 s[42:43], 0, v4
	s_mov_b64 s[40:41], 0
	s_branch .LBB10_1607
.LBB10_1606:                            ;   in Loop: Header=BB10_1607 Depth=3
	s_or_b64 exec, exec, s[26:27]
	v_add_u32_e32 v12, v3, v12
	s_mov_b64 s[42:43], 0
	s_andn2_b64 exec, exec, s[40:41]
	s_cbranch_execz .LBB10_1681
.LBB10_1607:                            ;   Parent Loop BB10_47 Depth=1
                                        ;     Parent Loop BB10_1428 Depth=2
                                        ; =>    This Loop Header: Depth=3
                                        ;         Child Loop BB10_1613 Depth 4
                                        ;         Child Loop BB10_1641 Depth 4
	;; [unrolled: 1-line block ×3, first 2 shown]
	v_sub_u32_e32 v0, v20, v12
	v_min_i32_e32 v3, v3, v0
	v_and_b32_e32 v0, 12, v62
	v_cmp_ne_u32_e32 vcc, 0, v0
	s_and_saveexec_b64 s[44:45], vcc
	s_cbranch_execz .LBB10_1633
; %bb.1608:                             ;   in Loop: Header=BB10_1607 Depth=3
	buffer_load_dword v0, off, s[0:3], s33 offset:60 ; 4-byte Folded Reload
	buffer_load_dword v1, off, s[0:3], s33 offset:64 ; 4-byte Folded Reload
	v_and_b32_e32 v13, 8, v62
	s_waitcnt lgkmcnt(0)
	v_add_co_u32_e32 v4, vcc, v56, v13
	v_addc_co_u32_e32 v5, vcc, 0, v57, vcc
	s_waitcnt vmcnt(0)
	v_add_co_u32_e32 v0, vcc, 2, v0
	v_addc_co_u32_e32 v1, vcc, 0, v1, vcc
	v_cmp_lt_u64_e32 vcc, v[4:5], v[0:1]
	s_and_saveexec_b64 s[88:89], vcc
	s_cbranch_execz .LBB10_1620
; %bb.1609:                             ;   in Loop: Header=BB10_1607 Depth=3
	v_and_b32_e32 v4, 64, v62
	s_mov_b32 s79, 0
	v_cmp_eq_u32_e32 vcc, 0, v4
	s_mov_b64 s[90:91], 0
                                        ; implicit-def: $sgpr92_sgpr93
                                        ; implicit-def: $sgpr94_sgpr95
                                        ; implicit-def: $sgpr30_sgpr31
	s_branch .LBB10_1613
.LBB10_1610:                            ;   in Loop: Header=BB10_1613 Depth=4
	s_waitcnt vmcnt(0) lgkmcnt(0)
	v_add_co_u32_e64 v5, s[26:27], v56, v13
	v_addc_co_u32_e64 v6, s[26:27], 0, v57, s[26:27]
	v_cmp_ge_u64_e64 s[26:27], v[5:6], v[0:1]
	s_or_b64 s[38:39], s[38:39], exec
	s_orn2_b64 s[36:37], s[26:27], exec
.LBB10_1611:                            ;   in Loop: Header=BB10_1613 Depth=4
	s_or_b64 exec, exec, s[50:51]
	s_andn2_b64 s[26:27], s[30:31], exec
	s_and_b64 s[30:31], s[38:39], exec
	s_or_b64 s[30:31], s[26:27], s[30:31]
	s_andn2_b64 s[26:27], s[94:95], exec
	s_and_b64 s[94:95], s[36:37], exec
	s_or_b64 s[94:95], s[26:27], s[94:95]
.LBB10_1612:                            ;   in Loop: Header=BB10_1613 Depth=4
	s_or_b64 exec, exec, s[34:35]
	s_and_b64 s[26:27], exec, s[94:95]
	s_or_b64 s[90:91], s[26:27], s[90:91]
	s_andn2_b64 s[26:27], s[92:93], exec
	s_and_b64 s[92:93], s[30:31], exec
	s_or_b64 s[92:93], s[26:27], s[92:93]
	s_andn2_b64 exec, exec, s[90:91]
	s_cbranch_execz .LBB10_1617
.LBB10_1613:                            ;   Parent Loop BB10_47 Depth=1
                                        ;     Parent Loop BB10_1428 Depth=2
                                        ;       Parent Loop BB10_1607 Depth=3
                                        ; =>      This Inner Loop Header: Depth=4
	s_sleep 1
	s_waitcnt vmcnt(0) lgkmcnt(0)
	flat_load_dwordx2 v[56:57], v[40:41] glc
	s_or_b64 s[30:31], s[30:31], exec
	s_or_b64 s[94:95], s[94:95], exec
                                        ; implicit-def: $vgpr4
	s_and_saveexec_b64 s[34:35], vcc
	s_cbranch_execz .LBB10_1612
; %bb.1614:                             ;   in Loop: Header=BB10_1613 Depth=4
	s_cmpk_lt_i32 s79, 0x270f
	s_cselect_b64 s[48:49], -1, 0
	s_cmpk_gt_i32 s79, 0x270e
	s_mov_b64 s[36:37], -1
	s_cbranch_scc0 .LBB10_1616
; %bb.1615:                             ;   in Loop: Header=BB10_1613 Depth=4
	s_trap 2
	ds_read_b64 v[4:5], v0
	s_andn2_b64 s[48:49], s[48:49], exec
	s_mov_b32 s79, 0
	s_mov_b64 s[38:39], 0
	s_waitcnt vmcnt(0) lgkmcnt(0)
	flat_load_dword v4, v[4:5] glc
	s_waitcnt vmcnt(0) lgkmcnt(0)
	buffer_wbinvl1_vol
	v_cmp_eq_u32_e64 s[26:27], 0, v4
	s_and_b64 s[26:27], s[26:27], exec
	s_or_b64 s[48:49], s[48:49], s[26:27]
	s_and_saveexec_b64 s[50:51], s[48:49]
	s_cbranch_execz .LBB10_1611
	s_branch .LBB10_1610
.LBB10_1616:                            ;   in Loop: Header=BB10_1613 Depth=4
	s_add_i32 s79, s79, 1
	s_mov_b64 s[38:39], -1
                                        ; implicit-def: $vgpr4
	s_and_saveexec_b64 s[50:51], s[48:49]
	s_cbranch_execz .LBB10_1611
	s_branch .LBB10_1610
.LBB10_1617:                            ;   in Loop: Header=BB10_1607 Depth=3
	s_or_b64 exec, exec, s[90:91]
	s_xor_b64 s[26:27], s[92:93], -1
	s_and_saveexec_b64 s[90:91], s[26:27]
	s_xor_b64 s[26:27], exec, s[90:91]
	s_cbranch_execz .LBB10_1619
; %bb.1618:                             ;   in Loop: Header=BB10_1607 Depth=3
	v_or_b32_e32 v62, 64, v62
	s_waitcnt lgkmcnt(0)
	ds_write_b32 v0, v4
	s_trap 2
.LBB10_1619:                            ;   in Loop: Header=BB10_1607 Depth=3
	s_or_b64 exec, exec, s[26:27]
.LBB10_1620:                            ;   in Loop: Header=BB10_1607 Depth=3
	s_or_b64 exec, exec, s[88:89]
	v_and_b32_e32 v4, 0x108, v62
	v_cmp_ne_u32_e32 vcc, s67, v4
	;;#ASMSTART
	s_wakeup
	;;#ASMEND
                                        ; implicit-def: $vgpr8_vgpr9
	s_and_saveexec_b64 s[26:27], vcc
	s_xor_b64 s[26:27], exec, s[26:27]
	s_cbranch_execz .LBB10_1622
; %bb.1621:                             ;   in Loop: Header=BB10_1607 Depth=3
	buffer_load_dword v4, off, s[0:3], s33 offset:60 ; 4-byte Folded Reload
	buffer_load_dword v5, off, s[0:3], s33 offset:64 ; 4-byte Folded Reload
	v_mov_b32_e32 v9, v2
	s_waitcnt vmcnt(0)
	v_and_b32_e32 v8, 7, v4
                                        ; implicit-def: $vgpr4_vgpr5
                                        ; kill: killed $vgpr4_vgpr5
.LBB10_1622:                            ;   in Loop: Header=BB10_1607 Depth=3
	s_andn2_saveexec_b64 s[26:27], s[26:27]
	s_cbranch_execz .LBB10_1624
; %bb.1623:                             ;   in Loop: Header=BB10_1607 Depth=3
	buffer_load_dword v4, off, s[0:3], s33 offset:60 ; 4-byte Folded Reload
	buffer_load_dword v5, off, s[0:3], s33 offset:64 ; 4-byte Folded Reload
	v_mov_b32_e32 v9, v2
	s_waitcnt vmcnt(0)
	v_and_b32_e32 v8, 7, v4
	v_mad_u64_u32 v[5:6], s[88:89], v8, 24, v[42:43]
	v_ashrrev_i32_e32 v4, 31, v3
	v_lshlrev_b64 v[10:11], 1, v[3:4]
	flat_store_dwordx2 v[5:6], v[10:11] offset:8
.LBB10_1624:                            ;   in Loop: Header=BB10_1607 Depth=3
	s_or_b64 exec, exec, s[26:27]
	v_and_b32_e32 v4, 0x100, v62
	v_cmp_ne_u32_e32 vcc, 0, v4
	s_mov_b64 s[26:27], -1
                                        ; implicit-def: $vgpr4_vgpr5
	s_and_saveexec_b64 s[88:89], vcc
	s_cbranch_execz .LBB10_1628
; %bb.1625:                             ;   in Loop: Header=BB10_1607 Depth=3
	v_mad_u64_u32 v[10:11], s[26:27], v8, 24, v[42:43]
	v_mov_b32_e32 v4, v11
	v_mad_u64_u32 v[4:5], s[26:27], v9, 24, v[4:5]
	v_mov_b32_e32 v11, v4
	flat_load_dword v4, v[10:11]
	s_waitcnt vmcnt(0) lgkmcnt(0)
	v_cmp_ne_u32_e32 vcc, 1, v4
	v_cmp_eq_u32_e64 s[26:27], 1, v4
                                        ; implicit-def: $vgpr4_vgpr5
	s_and_saveexec_b64 s[90:91], s[26:27]
	s_cbranch_execz .LBB10_1627
; %bb.1626:                             ;   in Loop: Header=BB10_1607 Depth=3
	flat_load_dword v4, v[10:11] offset:4 glc
	s_waitcnt vmcnt(0) lgkmcnt(0)
	v_ashrrev_i32_e32 v5, 31, v4
	v_lshrrev_b64 v[4:5], 1, v[4:5]
.LBB10_1627:                            ;   in Loop: Header=BB10_1607 Depth=3
	s_or_b64 exec, exec, s[90:91]
	s_orn2_b64 s[26:27], vcc, exec
.LBB10_1628:                            ;   in Loop: Header=BB10_1607 Depth=3
	s_or_b64 exec, exec, s[88:89]
	s_and_saveexec_b64 s[88:89], s[26:27]
	s_cbranch_execz .LBB10_1630
; %bb.1629:                             ;   in Loop: Header=BB10_1607 Depth=3
	v_mul_lo_u32 v6, v9, v54
	v_mul_lo_u32 v7, v8, v59
	v_mad_u64_u32 v[4:5], s[26:27], v8, v54, 0
	v_add3_u32 v5, v5, v7, v6
.LBB10_1630:                            ;   in Loop: Header=BB10_1607 Depth=3
	s_or_b64 exec, exec, s[88:89]
	v_cmp_eq_u32_e32 vcc, 0, v13
	v_mov_b32_e32 v6, 0xd0
	v_mov_b32_e32 v7, 0x88
	v_cndmask_b32_e32 v6, v6, v7, vcc
	buffer_load_dword v7, off, s[0:3], s33 offset:84 ; 4-byte Folded Reload
	buffer_load_dword v8, off, s[0:3], s33 offset:88 ; 4-byte Folded Reload
	v_lshlrev_b64 v[4:5], 1, v[4:5]
	v_add_u32_e32 v6, v0, v6
	s_waitcnt vmcnt(0)
	v_add_co_u32_e32 v4, vcc, v7, v4
	v_addc_co_u32_e32 v5, vcc, v8, v5, vcc
	ds_write_b64 v6, v[4:5] offset:584
	v_and_b32_e32 v4, 0x2000, v62
	v_cmp_ne_u32_e32 vcc, 0, v4
	s_and_saveexec_b64 s[26:27], vcc
	s_cbranch_execz .LBB10_1632
; %bb.1631:                             ;   in Loop: Header=BB10_1607 Depth=3
	ds_read_b64 v[4:5], v0 offset:872
	s_waitcnt lgkmcnt(0)
	v_add_co_u32_e32 v4, vcc, 1, v4
	v_addc_co_u32_e32 v5, vcc, 0, v5, vcc
	ds_write_b64 v0, v[4:5] offset:872
.LBB10_1632:                            ;   in Loop: Header=BB10_1607 Depth=3
	s_or_b64 exec, exec, s[26:27]
	buffer_store_dword v0, off, s[0:3], s33 offset:60 ; 4-byte Folded Spill
	s_nop 0
	buffer_store_dword v1, off, s[0:3], s33 offset:64 ; 4-byte Folded Spill
.LBB10_1633:                            ;   in Loop: Header=BB10_1607 Depth=3
	s_or_b64 exec, exec, s[44:45]
	s_xor_b64 s[26:27], s[42:43], -1
	s_and_b64 s[26:27], exec, s[26:27]
	s_or_b64 s[40:41], s[26:27], s[40:41]
	s_and_saveexec_b64 s[26:27], s[10:11]
	s_cbranch_execz .LBB10_1652
; %bb.1634:                             ;   in Loop: Header=BB10_1607 Depth=3
	s_and_saveexec_b64 s[42:43], s[60:61]
	s_xor_b64 s[42:43], exec, s[42:43]
	s_cbranch_execz .LBB10_1649
; %bb.1635:                             ;   in Loop: Header=BB10_1607 Depth=3
	s_and_saveexec_b64 s[44:45], s[16:17]
	s_cbranch_execz .LBB10_1648
; %bb.1636:                             ;   in Loop: Header=BB10_1607 Depth=3
	s_mov_b64 s[90:91], exec
	v_mbcnt_lo_u32_b32 v0, s90, 0
	v_mbcnt_hi_u32_b32 v0, s91, v0
	v_cmp_eq_u32_e32 vcc, 0, v0
	s_waitcnt vmcnt(0) lgkmcnt(0)
	buffer_wbinvl1_vol
	s_and_saveexec_b64 s[88:89], vcc
	s_cbranch_execz .LBB10_1638
; %bb.1637:                             ;   in Loop: Header=BB10_1607 Depth=3
	s_bcnt1_i32_b64 s79, s[90:91]
	v_mov_b32_e32 v0, s79
	v_mov_b32_e32 v1, v2
	ds_add_u64 v0, v[0:1]
	s_trap 2
.LBB10_1638:                            ;   in Loop: Header=BB10_1607 Depth=3
	s_or_b64 exec, exec, s[88:89]
	s_trap 2
	ds_read_b64 v[0:1], v0
	s_waitcnt lgkmcnt(0)
	v_add_co_u32_e32 v46, vcc, v46, v44
	v_addc_co_u32_e32 v47, vcc, 0, v47, vcc
	v_cmp_lt_u64_e32 vcc, v[0:1], v[46:47]
	s_and_saveexec_b64 s[88:89], vcc
	s_cbranch_execz .LBB10_1647
; %bb.1639:                             ;   in Loop: Header=BB10_1607 Depth=3
	s_mov_b32 s79, 0
	s_mov_b64 s[90:91], 0
                                        ; implicit-def: $sgpr92_sgpr93
                                        ; implicit-def: $sgpr94_sgpr95
	s_branch .LBB10_1641
.LBB10_1640:                            ;   in Loop: Header=BB10_1641 Depth=4
	s_or_b64 exec, exec, s[34:35]
	s_and_b64 vcc, exec, vcc
	s_or_b64 s[90:91], vcc, s[90:91]
	s_andn2_b64 s[92:93], s[92:93], exec
	s_and_b64 vcc, s[94:95], exec
	s_or_b64 s[92:93], s[92:93], vcc
	s_andn2_b64 exec, exec, s[90:91]
	s_cbranch_execz .LBB10_1645
.LBB10_1641:                            ;   Parent Loop BB10_47 Depth=1
                                        ;     Parent Loop BB10_1428 Depth=2
                                        ;       Parent Loop BB10_1607 Depth=3
                                        ; =>      This Inner Loop Header: Depth=4
	s_add_i32 s79, s79, 1
	s_cmpk_lg_i32 s79, 0x2710
	s_cselect_b64 s[30:31], -1, 0
	s_and_b64 vcc, exec, s[30:31]
	s_cbranch_vccz .LBB10_1643
; %bb.1642:                             ;   in Loop: Header=BB10_1641 Depth=4
	s_mov_b64 vcc, -1
	s_or_b64 s[94:95], s[94:95], exec
	s_and_saveexec_b64 s[34:35], s[30:31]
	s_cbranch_execz .LBB10_1640
	s_branch .LBB10_1644
.LBB10_1643:                            ;   in Loop: Header=BB10_1641 Depth=4
	s_trap 2
	ds_read_b64 v[0:1], v0
	s_andn2_b64 s[30:31], s[30:31], exec
	s_mov_b32 s79, 0
	s_waitcnt lgkmcnt(0)
	flat_load_dword v0, v[0:1] glc
	s_waitcnt vmcnt(0) lgkmcnt(0)
	buffer_wbinvl1_vol
	v_cmp_eq_u32_e32 vcc, 0, v0
	s_and_b64 vcc, vcc, exec
	s_or_b64 s[30:31], s[30:31], vcc
	s_mov_b64 vcc, -1
	s_or_b64 s[94:95], s[94:95], exec
	s_and_saveexec_b64 s[34:35], s[30:31]
	s_cbranch_execz .LBB10_1640
.LBB10_1644:                            ;   in Loop: Header=BB10_1641 Depth=4
	s_sleep 1
	s_trap 2
	ds_read_b64 v[0:1], v0
	s_waitcnt lgkmcnt(0)
	s_andn2_b64 s[94:95], s[94:95], exec
	v_cmp_ge_u64_e32 vcc, v[0:1], v[46:47]
	s_orn2_b64 vcc, vcc, exec
	s_branch .LBB10_1640
.LBB10_1645:                            ;   in Loop: Header=BB10_1607 Depth=3
	s_or_b64 exec, exec, s[90:91]
	s_and_saveexec_b64 s[90:91], s[92:93]
	s_xor_b64 s[90:91], exec, s[90:91]
	s_cbranch_execz .LBB10_1647
; %bb.1646:                             ;   in Loop: Header=BB10_1607 Depth=3
	v_mov_b32_e32 v0, 1
	ds_write_b32 v0, v0
	s_trap 2
.LBB10_1647:                            ;   in Loop: Header=BB10_1607 Depth=3
	s_or_b64 exec, exec, s[88:89]
	;;#ASMSTART
	s_wakeup
	;;#ASMEND
.LBB10_1648:                            ;   in Loop: Header=BB10_1607 Depth=3
	s_or_b64 exec, exec, s[44:45]
.LBB10_1649:                            ;   in Loop: Header=BB10_1607 Depth=3
	s_andn2_saveexec_b64 s[42:43], s[42:43]
	s_cbranch_execz .LBB10_1651
; %bb.1650:                             ;   in Loop: Header=BB10_1607 Depth=3
	s_waitcnt vmcnt(0) lgkmcnt(0)
	buffer_wbinvl1_vol
	s_barrier
.LBB10_1651:                            ;   in Loop: Header=BB10_1607 Depth=3
	s_or_b64 exec, exec, s[42:43]
.LBB10_1652:                            ;   in Loop: Header=BB10_1607 Depth=3
	s_or_b64 exec, exec, s[26:27]
                                        ; implicit-def: $vgpr0
	s_and_saveexec_b64 s[26:27], s[24:25]
	s_xor_b64 s[26:27], exec, s[26:27]
	s_cbranch_execz .LBB10_1656
; %bb.1653:                             ;   in Loop: Header=BB10_1607 Depth=3
	s_trap 2
	ds_read_b32 v0, v0
	v_cmp_lt_i32_e32 vcc, 0, v3
	v_and_b32_e32 v1, 16, v62
	s_waitcnt lgkmcnt(0)
	v_readfirstlane_b32 s42, v0
	s_cmp_eq_u32 s42, 0
	s_cselect_b64 s[42:43], -1, 0
	s_and_b64 s[42:43], vcc, s[42:43]
	v_cmp_ne_u32_e32 vcc, 0, v1
	v_and_b32_e32 v0, 16, v62
	s_and_b64 s[44:45], vcc, s[42:43]
	s_and_saveexec_b64 s[42:43], s[44:45]
	s_cbranch_execz .LBB10_1655
; %bb.1654:                             ;   in Loop: Header=BB10_1607 Depth=3
	v_mov_b32_e32 v0, 1
	s_waitcnt vmcnt(0)
	buffer_wbinvl1_vol
.LBB10_1655:                            ;   in Loop: Header=BB10_1607 Depth=3
	s_or_b64 exec, exec, s[42:43]
	s_andn2_saveexec_b64 s[26:27], s[26:27]
	s_cbranch_execz .LBB10_1675
	s_branch .LBB10_1657
.LBB10_1656:                            ;   in Loop: Header=BB10_1607 Depth=3
	s_andn2_saveexec_b64 s[26:27], s[26:27]
	s_cbranch_execz .LBB10_1675
.LBB10_1657:                            ;   in Loop: Header=BB10_1607 Depth=3
	s_and_saveexec_b64 s[42:43], s[60:61]
	s_xor_b64 s[42:43], exec, s[42:43]
	s_cbranch_execz .LBB10_1672
; %bb.1658:                             ;   in Loop: Header=BB10_1607 Depth=3
	s_and_saveexec_b64 s[44:45], s[16:17]
	s_cbranch_execz .LBB10_1671
; %bb.1659:                             ;   in Loop: Header=BB10_1607 Depth=3
	s_mov_b64 s[90:91], exec
	v_mbcnt_lo_u32_b32 v0, s90, 0
	v_mbcnt_hi_u32_b32 v0, s91, v0
	v_cmp_eq_u32_e32 vcc, 0, v0
	;;#ASMSTART
	s_waitcnt lgkmcnt(0) vmcnt(0)
	;;#ASMEND
	s_and_saveexec_b64 s[88:89], vcc
	s_cbranch_execz .LBB10_1661
; %bb.1660:                             ;   in Loop: Header=BB10_1607 Depth=3
	s_bcnt1_i32_b64 s79, s[90:91]
	v_mov_b32_e32 v0, s79
	v_mov_b32_e32 v1, v2
	s_waitcnt lgkmcnt(0)
	ds_add_u64 v0, v[0:1]
	s_trap 2
.LBB10_1661:                            ;   in Loop: Header=BB10_1607 Depth=3
	s_or_b64 exec, exec, s[88:89]
	s_trap 2
	ds_read_b64 v[0:1], v0
	s_waitcnt lgkmcnt(0)
	v_add_co_u32_e32 v46, vcc, v46, v44
	v_addc_co_u32_e32 v47, vcc, 0, v47, vcc
	v_cmp_lt_u64_e32 vcc, v[0:1], v[46:47]
	s_and_saveexec_b64 s[88:89], vcc
	s_cbranch_execz .LBB10_1670
; %bb.1662:                             ;   in Loop: Header=BB10_1607 Depth=3
	s_mov_b32 s79, 0
	s_mov_b64 s[90:91], 0
                                        ; implicit-def: $sgpr92_sgpr93
                                        ; implicit-def: $sgpr94_sgpr95
	s_branch .LBB10_1664
.LBB10_1663:                            ;   in Loop: Header=BB10_1664 Depth=4
	s_or_b64 exec, exec, s[34:35]
	s_and_b64 vcc, exec, vcc
	s_or_b64 s[90:91], vcc, s[90:91]
	s_andn2_b64 s[92:93], s[92:93], exec
	s_and_b64 vcc, s[94:95], exec
	s_or_b64 s[92:93], s[92:93], vcc
	s_andn2_b64 exec, exec, s[90:91]
	s_cbranch_execz .LBB10_1668
.LBB10_1664:                            ;   Parent Loop BB10_47 Depth=1
                                        ;     Parent Loop BB10_1428 Depth=2
                                        ;       Parent Loop BB10_1607 Depth=3
                                        ; =>      This Inner Loop Header: Depth=4
	s_add_i32 s79, s79, 1
	s_cmpk_lg_i32 s79, 0x2710
	s_cselect_b64 s[30:31], -1, 0
	s_and_b64 vcc, exec, s[30:31]
	s_cbranch_vccz .LBB10_1666
; %bb.1665:                             ;   in Loop: Header=BB10_1664 Depth=4
	s_mov_b64 vcc, -1
	s_or_b64 s[94:95], s[94:95], exec
	s_and_saveexec_b64 s[34:35], s[30:31]
	s_cbranch_execz .LBB10_1663
	s_branch .LBB10_1667
.LBB10_1666:                            ;   in Loop: Header=BB10_1664 Depth=4
	s_trap 2
	ds_read_b64 v[0:1], v0
	s_andn2_b64 s[30:31], s[30:31], exec
	s_mov_b32 s79, 0
	s_waitcnt vmcnt(0) lgkmcnt(0)
	flat_load_dword v0, v[0:1] glc
	s_waitcnt vmcnt(0) lgkmcnt(0)
	buffer_wbinvl1_vol
	v_cmp_eq_u32_e32 vcc, 0, v0
	s_and_b64 vcc, vcc, exec
	s_or_b64 s[30:31], s[30:31], vcc
	s_mov_b64 vcc, -1
	s_or_b64 s[94:95], s[94:95], exec
	s_and_saveexec_b64 s[34:35], s[30:31]
	s_cbranch_execz .LBB10_1663
.LBB10_1667:                            ;   in Loop: Header=BB10_1664 Depth=4
	s_sleep 1
	s_trap 2
	ds_read_b64 v[0:1], v0
	s_waitcnt lgkmcnt(0)
	s_andn2_b64 s[94:95], s[94:95], exec
	v_cmp_ge_u64_e32 vcc, v[0:1], v[46:47]
	s_orn2_b64 vcc, vcc, exec
	s_branch .LBB10_1663
.LBB10_1668:                            ;   in Loop: Header=BB10_1607 Depth=3
	s_or_b64 exec, exec, s[90:91]
	s_and_saveexec_b64 s[90:91], s[92:93]
	s_xor_b64 s[90:91], exec, s[90:91]
	s_cbranch_execz .LBB10_1670
; %bb.1669:                             ;   in Loop: Header=BB10_1607 Depth=3
	v_mov_b32_e32 v0, 1
	ds_write_b32 v0, v0
	s_trap 2
.LBB10_1670:                            ;   in Loop: Header=BB10_1607 Depth=3
	s_or_b64 exec, exec, s[88:89]
	;;#ASMSTART
	s_wakeup
	;;#ASMEND
.LBB10_1671:                            ;   in Loop: Header=BB10_1607 Depth=3
	s_or_b64 exec, exec, s[44:45]
.LBB10_1672:                            ;   in Loop: Header=BB10_1607 Depth=3
	s_andn2_saveexec_b64 s[42:43], s[42:43]
	s_cbranch_execz .LBB10_1674
; %bb.1673:                             ;   in Loop: Header=BB10_1607 Depth=3
	;;#ASMSTART
	s_waitcnt lgkmcnt(0) vmcnt(0)
	;;#ASMEND
	s_waitcnt vmcnt(0) lgkmcnt(0)
	s_barrier
.LBB10_1674:                            ;   in Loop: Header=BB10_1607 Depth=3
	s_or_b64 exec, exec, s[42:43]
	v_and_b32_e32 v0, 16, v62
.LBB10_1675:                            ;   in Loop: Header=BB10_1607 Depth=3
	s_or_b64 exec, exec, s[26:27]
	v_cmp_ne_u32_e32 vcc, 0, v0
	s_xor_b64 s[26:27], s[12:13], -1
	s_and_b64 s[42:43], vcc, s[26:27]
	s_and_saveexec_b64 s[26:27], s[42:43]
	s_cbranch_execz .LBB10_1677
; %bb.1676:                             ;   in Loop: Header=BB10_1607 Depth=3
	buffer_load_dword v0, off, s[0:3], s33 offset:92 ; 4-byte Folded Reload
	buffer_load_dword v1, off, s[0:3], s33 offset:96 ; 4-byte Folded Reload
	v_mov_b32_e32 v4, 1
	s_waitcnt vmcnt(0)
	flat_store_dword v[0:1], v4
.LBB10_1677:                            ;   in Loop: Header=BB10_1607 Depth=3
	s_or_b64 exec, exec, s[26:27]
	v_and_b32_e32 v0, 48, v62
	v_cmp_ne_u32_e32 vcc, 0, v0
	s_and_saveexec_b64 s[26:27], vcc
	s_cbranch_execz .LBB10_1606
; %bb.1678:                             ;   in Loop: Header=BB10_1607 Depth=3
	buffer_load_dword v0, off, s[0:3], s33 offset:60 ; 4-byte Folded Reload
	buffer_load_dword v1, off, s[0:3], s33 offset:64 ; 4-byte Folded Reload
	s_waitcnt vmcnt(0)
	v_add_co_u32_e32 v0, vcc, 2, v0
	v_addc_co_u32_e32 v1, vcc, 0, v1, vcc
	buffer_store_dword v0, off, s[0:3], s33 offset:60 ; 4-byte Folded Spill
	s_nop 0
	buffer_store_dword v1, off, s[0:3], s33 offset:64 ; 4-byte Folded Spill
	flat_store_dwordx2 v[40:41], v[0:1]
	s_branch .LBB10_1606
.LBB10_1679:                            ;   in Loop: Header=BB10_1428 Depth=2
	s_or_b64 exec, exec, s[44:45]
	s_or_b64 exec, exec, s[42:43]
	v_cmp_gt_i32_e32 vcc, 2, v4
	s_and_saveexec_b64 s[28:29], vcc
	s_cbranch_execnz .LBB10_1605
.LBB10_1680:                            ;   in Loop: Header=BB10_1428 Depth=2
	s_or_b64 exec, exec, s[28:29]
	s_add_i32 s26, s58, 1
	s_cmp_eq_u32 s58, s85
	s_cbranch_scc0 .LBB10_1682
	s_branch .LBB10_1683
.LBB10_1681:                            ;   in Loop: Header=BB10_1428 Depth=2
	s_or_b64 exec, exec, s[40:41]
	s_or_b64 exec, exec, s[28:29]
	s_add_i32 s26, s58, 1
	s_cmp_eq_u32 s58, s85
	s_cbranch_scc1 .LBB10_1683
.LBB10_1682:                            ;   in Loop: Header=BB10_1428 Depth=2
	s_mov_b32 s58, s26
	s_branch .LBB10_1428
.LBB10_1683:                            ;   in Loop: Header=BB10_47 Depth=1
	buffer_load_dword v5, off, s[0:3], s33 offset:200 ; 4-byte Folded Reload
	buffer_load_dword v6, off, s[0:3], s33 offset:204 ; 4-byte Folded Reload
	s_waitcnt vmcnt(0)
	v_mul_lo_u32 v4, v5, s87
	v_mul_lo_u32 v3, v6, s86
	v_mad_u64_u32 v[0:1], s[26:27], v5, s86, 0
	v_add3_u32 v1, v1, v4, v3
	buffer_load_dword v3, off, s[0:3], s33 offset:192 ; 4-byte Folded Reload
	buffer_load_dword v4, off, s[0:3], s33 offset:196 ; 4-byte Folded Reload
	s_waitcnt vmcnt(0)
	v_sub_co_u32_e32 v3, vcc, v3, v0
	v_subb_co_u32_e32 v4, vcc, v4, v1, vcc
	v_cmp_lt_i64_e32 vcc, v[5:6], v[3:4]
	v_mov_b32_e32 v4, 0
	v_cndmask_b32_e32 v3, v3, v5, vcc
	v_max_i32_e32 v37, 0, v3
	v_add_u32_e32 v5, 31, v37
	v_lshrrev_b32_e32 v5, 1, v5
	v_and_b32_e32 v5, 0x3ffffff0, v5
	v_cmp_lt_i32_e32 vcc, 0, v3
	v_max_i32_e32 v38, s84, v5
	s_and_b64 s[26:27], s[76:77], vcc
	v_mov_b32_e32 v3, 0
	s_and_saveexec_b64 s[28:29], s[26:27]
	s_cbranch_execz .LBB10_1821
; %bb.1684:                             ;   in Loop: Header=BB10_47 Depth=1
	buffer_load_dword v3, off, s[0:3], s33 offset:136 ; 4-byte Folded Reload
	buffer_load_dword v4, off, s[0:3], s33 offset:140 ; 4-byte Folded Reload
	s_mov_b32 s58, 1
	s_mov_b64 s[42:43], -1
	s_mov_b64 s[40:41], 0
	s_waitcnt vmcnt(0)
	v_add_co_u32_e32 v0, vcc, v0, v3
	v_addc_co_u32_e32 v1, vcc, v1, v4, vcc
	v_lshlrev_b64 v[35:36], 1, v[0:1]
	v_mov_b32_e32 v3, 0
	buffer_store_dword v35, off, s[0:3], s33 offset:136 ; 4-byte Folded Spill
	s_nop 0
	buffer_store_dword v36, off, s[0:3], s33 offset:140 ; 4-byte Folded Spill
	s_branch .LBB10_1686
.LBB10_1685:                            ;   in Loop: Header=BB10_1686 Depth=2
	s_or_b64 exec, exec, s[26:27]
	v_add_u32_e32 v3, v38, v3
	v_cmp_ge_i32_e32 vcc, v3, v37
	s_xor_b64 s[26:27], s[42:43], -1
	s_or_b64 s[26:27], s[26:27], vcc
	s_and_b64 s[26:27], exec, s[26:27]
	s_or_b64 s[40:41], s[26:27], s[40:41]
	s_mov_b64 s[42:43], 0
	v_mov_b32_e32 v4, s58
	s_mov_b32 s58, 2
	s_andn2_b64 exec, exec, s[40:41]
	s_cbranch_execz .LBB10_1820
.LBB10_1686:                            ;   Parent Loop BB10_47 Depth=1
                                        ; =>  This Loop Header: Depth=2
                                        ;       Child Loop BB10_1694 Depth 3
                                        ;       Child Loop BB10_1718 Depth 3
	;; [unrolled: 1-line block ×9, first 2 shown]
	s_and_saveexec_b64 s[26:27], s[4:5]
	s_cbranch_execz .LBB10_1688
; %bb.1687:                             ;   in Loop: Header=BB10_1686 Depth=2
	s_trap 2
	ds_read_b128 v[10:13], v0
	v_ashrrev_i32_e32 v4, 31, v3
	v_lshlrev_b64 v[0:1], 1, v[3:4]
	s_waitcnt vmcnt(0) lgkmcnt(0)
	v_add_co_u32_e32 v5, vcc, v10, v35
	v_addc_co_u32_e32 v6, vcc, v11, v36, vcc
	v_add_co_u32_e32 v4, vcc, v5, v0
	v_addc_co_u32_e32 v5, vcc, v6, v1, vcc
	ds_write_b64 v0, v[4:5]
	v_add_co_u32_e32 v4, vcc, v12, v35
	v_addc_co_u32_e32 v5, vcc, v13, v36, vcc
	v_add_co_u32_e32 v0, vcc, v4, v0
	v_addc_co_u32_e32 v1, vcc, v5, v1, vcc
	v_cmp_ne_u64_e32 vcc, 0, v[12:13]
	v_cndmask_b32_e32 v1, 0, v1, vcc
	v_cndmask_b32_e32 v0, 0, v0, vcc
	ds_write_b64 v0, v[0:1]
.LBB10_1688:                            ;   in Loop: Header=BB10_1686 Depth=2
	s_or_b64 exec, exec, s[26:27]
	v_and_b32_e32 v0, 4, v62
	v_cmp_ne_u32_e32 vcc, 0, v0
	s_and_saveexec_b64 s[44:45], vcc
	s_cbranch_execz .LBB10_1710
; %bb.1689:                             ;   in Loop: Header=BB10_1686 Depth=2
	buffer_load_dword v0, off, s[0:3], s33 offset:60 ; 4-byte Folded Reload
	buffer_load_dword v1, off, s[0:3], s33 offset:64 ; 4-byte Folded Reload
	s_waitcnt vmcnt(0)
	v_add_co_u32_e32 v0, vcc, 2, v0
	v_addc_co_u32_e32 v1, vcc, 0, v1, vcc
	s_waitcnt lgkmcnt(0)
	v_cmp_lt_u64_e32 vcc, v[56:57], v[0:1]
	s_and_saveexec_b64 s[88:89], vcc
	s_cbranch_execz .LBB10_1701
; %bb.1690:                             ;   in Loop: Header=BB10_1686 Depth=2
	v_and_b32_e32 v4, 64, v62
	s_mov_b32 s79, 0
	v_cmp_eq_u32_e32 vcc, 0, v4
	s_mov_b64 s[90:91], 0
                                        ; implicit-def: $sgpr92_sgpr93
                                        ; implicit-def: $sgpr94_sgpr95
                                        ; implicit-def: $sgpr30_sgpr31
	s_branch .LBB10_1694
.LBB10_1691:                            ;   in Loop: Header=BB10_1694 Depth=3
	s_waitcnt vmcnt(0) lgkmcnt(0)
	v_cmp_ge_u64_e64 s[26:27], v[56:57], v[0:1]
	s_or_b64 s[38:39], s[38:39], exec
	s_orn2_b64 s[36:37], s[26:27], exec
.LBB10_1692:                            ;   in Loop: Header=BB10_1694 Depth=3
	s_or_b64 exec, exec, s[50:51]
	s_andn2_b64 s[26:27], s[30:31], exec
	s_and_b64 s[30:31], s[38:39], exec
	s_or_b64 s[30:31], s[26:27], s[30:31]
	s_andn2_b64 s[26:27], s[94:95], exec
	s_and_b64 s[94:95], s[36:37], exec
	s_or_b64 s[94:95], s[26:27], s[94:95]
.LBB10_1693:                            ;   in Loop: Header=BB10_1694 Depth=3
	s_or_b64 exec, exec, s[34:35]
	s_and_b64 s[26:27], exec, s[94:95]
	s_or_b64 s[90:91], s[26:27], s[90:91]
	s_andn2_b64 s[26:27], s[92:93], exec
	s_and_b64 s[92:93], s[30:31], exec
	s_or_b64 s[92:93], s[26:27], s[92:93]
	s_andn2_b64 exec, exec, s[90:91]
	s_cbranch_execz .LBB10_1698
.LBB10_1694:                            ;   Parent Loop BB10_47 Depth=1
                                        ;     Parent Loop BB10_1686 Depth=2
                                        ; =>    This Inner Loop Header: Depth=3
	s_sleep 1
	s_waitcnt vmcnt(0) lgkmcnt(0)
	flat_load_dwordx2 v[56:57], v[40:41] glc
	s_or_b64 s[30:31], s[30:31], exec
	s_or_b64 s[94:95], s[94:95], exec
                                        ; implicit-def: $vgpr4
	s_and_saveexec_b64 s[34:35], vcc
	s_cbranch_execz .LBB10_1693
; %bb.1695:                             ;   in Loop: Header=BB10_1694 Depth=3
	s_cmpk_lt_i32 s79, 0x270f
	s_cselect_b64 s[48:49], -1, 0
	s_cmpk_gt_i32 s79, 0x270e
	s_mov_b64 s[36:37], -1
	s_cbranch_scc0 .LBB10_1697
; %bb.1696:                             ;   in Loop: Header=BB10_1694 Depth=3
	s_trap 2
	ds_read_b64 v[4:5], v0
	s_andn2_b64 s[48:49], s[48:49], exec
	s_mov_b32 s79, 0
	s_mov_b64 s[38:39], 0
	s_waitcnt vmcnt(0) lgkmcnt(0)
	flat_load_dword v4, v[4:5] glc
	s_waitcnt vmcnt(0) lgkmcnt(0)
	buffer_wbinvl1_vol
	v_cmp_eq_u32_e64 s[26:27], 0, v4
	s_and_b64 s[26:27], s[26:27], exec
	s_or_b64 s[48:49], s[48:49], s[26:27]
	s_and_saveexec_b64 s[50:51], s[48:49]
	s_cbranch_execz .LBB10_1692
	s_branch .LBB10_1691
.LBB10_1697:                            ;   in Loop: Header=BB10_1694 Depth=3
	s_add_i32 s79, s79, 1
	s_mov_b64 s[38:39], -1
                                        ; implicit-def: $vgpr4
	s_and_saveexec_b64 s[50:51], s[48:49]
	s_cbranch_execz .LBB10_1692
	s_branch .LBB10_1691
.LBB10_1698:                            ;   in Loop: Header=BB10_1686 Depth=2
	s_or_b64 exec, exec, s[90:91]
	s_xor_b64 s[26:27], s[92:93], -1
	s_and_saveexec_b64 s[90:91], s[26:27]
	s_xor_b64 s[26:27], exec, s[90:91]
	s_cbranch_execz .LBB10_1700
; %bb.1699:                             ;   in Loop: Header=BB10_1686 Depth=2
	v_or_b32_e32 v62, 64, v62
	s_waitcnt lgkmcnt(0)
	ds_write_b32 v0, v4
	s_trap 2
.LBB10_1700:                            ;   in Loop: Header=BB10_1686 Depth=2
	s_or_b64 exec, exec, s[26:27]
.LBB10_1701:                            ;   in Loop: Header=BB10_1686 Depth=2
	s_or_b64 exec, exec, s[88:89]
	v_and_b32_e32 v4, 0x100, v62
	;;#ASMSTART
	s_wakeup
	;;#ASMEND
	v_cmp_ne_u32_e32 vcc, 0, v4
	buffer_load_dword v4, off, s[0:3], s33 offset:60 ; 4-byte Folded Reload
	buffer_load_dword v5, off, s[0:3], s33 offset:64 ; 4-byte Folded Reload
	s_mov_b64 s[26:27], -1
	s_waitcnt vmcnt(0)
	v_and_b32_e32 v7, 7, v4
                                        ; implicit-def: $vgpr4_vgpr5
	s_and_saveexec_b64 s[88:89], vcc
	s_cbranch_execz .LBB10_1705
; %bb.1702:                             ;   in Loop: Header=BB10_1686 Depth=2
	v_mad_u64_u32 v[10:11], s[26:27], v7, 24, v[42:43]
	flat_load_dword v4, v[10:11]
	s_waitcnt vmcnt(0) lgkmcnt(0)
	v_cmp_ne_u32_e32 vcc, 1, v4
	v_cmp_eq_u32_e64 s[26:27], 1, v4
                                        ; implicit-def: $vgpr4_vgpr5
	s_and_saveexec_b64 s[90:91], s[26:27]
	s_cbranch_execz .LBB10_1704
; %bb.1703:                             ;   in Loop: Header=BB10_1686 Depth=2
	flat_load_dword v4, v[10:11] offset:4 glc
	s_waitcnt vmcnt(0) lgkmcnt(0)
	v_ashrrev_i32_e32 v5, 31, v4
	v_lshrrev_b64 v[4:5], 1, v[4:5]
.LBB10_1704:                            ;   in Loop: Header=BB10_1686 Depth=2
	s_or_b64 exec, exec, s[90:91]
	s_orn2_b64 s[26:27], vcc, exec
.LBB10_1705:                            ;   in Loop: Header=BB10_1686 Depth=2
	s_or_b64 exec, exec, s[88:89]
	s_and_saveexec_b64 s[88:89], s[26:27]
; %bb.1706:                             ;   in Loop: Header=BB10_1686 Depth=2
	v_mad_i64_i32 v[4:5], s[26:27], v7, v54, 0
; %bb.1707:                             ;   in Loop: Header=BB10_1686 Depth=2
	s_or_b64 exec, exec, s[88:89]
	buffer_load_dword v6, off, s[0:3], s33 offset:84 ; 4-byte Folded Reload
	buffer_load_dword v7, off, s[0:3], s33 offset:88 ; 4-byte Folded Reload
	v_lshlrev_b64 v[4:5], 1, v[4:5]
	s_waitcnt vmcnt(0)
	v_add_co_u32_e32 v4, vcc, v6, v4
	v_addc_co_u32_e32 v5, vcc, v7, v5, vcc
	ds_write_b64 v0, v[4:5] offset:720
	v_and_b32_e32 v4, 0x2000, v62
	v_cmp_ne_u32_e32 vcc, 0, v4
	s_and_saveexec_b64 s[26:27], vcc
	s_cbranch_execz .LBB10_1709
; %bb.1708:                             ;   in Loop: Header=BB10_1686 Depth=2
	ds_read_b64 v[4:5], v0 offset:872
	s_waitcnt lgkmcnt(0)
	v_add_co_u32_e32 v4, vcc, 1, v4
	v_addc_co_u32_e32 v5, vcc, 0, v5, vcc
	ds_write_b64 v0, v[4:5] offset:872
.LBB10_1709:                            ;   in Loop: Header=BB10_1686 Depth=2
	s_or_b64 exec, exec, s[26:27]
	buffer_store_dword v0, off, s[0:3], s33 offset:60 ; 4-byte Folded Spill
	s_nop 0
	buffer_store_dword v1, off, s[0:3], s33 offset:64 ; 4-byte Folded Spill
.LBB10_1710:                            ;   in Loop: Header=BB10_1686 Depth=2
	s_or_b64 exec, exec, s[44:45]
	s_and_saveexec_b64 s[26:27], s[10:11]
	s_cbranch_execz .LBB10_1729
; %bb.1711:                             ;   in Loop: Header=BB10_1686 Depth=2
	s_and_saveexec_b64 s[44:45], s[60:61]
	s_xor_b64 s[44:45], exec, s[44:45]
	s_cbranch_execz .LBB10_1726
; %bb.1712:                             ;   in Loop: Header=BB10_1686 Depth=2
	s_and_saveexec_b64 s[88:89], s[16:17]
	s_cbranch_execz .LBB10_1725
; %bb.1713:                             ;   in Loop: Header=BB10_1686 Depth=2
	s_mov_b64 s[92:93], exec
	v_mbcnt_lo_u32_b32 v0, s92, 0
	v_mbcnt_hi_u32_b32 v0, s93, v0
	v_cmp_eq_u32_e32 vcc, 0, v0
	s_waitcnt vmcnt(0) lgkmcnt(0)
	buffer_wbinvl1_vol
	s_and_saveexec_b64 s[90:91], vcc
	s_cbranch_execz .LBB10_1715
; %bb.1714:                             ;   in Loop: Header=BB10_1686 Depth=2
	s_bcnt1_i32_b64 s79, s[92:93]
	v_mov_b32_e32 v0, s79
	v_mov_b32_e32 v1, v2
	ds_add_u64 v0, v[0:1]
	s_trap 2
.LBB10_1715:                            ;   in Loop: Header=BB10_1686 Depth=2
	s_or_b64 exec, exec, s[90:91]
	s_trap 2
	ds_read_b64 v[0:1], v0
	s_waitcnt lgkmcnt(0)
	v_add_co_u32_e32 v46, vcc, v46, v44
	v_addc_co_u32_e32 v47, vcc, 0, v47, vcc
	v_cmp_lt_u64_e32 vcc, v[0:1], v[46:47]
	s_and_saveexec_b64 s[90:91], vcc
	s_cbranch_execz .LBB10_1724
; %bb.1716:                             ;   in Loop: Header=BB10_1686 Depth=2
	s_mov_b32 s79, 0
	s_mov_b64 s[92:93], 0
                                        ; implicit-def: $sgpr94_sgpr95
                                        ; implicit-def: $sgpr30_sgpr31
	s_branch .LBB10_1718
.LBB10_1717:                            ;   in Loop: Header=BB10_1718 Depth=3
	s_or_b64 exec, exec, s[36:37]
	s_and_b64 vcc, exec, vcc
	s_or_b64 s[92:93], vcc, s[92:93]
	s_andn2_b64 s[94:95], s[94:95], exec
	s_and_b64 vcc, s[30:31], exec
	s_or_b64 s[94:95], s[94:95], vcc
	s_andn2_b64 exec, exec, s[92:93]
	s_cbranch_execz .LBB10_1722
.LBB10_1718:                            ;   Parent Loop BB10_47 Depth=1
                                        ;     Parent Loop BB10_1686 Depth=2
                                        ; =>    This Inner Loop Header: Depth=3
	s_add_i32 s79, s79, 1
	s_cmpk_lg_i32 s79, 0x2710
	s_cselect_b64 s[34:35], -1, 0
	s_and_b64 vcc, exec, s[34:35]
	s_cbranch_vccz .LBB10_1720
; %bb.1719:                             ;   in Loop: Header=BB10_1718 Depth=3
	s_mov_b64 vcc, -1
	s_or_b64 s[30:31], s[30:31], exec
	s_and_saveexec_b64 s[36:37], s[34:35]
	s_cbranch_execz .LBB10_1717
	s_branch .LBB10_1721
.LBB10_1720:                            ;   in Loop: Header=BB10_1718 Depth=3
	s_trap 2
	ds_read_b64 v[0:1], v0
	s_andn2_b64 s[34:35], s[34:35], exec
	s_mov_b32 s79, 0
	s_waitcnt lgkmcnt(0)
	flat_load_dword v0, v[0:1] glc
	s_waitcnt vmcnt(0) lgkmcnt(0)
	buffer_wbinvl1_vol
	v_cmp_eq_u32_e32 vcc, 0, v0
	s_and_b64 vcc, vcc, exec
	s_or_b64 s[34:35], s[34:35], vcc
	s_mov_b64 vcc, -1
	s_or_b64 s[30:31], s[30:31], exec
	s_and_saveexec_b64 s[36:37], s[34:35]
	s_cbranch_execz .LBB10_1717
.LBB10_1721:                            ;   in Loop: Header=BB10_1718 Depth=3
	s_sleep 1
	s_trap 2
	ds_read_b64 v[0:1], v0
	s_waitcnt lgkmcnt(0)
	s_andn2_b64 s[30:31], s[30:31], exec
	v_cmp_ge_u64_e32 vcc, v[0:1], v[46:47]
	s_orn2_b64 vcc, vcc, exec
	s_branch .LBB10_1717
.LBB10_1722:                            ;   in Loop: Header=BB10_1686 Depth=2
	s_or_b64 exec, exec, s[92:93]
	s_and_saveexec_b64 s[92:93], s[94:95]
	s_xor_b64 s[92:93], exec, s[92:93]
	s_cbranch_execz .LBB10_1724
; %bb.1723:                             ;   in Loop: Header=BB10_1686 Depth=2
	v_mov_b32_e32 v0, 1
	ds_write_b32 v0, v0
	s_trap 2
.LBB10_1724:                            ;   in Loop: Header=BB10_1686 Depth=2
	s_or_b64 exec, exec, s[90:91]
	;;#ASMSTART
	s_wakeup
	;;#ASMEND
.LBB10_1725:                            ;   in Loop: Header=BB10_1686 Depth=2
	s_or_b64 exec, exec, s[88:89]
.LBB10_1726:                            ;   in Loop: Header=BB10_1686 Depth=2
	s_andn2_saveexec_b64 s[44:45], s[44:45]
	s_cbranch_execz .LBB10_1728
; %bb.1727:                             ;   in Loop: Header=BB10_1686 Depth=2
	s_waitcnt vmcnt(0) lgkmcnt(0)
	buffer_wbinvl1_vol
	s_barrier
.LBB10_1728:                            ;   in Loop: Header=BB10_1686 Depth=2
	s_or_b64 exec, exec, s[44:45]
.LBB10_1729:                            ;   in Loop: Header=BB10_1686 Depth=2
	s_or_b64 exec, exec, s[26:27]
	s_trap 2
	ds_read_b32 v10, v0
	v_and_b32_e32 v0, 0x4000, v62
	v_cmp_ne_u32_e32 vcc, 0, v0
	s_xor_b64 s[26:27], s[6:7], -1
	s_and_b64 s[44:45], s[26:27], vcc
	s_and_saveexec_b64 s[26:27], s[44:45]
	s_cbranch_execz .LBB10_1748
; %bb.1730:                             ;   in Loop: Header=BB10_1686 Depth=2
	s_and_saveexec_b64 s[44:45], s[60:61]
	s_xor_b64 s[44:45], exec, s[44:45]
	s_cbranch_execz .LBB10_1745
; %bb.1731:                             ;   in Loop: Header=BB10_1686 Depth=2
	s_and_saveexec_b64 s[88:89], s[16:17]
	s_cbranch_execz .LBB10_1744
; %bb.1732:                             ;   in Loop: Header=BB10_1686 Depth=2
	s_mov_b64 s[92:93], exec
	v_mbcnt_lo_u32_b32 v0, s92, 0
	v_mbcnt_hi_u32_b32 v0, s93, v0
	v_cmp_eq_u32_e32 vcc, 0, v0
	s_waitcnt vmcnt(0) lgkmcnt(0)
	buffer_wbinvl1_vol
	s_and_saveexec_b64 s[90:91], vcc
	s_cbranch_execz .LBB10_1734
; %bb.1733:                             ;   in Loop: Header=BB10_1686 Depth=2
	s_bcnt1_i32_b64 s79, s[92:93]
	v_mov_b32_e32 v0, s79
	v_mov_b32_e32 v1, v2
	ds_add_u64 v0, v[0:1]
	s_trap 2
.LBB10_1734:                            ;   in Loop: Header=BB10_1686 Depth=2
	s_or_b64 exec, exec, s[90:91]
	s_trap 2
	ds_read_b64 v[0:1], v0
	s_waitcnt lgkmcnt(0)
	v_add_co_u32_e32 v46, vcc, v46, v44
	v_addc_co_u32_e32 v47, vcc, 0, v47, vcc
	v_cmp_lt_u64_e32 vcc, v[0:1], v[46:47]
	s_and_saveexec_b64 s[90:91], vcc
	s_cbranch_execz .LBB10_1743
; %bb.1735:                             ;   in Loop: Header=BB10_1686 Depth=2
	s_mov_b32 s79, 0
	s_mov_b64 s[92:93], 0
                                        ; implicit-def: $sgpr94_sgpr95
                                        ; implicit-def: $sgpr30_sgpr31
	s_branch .LBB10_1737
.LBB10_1736:                            ;   in Loop: Header=BB10_1737 Depth=3
	s_or_b64 exec, exec, s[36:37]
	s_and_b64 vcc, exec, vcc
	s_or_b64 s[92:93], vcc, s[92:93]
	s_andn2_b64 s[94:95], s[94:95], exec
	s_and_b64 vcc, s[30:31], exec
	s_or_b64 s[94:95], s[94:95], vcc
	s_andn2_b64 exec, exec, s[92:93]
	s_cbranch_execz .LBB10_1741
.LBB10_1737:                            ;   Parent Loop BB10_47 Depth=1
                                        ;     Parent Loop BB10_1686 Depth=2
                                        ; =>    This Inner Loop Header: Depth=3
	s_add_i32 s79, s79, 1
	s_cmpk_lg_i32 s79, 0x2710
	s_cselect_b64 s[34:35], -1, 0
	s_and_b64 vcc, exec, s[34:35]
	s_cbranch_vccz .LBB10_1739
; %bb.1738:                             ;   in Loop: Header=BB10_1737 Depth=3
	s_mov_b64 vcc, -1
	s_or_b64 s[30:31], s[30:31], exec
	s_and_saveexec_b64 s[36:37], s[34:35]
	s_cbranch_execz .LBB10_1736
	s_branch .LBB10_1740
.LBB10_1739:                            ;   in Loop: Header=BB10_1737 Depth=3
	s_trap 2
	ds_read_b64 v[0:1], v0
	s_andn2_b64 s[34:35], s[34:35], exec
	s_mov_b32 s79, 0
	s_waitcnt lgkmcnt(0)
	flat_load_dword v0, v[0:1] glc
	s_waitcnt vmcnt(0) lgkmcnt(0)
	buffer_wbinvl1_vol
	v_cmp_eq_u32_e32 vcc, 0, v0
	s_and_b64 vcc, vcc, exec
	s_or_b64 s[34:35], s[34:35], vcc
	s_mov_b64 vcc, -1
	s_or_b64 s[30:31], s[30:31], exec
	s_and_saveexec_b64 s[36:37], s[34:35]
	s_cbranch_execz .LBB10_1736
.LBB10_1740:                            ;   in Loop: Header=BB10_1737 Depth=3
	s_sleep 1
	s_trap 2
	ds_read_b64 v[0:1], v0
	s_waitcnt lgkmcnt(0)
	s_andn2_b64 s[30:31], s[30:31], exec
	v_cmp_ge_u64_e32 vcc, v[0:1], v[46:47]
	s_orn2_b64 vcc, vcc, exec
	s_branch .LBB10_1736
.LBB10_1741:                            ;   in Loop: Header=BB10_1686 Depth=2
	s_or_b64 exec, exec, s[92:93]
	s_and_saveexec_b64 s[92:93], s[94:95]
	s_xor_b64 s[92:93], exec, s[92:93]
	s_cbranch_execz .LBB10_1743
; %bb.1742:                             ;   in Loop: Header=BB10_1686 Depth=2
	v_mov_b32_e32 v0, 1
	ds_write_b32 v0, v0
	s_trap 2
.LBB10_1743:                            ;   in Loop: Header=BB10_1686 Depth=2
	s_or_b64 exec, exec, s[90:91]
	;;#ASMSTART
	s_wakeup
	;;#ASMEND
.LBB10_1744:                            ;   in Loop: Header=BB10_1686 Depth=2
	s_or_b64 exec, exec, s[88:89]
.LBB10_1745:                            ;   in Loop: Header=BB10_1686 Depth=2
	s_andn2_saveexec_b64 s[44:45], s[44:45]
	s_cbranch_execz .LBB10_1747
; %bb.1746:                             ;   in Loop: Header=BB10_1686 Depth=2
	s_waitcnt vmcnt(0) lgkmcnt(0)
	buffer_wbinvl1_vol
	s_barrier
.LBB10_1747:                            ;   in Loop: Header=BB10_1686 Depth=2
	s_or_b64 exec, exec, s[44:45]
.LBB10_1748:                            ;   in Loop: Header=BB10_1686 Depth=2
	s_or_b64 exec, exec, s[26:27]
	v_sub_u32_e32 v0, v37, v3
	v_min_i32_e32 v38, v38, v0
	s_trap 2
	ds_read_b64 v[0:1], v0
	s_waitcnt lgkmcnt(0)
	v_cmp_eq_u64_e32 vcc, 0, v[0:1]
	s_cbranch_vccnz .LBB10_1756
; %bb.1749:                             ;   in Loop: Header=BB10_1686 Depth=2
	s_trap 2
	ds_read_b64 v[4:5], v0
	s_waitcnt lgkmcnt(0)
	v_cmp_eq_u64_e32 vcc, 0, v[4:5]
	s_cbranch_vccnz .LBB10_1756
; %bb.1750:                             ;   in Loop: Header=BB10_1686 Depth=2
	s_mov_b64 s[26:27], -1
	s_and_saveexec_b64 s[44:45], s[20:21]
	s_cbranch_execz .LBB10_1752
; %bb.1751:                             ;   in Loop: Header=BB10_1686 Depth=2
	ds_read_b32 v6, v0 offset:720
	s_waitcnt lgkmcnt(0)
	v_and_b32_e32 v6, 15, v6
	v_cmp_eq_u32_e32 vcc, 0, v6
	s_orn2_b64 s[26:27], vcc, exec
.LBB10_1752:                            ;   in Loop: Header=BB10_1686 Depth=2
	s_or_b64 exec, exec, s[44:45]
	s_and_saveexec_b64 s[44:45], s[18:19]
	s_cbranch_execz .LBB10_1754
; %bb.1753:                             ;   in Loop: Header=BB10_1686 Depth=2
	ds_read_b32 v6, v0 offset:784
	s_waitcnt lgkmcnt(0)
	v_and_b32_e32 v6, 15, v6
	v_cmp_eq_u32_e32 vcc, 0, v6
	s_and_b64 s[88:89], s[26:27], vcc
	s_andn2_b64 s[26:27], s[26:27], exec
	s_and_b64 s[88:89], s[88:89], exec
	s_or_b64 s[26:27], s[26:27], s[88:89]
.LBB10_1754:                            ;   in Loop: Header=BB10_1686 Depth=2
	s_or_b64 exec, exec, s[44:45]
	v_cmp_eq_u32_e32 vcc, 0, v10
	s_xor_b64 s[26:27], s[26:27], -1
	v_cndmask_b32_e32 v39, 0, v38, vcc
	v_cndmask_b32_e64 v6, 0, 1, s[26:27]
	v_lshlrev_b32_e32 v52, 1, v39
	s_mov_b64 s[88:89], -1
	v_cmp_ne_u32_e32 vcc, 0, v6
	v_mov_b32_e32 v18, 0
	s_cbranch_vccz .LBB10_1761
; %bb.1755:                             ;   in Loop: Header=BB10_1686 Depth=2
	v_mov_b32_e32 v19, v55
	s_and_saveexec_b64 s[26:27], s[88:89]
	s_cbranch_execnz .LBB10_1772
	s_branch .LBB10_1780
.LBB10_1756:                            ;   in Loop: Header=BB10_1686 Depth=2
	s_mov_b64 s[26:27], 0
	s_and_saveexec_b64 s[44:45], s[10:11]
	s_cbranch_execnz .LBB10_1781
.LBB10_1757:                            ;   in Loop: Header=BB10_1686 Depth=2
	s_or_b64 exec, exec, s[44:45]
	s_and_saveexec_b64 s[44:45], s[24:25]
	s_xor_b64 s[44:45], exec, s[44:45]
	s_cbranch_execz .LBB10_1799
.LBB10_1758:                            ;   in Loop: Header=BB10_1686 Depth=2
	v_and_b32_e32 v0, 16, v62
	v_cmp_ne_u32_e32 vcc, 0, v0
	s_and_b64 s[88:89], vcc, s[26:27]
	s_and_saveexec_b64 s[26:27], s[88:89]
	s_cbranch_execz .LBB10_1760
; %bb.1759:                             ;   in Loop: Header=BB10_1686 Depth=2
	s_waitcnt vmcnt(0) lgkmcnt(0)
	buffer_wbinvl1_vol
.LBB10_1760:                            ;   in Loop: Header=BB10_1686 Depth=2
	s_or_b64 exec, exec, s[26:27]
	s_andn2_saveexec_b64 s[26:27], s[44:45]
	s_cbranch_execz .LBB10_1818
	s_branch .LBB10_1800
.LBB10_1761:                            ;   in Loop: Header=BB10_1686 Depth=2
	v_ashrrev_i32_e32 v6, 31, v52
	v_lshrrev_b32_e32 v6, 19, v6
	v_add_u32_e32 v6, v52, v6
	v_ashrrev_i32_e32 v18, 13, v6
	buffer_load_dword v6, off, s[0:3], s33 offset:152 ; 4-byte Folded Reload
	s_waitcnt vmcnt(0)
	v_sub_u32_e32 v20, v18, v6
	v_cmp_lt_i32_e32 vcc, 0, v20
	s_and_saveexec_b64 s[44:45], vcc
	s_cbranch_execz .LBB10_1765
; %bb.1762:                             ;   in Loop: Header=BB10_1686 Depth=2
	buffer_load_dword v9, off, s[0:3], s33 offset:216 ; 4-byte Folded Reload
	buffer_load_dword v19, off, s[0:3], s33 offset:220 ; 4-byte Folded Reload
	v_mov_b32_e32 v11, v5
	v_mov_b32_e32 v13, v1
	s_mov_b64 s[88:89], 0
	v_mov_b32_e32 v10, v4
	v_mov_b32_e32 v12, v0
	;; [unrolled: 1-line block ×3, first 2 shown]
.LBB10_1763:                            ;   Parent Loop BB10_47 Depth=1
                                        ;     Parent Loop BB10_1686 Depth=2
                                        ; =>    This Inner Loop Header: Depth=3
	s_waitcnt vmcnt(0)
	v_add_co_u32_e32 v14, vcc, v19, v12
	v_addc_co_u32_e32 v15, vcc, 0, v13, vcc
	global_load_dwordx4 v[21:24], v[14:15], off glc slc
	global_load_dwordx4 v[25:28], v[14:15], off offset:1024 glc slc
	global_load_dwordx4 v[29:32], v[14:15], off offset:2048 glc slc
	;; [unrolled: 1-line block ×3, first 2 shown]
	v_add_co_u32_e32 v14, vcc, s66, v14
	v_addc_co_u32_e32 v15, vcc, 0, v15, vcc
	global_load_dwordx4 v[48:51], v[14:15], off glc slc
	global_load_dwordx4 v[42:45], v[14:15], off offset:1024 glc slc
	global_load_dwordx4 v[58:61], v[14:15], off offset:2048 glc slc
	s_nop 0
	global_load_dwordx4 v[14:17], v[14:15], off offset:3072 glc slc
	v_add_co_u32_e32 v53, vcc, v19, v10
	v_addc_co_u32_e32 v54, vcc, 0, v11, vcc
	v_add_co_u32_e32 v12, vcc, v12, v9
	v_addc_co_u32_e32 v13, vcc, 0, v13, vcc
	v_sub_u32_e32 v20, v20, v6
	v_add_co_u32_e32 v10, vcc, v10, v9
	v_addc_co_u32_e32 v11, vcc, 0, v11, vcc
	v_cmp_gt_i32_e64 s[26:27], 1, v20
	v_add_co_u32_e32 v7, vcc, s66, v53
	s_or_b64 s[88:89], s[26:27], s[88:89]
	v_addc_co_u32_e32 v8, vcc, 0, v54, vcc
	s_waitcnt vmcnt(7)
	global_store_dwordx4 v[53:54], v[21:24], off glc slc
	s_waitcnt vmcnt(7)
	global_store_dwordx4 v[53:54], v[25:28], off offset:1024 glc slc
	s_waitcnt vmcnt(7)
	global_store_dwordx4 v[53:54], v[29:32], off offset:2048 glc slc
	;; [unrolled: 2-line block ×3, first 2 shown]
	s_waitcnt vmcnt(7)
	global_store_dwordx4 v[7:8], v[48:51], off glc slc
	s_waitcnt vmcnt(7)
	global_store_dwordx4 v[7:8], v[42:45], off offset:1024 glc slc
	s_waitcnt vmcnt(7)
	global_store_dwordx4 v[7:8], v[58:61], off offset:2048 glc slc
	;; [unrolled: 2-line block ×3, first 2 shown]
	s_andn2_b64 exec, exec, s[88:89]
	s_cbranch_execnz .LBB10_1763
; %bb.1764:                             ;   in Loop: Header=BB10_1686 Depth=2
	s_or_b64 exec, exec, s[88:89]
	buffer_load_dword v42, off, s[0:3], s33 offset:168 ; 4-byte Folded Reload
	buffer_load_dword v43, off, s[0:3], s33 offset:172 ; 4-byte Folded Reload
	;; [unrolled: 1-line block ×11, first 2 shown]
	s_waitcnt vmcnt(8)
	v_mov_b32_e32 v44, v6
.LBB10_1765:                            ;   in Loop: Header=BB10_1686 Depth=2
	s_or_b64 exec, exec, s[44:45]
	v_lshlrev_b32_e32 v10, 13, v18
	v_cmp_ne_u32_e32 vcc, v52, v10
	s_mov_b64 s[88:89], 0
	v_mov_b32_e32 v18, 0
                                        ; implicit-def: $vgpr19
	s_and_saveexec_b64 s[44:45], vcc
	s_cbranch_execz .LBB10_1771
; %bb.1766:                             ;   in Loop: Header=BB10_1686 Depth=2
	buffer_load_dword v8, off, s[0:3], s33 offset:188 ; 4-byte Folded Reload
	v_lshlrev_b32_e32 v7, 6, v20
	v_sub_u32_e32 v6, v52, v10
	s_waitcnt vmcnt(0)
	v_sub_u32_e32 v7, v8, v7
	v_ashrrev_i32_e32 v8, 31, v7
	v_lshrrev_b32_e32 v8, 26, v8
	v_add_u32_e32 v8, v7, v8
	v_ashrrev_i32_e32 v9, 6, v8
	v_and_b32_e32 v8, 0xffffffc0, v8
	v_sub_u32_e32 v11, v7, v8
	v_ashrrev_i32_e32 v8, 31, v6
	v_lshrrev_b32_e32 v8, 22, v8
	v_add_u32_e32 v8, v6, v8
	v_and_b32_e32 v12, 0xfffffc00, v8
	v_lshlrev_b32_e32 v7, 4, v11
	v_sub_u32_e32 v13, v6, v12
	v_lshl_add_u32 v7, v9, 10, v7
	v_ashrrev_i32_e32 v14, 10, v8
	v_cmp_lt_i32_e32 vcc, 15, v13
	v_sub_u32_e32 v18, v6, v7
	v_addc_co_u32_e64 v6, s[26:27], 0, v14, vcc
	v_sub_u32_e32 v19, v6, v9
	v_cmp_lt_i32_e64 s[26:27], 15, v18
	s_and_saveexec_b64 s[88:89], s[26:27]
	s_cbranch_execz .LBB10_1770
; %bb.1767:                             ;   in Loop: Header=BB10_1686 Depth=2
	v_add_u32_e32 v7, v7, v10
	v_ashrrev_i32_e32 v20, 31, v7
	s_mov_b64 s[90:91], 0
.LBB10_1768:                            ;   Parent Loop BB10_47 Depth=1
                                        ;     Parent Loop BB10_1686 Depth=2
                                        ; =>    This Inner Loop Header: Depth=3
	v_add_co_u32_e64 v8, s[26:27], v0, v7
	v_addc_co_u32_e64 v9, s[26:27], v1, v20, s[26:27]
	global_load_dwordx4 v[14:17], v[8:9], off glc slc
	v_add_co_u32_e64 v8, s[26:27], v4, v7
	v_addc_co_u32_e64 v9, s[26:27], v5, v20, s[26:27]
	v_add_co_u32_e64 v7, s[26:27], v7, v45
	v_sub_u32_e32 v18, v18, v45
	v_addc_co_u32_e64 v20, s[26:27], 0, v20, s[26:27]
	v_cmp_gt_i32_e64 s[26:27], 16, v18
	v_sub_u32_e32 v19, v19, v44
	s_or_b64 s[90:91], s[26:27], s[90:91]
	s_waitcnt vmcnt(0)
	global_store_dwordx4 v[8:9], v[14:17], off glc slc
	s_andn2_b64 exec, exec, s[90:91]
	s_cbranch_execnz .LBB10_1768
; %bb.1769:                             ;   in Loop: Header=BB10_1686 Depth=2
	s_or_b64 exec, exec, s[90:91]
.LBB10_1770:                            ;   in Loop: Header=BB10_1686 Depth=2
	s_or_b64 exec, exec, s[88:89]
	v_and_b32_e32 v6, 14, v52
	v_sub_u32_e32 v7, v13, v6
	v_cndmask_b32_e32 v7, 0, v7, vcc
	v_cndmask_b32_e32 v52, v13, v6, vcc
	v_cmp_lt_i32_e32 vcc, 0, v19
	v_cndmask_b32_e32 v6, 0, v44, vcc
	v_sub_u32_e32 v6, v6, v19
	v_cmp_ne_u32_e32 vcc, 0, v52
	v_add3_u32 v18, v12, v10, v7
	v_lshl_add_u32 v19, v6, 6, v11
	s_and_b64 s[88:89], vcc, exec
.LBB10_1771:                            ;   in Loop: Header=BB10_1686 Depth=2
	s_or_b64 exec, exec, s[44:45]
	s_and_saveexec_b64 s[26:27], s[88:89]
	s_cbranch_execz .LBB10_1780
.LBB10_1772:                            ;   in Loop: Header=BB10_1686 Depth=2
	v_ashrrev_i32_e32 v6, 31, v19
	v_lshrrev_b32_e32 v6, 26, v6
	v_add_u32_e32 v7, v19, v6
	v_ashrrev_i32_e32 v6, 31, v52
	v_lshrrev_b32_e32 v6, 21, v6
	v_add_u32_e32 v6, v52, v6
	v_ashrrev_i32_e32 v20, 6, v7
	v_ashrrev_i32_e32 v22, 11, v6
	v_sub_u32_e32 v21, v22, v20
	v_cmp_lt_i32_e32 vcc, 0, v21
	s_and_saveexec_b64 s[44:45], vcc
	s_cbranch_execz .LBB10_1776
; %bb.1773:                             ;   in Loop: Header=BB10_1686 Depth=2
	v_and_b32_e32 v6, 0x7fffffc0, v7
	v_sub_u32_e32 v6, v19, v6
	v_lshlrev_b32_e32 v6, 1, v6
	v_lshlrev_b32_e32 v7, 11, v20
	v_add3_u32 v23, v6, v18, v7
	v_mov_b32_e32 v11, v5
	v_mov_b32_e32 v13, v1
	v_ashrrev_i32_e32 v24, 31, v23
	s_mov_b64 s[88:89], 0
	v_mov_b32_e32 v10, v4
	v_mov_b32_e32 v12, v0
.LBB10_1774:                            ;   Parent Loop BB10_47 Depth=1
                                        ;     Parent Loop BB10_1686 Depth=2
                                        ; =>    This Inner Loop Header: Depth=3
	v_add_co_u32_e32 v7, vcc, v23, v12
	v_addc_co_u32_e32 v8, vcc, v24, v13, vcc
	flat_load_ushort v6, v[7:8] glc slc
	flat_load_ushort v9, v[7:8] offset:128 glc slc
	flat_load_ushort v14, v[7:8] offset:256 glc slc
	;; [unrolled: 1-line block ×15, first 2 shown]
	v_add_co_u32_e32 v7, vcc, v23, v10
	v_addc_co_u32_e32 v8, vcc, v24, v11, vcc
	s_waitcnt vmcnt(0)
	v_add_co_u32_e32 v12, vcc, v12, v58
	v_addc_co_u32_e32 v13, vcc, 0, v13, vcc
	v_add_co_u32_e32 v10, vcc, v10, v58
	v_sub_u32_e32 v21, v21, v44
	v_addc_co_u32_e32 v11, vcc, 0, v11, vcc
	v_cmp_gt_i32_e32 vcc, 1, v21
	s_or_b64 s[88:89], vcc, s[88:89]
	s_waitcnt lgkmcnt(0)
	flat_store_short v[7:8], v6 glc slc
	flat_store_short v[7:8], v9 offset:128 glc slc
	flat_store_short v[7:8], v14 offset:256 glc slc
	;; [unrolled: 1-line block ×15, first 2 shown]
	s_andn2_b64 exec, exec, s[88:89]
	s_cbranch_execnz .LBB10_1774
; %bb.1775:                             ;   in Loop: Header=BB10_1686 Depth=2
	s_or_b64 exec, exec, s[88:89]
.LBB10_1776:                            ;   in Loop: Header=BB10_1686 Depth=2
	s_or_b64 exec, exec, s[44:45]
	v_lshlrev_b32_e32 v7, 11, v22
	v_cmp_ne_u32_e32 vcc, v52, v7
	s_and_b64 exec, exec, vcc
	s_cbranch_execz .LBB10_1780
; %bb.1777:                             ;   in Loop: Header=BB10_1686 Depth=2
	v_lshlrev_b32_e32 v6, 6, v20
	v_sub_u32_e32 v6, v19, v6
	v_lshlrev_b32_e32 v8, 6, v21
	v_sub_u32_e32 v6, v6, v8
	v_ashrrev_i32_e32 v8, 31, v6
	v_lshrrev_b32_e32 v8, 26, v8
	v_add_u32_e32 v8, v6, v8
	v_and_b32_e32 v9, 0x7fffffc0, v8
	v_sub_u32_e32 v6, v6, v9
	v_lshlrev_b32_e32 v8, 1, v8
	v_and_b32_e32 v8, 0xffffff80, v8
	v_lshlrev_b32_e32 v6, 1, v6
	v_add3_u32 v10, v8, v6, v7
	v_sub_u32_e32 v7, v52, v10
	v_cmp_lt_i32_e32 vcc, 1, v7
	s_and_b64 exec, exec, vcc
	s_cbranch_execz .LBB10_1780
; %bb.1778:                             ;   in Loop: Header=BB10_1686 Depth=2
	v_add_u32_e32 v10, v10, v18
	v_ashrrev_i32_e32 v11, 31, v10
	s_mov_b64 s[44:45], 0
.LBB10_1779:                            ;   Parent Loop BB10_47 Depth=1
                                        ;     Parent Loop BB10_1686 Depth=2
                                        ; =>    This Inner Loop Header: Depth=3
	v_add_co_u32_e32 v8, vcc, v0, v10
	v_addc_co_u32_e32 v9, vcc, v1, v11, vcc
	flat_load_ushort v6, v[8:9] glc slc
	v_add_co_u32_e32 v8, vcc, v4, v10
	v_addc_co_u32_e32 v9, vcc, v5, v11, vcc
	s_waitcnt vmcnt(0)
	v_add_co_u32_e32 v10, vcc, v10, v53
	v_sub_u32_e32 v7, v7, v53
	v_addc_co_u32_e32 v11, vcc, 0, v11, vcc
	v_cmp_gt_i32_e32 vcc, 2, v7
	s_or_b64 s[44:45], vcc, s[44:45]
	s_waitcnt lgkmcnt(0)
	flat_store_short v[8:9], v6 glc slc
	s_andn2_b64 exec, exec, s[44:45]
	s_cbranch_execnz .LBB10_1779
.LBB10_1780:                            ;   in Loop: Header=BB10_1686 Depth=2
	s_or_b64 exec, exec, s[26:27]
	v_cmp_lt_i32_e64 s[26:27], 0, v39
	s_and_saveexec_b64 s[44:45], s[10:11]
	s_cbranch_execz .LBB10_1757
.LBB10_1781:                            ;   in Loop: Header=BB10_1686 Depth=2
	s_and_saveexec_b64 s[88:89], s[60:61]
	s_xor_b64 s[88:89], exec, s[88:89]
	s_cbranch_execz .LBB10_1796
; %bb.1782:                             ;   in Loop: Header=BB10_1686 Depth=2
	s_and_saveexec_b64 s[90:91], s[16:17]
	s_cbranch_execz .LBB10_1795
; %bb.1783:                             ;   in Loop: Header=BB10_1686 Depth=2
	s_mov_b64 s[94:95], exec
	v_mbcnt_lo_u32_b32 v0, s94, 0
	v_mbcnt_hi_u32_b32 v0, s95, v0
	v_cmp_eq_u32_e32 vcc, 0, v0
	s_waitcnt vmcnt(0) lgkmcnt(0)
	buffer_wbinvl1_vol
	s_and_saveexec_b64 s[92:93], vcc
	s_cbranch_execz .LBB10_1785
; %bb.1784:                             ;   in Loop: Header=BB10_1686 Depth=2
	s_bcnt1_i32_b64 s79, s[94:95]
	v_mov_b32_e32 v0, s79
	v_mov_b32_e32 v1, v2
	ds_add_u64 v0, v[0:1]
	s_trap 2
.LBB10_1785:                            ;   in Loop: Header=BB10_1686 Depth=2
	s_or_b64 exec, exec, s[92:93]
	s_trap 2
	ds_read_b64 v[0:1], v0
	s_waitcnt lgkmcnt(0)
	v_add_co_u32_e32 v46, vcc, v46, v44
	v_addc_co_u32_e32 v47, vcc, 0, v47, vcc
	v_cmp_lt_u64_e32 vcc, v[0:1], v[46:47]
	s_and_saveexec_b64 s[92:93], vcc
	s_cbranch_execz .LBB10_1794
; %bb.1786:                             ;   in Loop: Header=BB10_1686 Depth=2
	s_mov_b32 s79, 0
	s_mov_b64 s[94:95], 0
                                        ; implicit-def: $sgpr30_sgpr31
                                        ; implicit-def: $sgpr34_sgpr35
	s_branch .LBB10_1788
.LBB10_1787:                            ;   in Loop: Header=BB10_1788 Depth=3
	s_or_b64 exec, exec, s[38:39]
	s_and_b64 vcc, exec, vcc
	s_or_b64 s[94:95], vcc, s[94:95]
	s_andn2_b64 vcc, s[30:31], exec
	s_and_b64 s[30:31], s[34:35], exec
	s_or_b64 s[30:31], vcc, s[30:31]
	s_andn2_b64 exec, exec, s[94:95]
	s_cbranch_execz .LBB10_1792
.LBB10_1788:                            ;   Parent Loop BB10_47 Depth=1
                                        ;     Parent Loop BB10_1686 Depth=2
                                        ; =>    This Inner Loop Header: Depth=3
	s_add_i32 s79, s79, 1
	s_cmpk_lg_i32 s79, 0x2710
	s_cselect_b64 s[36:37], -1, 0
	s_and_b64 vcc, exec, s[36:37]
	s_cbranch_vccz .LBB10_1790
; %bb.1789:                             ;   in Loop: Header=BB10_1788 Depth=3
	s_mov_b64 vcc, -1
	s_or_b64 s[34:35], s[34:35], exec
	s_and_saveexec_b64 s[38:39], s[36:37]
	s_cbranch_execz .LBB10_1787
	s_branch .LBB10_1791
.LBB10_1790:                            ;   in Loop: Header=BB10_1788 Depth=3
	s_trap 2
	ds_read_b64 v[0:1], v0
	s_andn2_b64 s[36:37], s[36:37], exec
	s_mov_b32 s79, 0
	s_waitcnt lgkmcnt(0)
	flat_load_dword v0, v[0:1] glc
	s_waitcnt vmcnt(0) lgkmcnt(0)
	buffer_wbinvl1_vol
	v_cmp_eq_u32_e32 vcc, 0, v0
	s_and_b64 vcc, vcc, exec
	s_or_b64 s[36:37], s[36:37], vcc
	s_mov_b64 vcc, -1
	s_or_b64 s[34:35], s[34:35], exec
	s_and_saveexec_b64 s[38:39], s[36:37]
	s_cbranch_execz .LBB10_1787
.LBB10_1791:                            ;   in Loop: Header=BB10_1788 Depth=3
	s_sleep 1
	s_trap 2
	ds_read_b64 v[0:1], v0
	s_waitcnt lgkmcnt(0)
	s_andn2_b64 s[34:35], s[34:35], exec
	v_cmp_ge_u64_e32 vcc, v[0:1], v[46:47]
	s_orn2_b64 vcc, vcc, exec
	s_branch .LBB10_1787
.LBB10_1792:                            ;   in Loop: Header=BB10_1686 Depth=2
	s_or_b64 exec, exec, s[94:95]
	s_and_saveexec_b64 s[94:95], s[30:31]
	s_xor_b64 s[94:95], exec, s[94:95]
	s_cbranch_execz .LBB10_1794
; %bb.1793:                             ;   in Loop: Header=BB10_1686 Depth=2
	v_mov_b32_e32 v0, 1
	ds_write_b32 v0, v0
	s_trap 2
.LBB10_1794:                            ;   in Loop: Header=BB10_1686 Depth=2
	s_or_b64 exec, exec, s[92:93]
	;;#ASMSTART
	s_wakeup
	;;#ASMEND
.LBB10_1795:                            ;   in Loop: Header=BB10_1686 Depth=2
	s_or_b64 exec, exec, s[90:91]
.LBB10_1796:                            ;   in Loop: Header=BB10_1686 Depth=2
	s_andn2_saveexec_b64 s[88:89], s[88:89]
	s_cbranch_execz .LBB10_1798
; %bb.1797:                             ;   in Loop: Header=BB10_1686 Depth=2
	s_waitcnt vmcnt(0) lgkmcnt(0)
	buffer_wbinvl1_vol
	s_barrier
.LBB10_1798:                            ;   in Loop: Header=BB10_1686 Depth=2
	s_or_b64 exec, exec, s[88:89]
	s_or_b64 exec, exec, s[44:45]
	s_and_saveexec_b64 s[44:45], s[24:25]
	s_xor_b64 s[44:45], exec, s[44:45]
	s_cbranch_execnz .LBB10_1758
.LBB10_1799:                            ;   in Loop: Header=BB10_1686 Depth=2
	s_andn2_saveexec_b64 s[26:27], s[44:45]
	s_cbranch_execz .LBB10_1818
.LBB10_1800:                            ;   in Loop: Header=BB10_1686 Depth=2
	s_and_saveexec_b64 s[44:45], s[60:61]
	s_xor_b64 s[44:45], exec, s[44:45]
	s_cbranch_execz .LBB10_1815
; %bb.1801:                             ;   in Loop: Header=BB10_1686 Depth=2
	s_and_saveexec_b64 s[88:89], s[16:17]
	s_cbranch_execz .LBB10_1814
; %bb.1802:                             ;   in Loop: Header=BB10_1686 Depth=2
	s_mov_b64 s[92:93], exec
	v_mbcnt_lo_u32_b32 v0, s92, 0
	v_mbcnt_hi_u32_b32 v0, s93, v0
	v_cmp_eq_u32_e32 vcc, 0, v0
	;;#ASMSTART
	s_waitcnt lgkmcnt(0) vmcnt(0)
	;;#ASMEND
	s_and_saveexec_b64 s[90:91], vcc
	s_cbranch_execz .LBB10_1804
; %bb.1803:                             ;   in Loop: Header=BB10_1686 Depth=2
	s_bcnt1_i32_b64 s79, s[92:93]
	v_mov_b32_e32 v0, s79
	v_mov_b32_e32 v1, v2
	s_waitcnt lgkmcnt(0)
	ds_add_u64 v0, v[0:1]
	s_trap 2
.LBB10_1804:                            ;   in Loop: Header=BB10_1686 Depth=2
	s_or_b64 exec, exec, s[90:91]
	s_trap 2
	ds_read_b64 v[0:1], v0
	s_waitcnt lgkmcnt(0)
	v_add_co_u32_e32 v46, vcc, v46, v44
	v_addc_co_u32_e32 v47, vcc, 0, v47, vcc
	v_cmp_lt_u64_e32 vcc, v[0:1], v[46:47]
	s_and_saveexec_b64 s[90:91], vcc
	s_cbranch_execz .LBB10_1813
; %bb.1805:                             ;   in Loop: Header=BB10_1686 Depth=2
	s_mov_b32 s79, 0
	s_mov_b64 s[92:93], 0
                                        ; implicit-def: $sgpr94_sgpr95
                                        ; implicit-def: $sgpr30_sgpr31
	s_branch .LBB10_1807
.LBB10_1806:                            ;   in Loop: Header=BB10_1807 Depth=3
	s_or_b64 exec, exec, s[36:37]
	s_and_b64 vcc, exec, vcc
	s_or_b64 s[92:93], vcc, s[92:93]
	s_andn2_b64 s[94:95], s[94:95], exec
	s_and_b64 vcc, s[30:31], exec
	s_or_b64 s[94:95], s[94:95], vcc
	s_andn2_b64 exec, exec, s[92:93]
	s_cbranch_execz .LBB10_1811
.LBB10_1807:                            ;   Parent Loop BB10_47 Depth=1
                                        ;     Parent Loop BB10_1686 Depth=2
                                        ; =>    This Inner Loop Header: Depth=3
	s_add_i32 s79, s79, 1
	s_cmpk_lg_i32 s79, 0x2710
	s_cselect_b64 s[34:35], -1, 0
	s_and_b64 vcc, exec, s[34:35]
	s_cbranch_vccz .LBB10_1809
; %bb.1808:                             ;   in Loop: Header=BB10_1807 Depth=3
	s_mov_b64 vcc, -1
	s_or_b64 s[30:31], s[30:31], exec
	s_and_saveexec_b64 s[36:37], s[34:35]
	s_cbranch_execz .LBB10_1806
	s_branch .LBB10_1810
.LBB10_1809:                            ;   in Loop: Header=BB10_1807 Depth=3
	s_trap 2
	ds_read_b64 v[0:1], v0
	s_andn2_b64 s[34:35], s[34:35], exec
	s_mov_b32 s79, 0
	s_waitcnt vmcnt(0) lgkmcnt(0)
	flat_load_dword v0, v[0:1] glc
	s_waitcnt vmcnt(0) lgkmcnt(0)
	buffer_wbinvl1_vol
	v_cmp_eq_u32_e32 vcc, 0, v0
	s_and_b64 vcc, vcc, exec
	s_or_b64 s[34:35], s[34:35], vcc
	s_mov_b64 vcc, -1
	s_or_b64 s[30:31], s[30:31], exec
	s_and_saveexec_b64 s[36:37], s[34:35]
	s_cbranch_execz .LBB10_1806
.LBB10_1810:                            ;   in Loop: Header=BB10_1807 Depth=3
	s_sleep 1
	s_trap 2
	ds_read_b64 v[0:1], v0
	s_waitcnt lgkmcnt(0)
	s_andn2_b64 s[30:31], s[30:31], exec
	v_cmp_ge_u64_e32 vcc, v[0:1], v[46:47]
	s_orn2_b64 vcc, vcc, exec
	s_branch .LBB10_1806
.LBB10_1811:                            ;   in Loop: Header=BB10_1686 Depth=2
	s_or_b64 exec, exec, s[92:93]
	s_and_saveexec_b64 s[92:93], s[94:95]
	s_xor_b64 s[92:93], exec, s[92:93]
	s_cbranch_execz .LBB10_1813
; %bb.1812:                             ;   in Loop: Header=BB10_1686 Depth=2
	v_mov_b32_e32 v0, 1
	ds_write_b32 v0, v0
	s_trap 2
.LBB10_1813:                            ;   in Loop: Header=BB10_1686 Depth=2
	s_or_b64 exec, exec, s[90:91]
	;;#ASMSTART
	s_wakeup
	;;#ASMEND
.LBB10_1814:                            ;   in Loop: Header=BB10_1686 Depth=2
	s_or_b64 exec, exec, s[88:89]
.LBB10_1815:                            ;   in Loop: Header=BB10_1686 Depth=2
	s_andn2_saveexec_b64 s[44:45], s[44:45]
	s_cbranch_execz .LBB10_1817
; %bb.1816:                             ;   in Loop: Header=BB10_1686 Depth=2
	;;#ASMSTART
	s_waitcnt lgkmcnt(0) vmcnt(0)
	;;#ASMEND
	s_waitcnt vmcnt(0) lgkmcnt(0)
	s_barrier
.LBB10_1817:                            ;   in Loop: Header=BB10_1686 Depth=2
	s_or_b64 exec, exec, s[44:45]
.LBB10_1818:                            ;   in Loop: Header=BB10_1686 Depth=2
	s_or_b64 exec, exec, s[26:27]
	v_and_b32_e32 v0, 32, v62
	v_cmp_ne_u32_e32 vcc, 0, v0
	s_and_saveexec_b64 s[26:27], vcc
	s_cbranch_execz .LBB10_1685
; %bb.1819:                             ;   in Loop: Header=BB10_1686 Depth=2
	buffer_load_dword v0, off, s[0:3], s33 offset:60 ; 4-byte Folded Reload
	buffer_load_dword v1, off, s[0:3], s33 offset:64 ; 4-byte Folded Reload
	s_waitcnt vmcnt(0)
	v_add_co_u32_e32 v0, vcc, 2, v0
	v_addc_co_u32_e32 v1, vcc, 0, v1, vcc
	buffer_store_dword v0, off, s[0:3], s33 offset:60 ; 4-byte Folded Spill
	s_nop 0
	buffer_store_dword v1, off, s[0:3], s33 offset:64 ; 4-byte Folded Spill
	flat_store_dwordx2 v[40:41], v[0:1]
	s_branch .LBB10_1685
.LBB10_1820:                            ;   in Loop: Header=BB10_47 Depth=1
	s_or_b64 exec, exec, s[40:41]
.LBB10_1821:                            ;   in Loop: Header=BB10_47 Depth=1
	s_or_b64 exec, exec, s[28:29]
	v_cmp_gt_i32_e32 vcc, 2, v4
	s_and_saveexec_b64 s[28:29], vcc
	s_cbranch_execz .LBB10_46
; %bb.1822:                             ;   in Loop: Header=BB10_47 Depth=1
	v_cmp_eq_u32_e64 s[42:43], 0, v4
	s_mov_b64 s[40:41], 0
	s_branch .LBB10_1824
.LBB10_1823:                            ;   in Loop: Header=BB10_1824 Depth=2
	s_or_b64 exec, exec, s[26:27]
	v_add_u32_e32 v3, v38, v3
	s_mov_b64 s[42:43], 0
	s_andn2_b64 exec, exec, s[40:41]
	s_cbranch_execz .LBB10_45
.LBB10_1824:                            ;   Parent Loop BB10_47 Depth=1
                                        ; =>  This Loop Header: Depth=2
                                        ;       Child Loop BB10_1830 Depth 3
                                        ;       Child Loop BB10_1854 Depth 3
	;; [unrolled: 1-line block ×3, first 2 shown]
	v_and_b32_e32 v0, 4, v62
	v_cmp_ne_u32_e32 vcc, 0, v0
	s_and_saveexec_b64 s[44:45], vcc
	s_cbranch_execz .LBB10_1846
; %bb.1825:                             ;   in Loop: Header=BB10_1824 Depth=2
	buffer_load_dword v0, off, s[0:3], s33 offset:60 ; 4-byte Folded Reload
	buffer_load_dword v1, off, s[0:3], s33 offset:64 ; 4-byte Folded Reload
	s_waitcnt vmcnt(0)
	v_add_co_u32_e32 v0, vcc, 2, v0
	v_addc_co_u32_e32 v1, vcc, 0, v1, vcc
	s_waitcnt lgkmcnt(0)
	v_cmp_lt_u64_e32 vcc, v[56:57], v[0:1]
	s_and_saveexec_b64 s[88:89], vcc
	s_cbranch_execz .LBB10_1837
; %bb.1826:                             ;   in Loop: Header=BB10_1824 Depth=2
	v_and_b32_e32 v4, 64, v62
	s_mov_b32 s58, 0
	v_cmp_eq_u32_e32 vcc, 0, v4
	s_mov_b64 s[90:91], 0
                                        ; implicit-def: $sgpr92_sgpr93
                                        ; implicit-def: $sgpr94_sgpr95
                                        ; implicit-def: $sgpr30_sgpr31
	s_branch .LBB10_1830
.LBB10_1827:                            ;   in Loop: Header=BB10_1830 Depth=3
	s_waitcnt vmcnt(0) lgkmcnt(0)
	v_cmp_ge_u64_e64 s[26:27], v[56:57], v[0:1]
	s_or_b64 s[38:39], s[38:39], exec
	s_orn2_b64 s[36:37], s[26:27], exec
.LBB10_1828:                            ;   in Loop: Header=BB10_1830 Depth=3
	s_or_b64 exec, exec, s[50:51]
	s_andn2_b64 s[26:27], s[30:31], exec
	s_and_b64 s[30:31], s[38:39], exec
	s_or_b64 s[30:31], s[26:27], s[30:31]
	s_andn2_b64 s[26:27], s[94:95], exec
	s_and_b64 s[94:95], s[36:37], exec
	s_or_b64 s[94:95], s[26:27], s[94:95]
.LBB10_1829:                            ;   in Loop: Header=BB10_1830 Depth=3
	s_or_b64 exec, exec, s[34:35]
	s_and_b64 s[26:27], exec, s[94:95]
	s_or_b64 s[90:91], s[26:27], s[90:91]
	s_andn2_b64 s[26:27], s[92:93], exec
	s_and_b64 s[92:93], s[30:31], exec
	s_or_b64 s[92:93], s[26:27], s[92:93]
	s_andn2_b64 exec, exec, s[90:91]
	s_cbranch_execz .LBB10_1834
.LBB10_1830:                            ;   Parent Loop BB10_47 Depth=1
                                        ;     Parent Loop BB10_1824 Depth=2
                                        ; =>    This Inner Loop Header: Depth=3
	s_sleep 1
	s_waitcnt vmcnt(0) lgkmcnt(0)
	flat_load_dwordx2 v[56:57], v[40:41] glc
	s_or_b64 s[30:31], s[30:31], exec
	s_or_b64 s[94:95], s[94:95], exec
                                        ; implicit-def: $vgpr4
	s_and_saveexec_b64 s[34:35], vcc
	s_cbranch_execz .LBB10_1829
; %bb.1831:                             ;   in Loop: Header=BB10_1830 Depth=3
	s_cmpk_lt_i32 s58, 0x270f
	s_cselect_b64 s[48:49], -1, 0
	s_cmpk_gt_i32 s58, 0x270e
	s_mov_b64 s[36:37], -1
	s_cbranch_scc0 .LBB10_1833
; %bb.1832:                             ;   in Loop: Header=BB10_1830 Depth=3
	s_trap 2
	ds_read_b64 v[4:5], v0
	s_andn2_b64 s[48:49], s[48:49], exec
	s_mov_b32 s58, 0
	s_mov_b64 s[38:39], 0
	s_waitcnt vmcnt(0) lgkmcnt(0)
	flat_load_dword v4, v[4:5] glc
	s_waitcnt vmcnt(0) lgkmcnt(0)
	buffer_wbinvl1_vol
	v_cmp_eq_u32_e64 s[26:27], 0, v4
	s_and_b64 s[26:27], s[26:27], exec
	s_or_b64 s[48:49], s[48:49], s[26:27]
	s_and_saveexec_b64 s[50:51], s[48:49]
	s_cbranch_execz .LBB10_1828
	s_branch .LBB10_1827
.LBB10_1833:                            ;   in Loop: Header=BB10_1830 Depth=3
	s_add_i32 s58, s58, 1
	s_mov_b64 s[38:39], -1
                                        ; implicit-def: $vgpr4
	s_and_saveexec_b64 s[50:51], s[48:49]
	s_cbranch_execz .LBB10_1828
	s_branch .LBB10_1827
.LBB10_1834:                            ;   in Loop: Header=BB10_1824 Depth=2
	s_or_b64 exec, exec, s[90:91]
	s_xor_b64 s[26:27], s[92:93], -1
	s_and_saveexec_b64 s[90:91], s[26:27]
	s_xor_b64 s[26:27], exec, s[90:91]
	s_cbranch_execz .LBB10_1836
; %bb.1835:                             ;   in Loop: Header=BB10_1824 Depth=2
	v_or_b32_e32 v62, 64, v62
	s_waitcnt lgkmcnt(0)
	ds_write_b32 v0, v4
	s_trap 2
.LBB10_1836:                            ;   in Loop: Header=BB10_1824 Depth=2
	s_or_b64 exec, exec, s[26:27]
.LBB10_1837:                            ;   in Loop: Header=BB10_1824 Depth=2
	s_or_b64 exec, exec, s[88:89]
	v_and_b32_e32 v4, 0x100, v62
	;;#ASMSTART
	s_wakeup
	;;#ASMEND
	v_cmp_ne_u32_e32 vcc, 0, v4
	buffer_load_dword v4, off, s[0:3], s33 offset:60 ; 4-byte Folded Reload
	buffer_load_dword v5, off, s[0:3], s33 offset:64 ; 4-byte Folded Reload
	s_mov_b64 s[26:27], -1
	s_waitcnt vmcnt(0)
	v_and_b32_e32 v7, 7, v4
                                        ; implicit-def: $vgpr4_vgpr5
	s_and_saveexec_b64 s[88:89], vcc
	s_cbranch_execz .LBB10_1841
; %bb.1838:                             ;   in Loop: Header=BB10_1824 Depth=2
	v_mad_u64_u32 v[8:9], s[26:27], v7, 24, v[42:43]
	flat_load_dword v4, v[8:9]
	s_waitcnt vmcnt(0) lgkmcnt(0)
	v_cmp_ne_u32_e32 vcc, 1, v4
	v_cmp_eq_u32_e64 s[26:27], 1, v4
                                        ; implicit-def: $vgpr4_vgpr5
	s_and_saveexec_b64 s[90:91], s[26:27]
	s_cbranch_execz .LBB10_1840
; %bb.1839:                             ;   in Loop: Header=BB10_1824 Depth=2
	flat_load_dword v4, v[8:9] offset:4 glc
	s_waitcnt vmcnt(0) lgkmcnt(0)
	v_ashrrev_i32_e32 v5, 31, v4
	v_lshrrev_b64 v[4:5], 1, v[4:5]
.LBB10_1840:                            ;   in Loop: Header=BB10_1824 Depth=2
	s_or_b64 exec, exec, s[90:91]
	s_orn2_b64 s[26:27], vcc, exec
.LBB10_1841:                            ;   in Loop: Header=BB10_1824 Depth=2
	s_or_b64 exec, exec, s[88:89]
	s_and_saveexec_b64 s[88:89], s[26:27]
; %bb.1842:                             ;   in Loop: Header=BB10_1824 Depth=2
	v_mad_i64_i32 v[4:5], s[26:27], v7, v54, 0
; %bb.1843:                             ;   in Loop: Header=BB10_1824 Depth=2
	s_or_b64 exec, exec, s[88:89]
	buffer_load_dword v6, off, s[0:3], s33 offset:84 ; 4-byte Folded Reload
	buffer_load_dword v7, off, s[0:3], s33 offset:88 ; 4-byte Folded Reload
	v_lshlrev_b64 v[4:5], 1, v[4:5]
	s_waitcnt vmcnt(0)
	v_add_co_u32_e32 v4, vcc, v6, v4
	v_addc_co_u32_e32 v5, vcc, v7, v5, vcc
	ds_write_b64 v0, v[4:5] offset:720
	v_and_b32_e32 v4, 0x2000, v62
	v_cmp_ne_u32_e32 vcc, 0, v4
	s_and_saveexec_b64 s[26:27], vcc
	s_cbranch_execz .LBB10_1845
; %bb.1844:                             ;   in Loop: Header=BB10_1824 Depth=2
	ds_read_b64 v[4:5], v0 offset:872
	s_waitcnt lgkmcnt(0)
	v_add_co_u32_e32 v4, vcc, 1, v4
	v_addc_co_u32_e32 v5, vcc, 0, v5, vcc
	ds_write_b64 v0, v[4:5] offset:872
.LBB10_1845:                            ;   in Loop: Header=BB10_1824 Depth=2
	s_or_b64 exec, exec, s[26:27]
	buffer_store_dword v0, off, s[0:3], s33 offset:60 ; 4-byte Folded Spill
	s_nop 0
	buffer_store_dword v1, off, s[0:3], s33 offset:64 ; 4-byte Folded Spill
.LBB10_1846:                            ;   in Loop: Header=BB10_1824 Depth=2
	s_or_b64 exec, exec, s[44:45]
	s_xor_b64 s[26:27], s[42:43], -1
	s_and_b64 s[26:27], exec, s[26:27]
	s_or_b64 s[40:41], s[26:27], s[40:41]
	s_and_saveexec_b64 s[26:27], s[10:11]
	s_cbranch_execz .LBB10_1865
; %bb.1847:                             ;   in Loop: Header=BB10_1824 Depth=2
	s_and_saveexec_b64 s[42:43], s[60:61]
	s_xor_b64 s[42:43], exec, s[42:43]
	s_cbranch_execz .LBB10_1862
; %bb.1848:                             ;   in Loop: Header=BB10_1824 Depth=2
	s_and_saveexec_b64 s[44:45], s[16:17]
	s_cbranch_execz .LBB10_1861
; %bb.1849:                             ;   in Loop: Header=BB10_1824 Depth=2
	s_mov_b64 s[90:91], exec
	v_mbcnt_lo_u32_b32 v0, s90, 0
	v_mbcnt_hi_u32_b32 v0, s91, v0
	v_cmp_eq_u32_e32 vcc, 0, v0
	s_waitcnt vmcnt(0) lgkmcnt(0)
	buffer_wbinvl1_vol
	s_and_saveexec_b64 s[88:89], vcc
	s_cbranch_execz .LBB10_1851
; %bb.1850:                             ;   in Loop: Header=BB10_1824 Depth=2
	s_bcnt1_i32_b64 s58, s[90:91]
	v_mov_b32_e32 v0, s58
	v_mov_b32_e32 v1, v2
	ds_add_u64 v0, v[0:1]
	s_trap 2
.LBB10_1851:                            ;   in Loop: Header=BB10_1824 Depth=2
	s_or_b64 exec, exec, s[88:89]
	s_trap 2
	ds_read_b64 v[0:1], v0
	s_waitcnt lgkmcnt(0)
	v_add_co_u32_e32 v46, vcc, v46, v44
	v_addc_co_u32_e32 v47, vcc, 0, v47, vcc
	v_cmp_lt_u64_e32 vcc, v[0:1], v[46:47]
	s_and_saveexec_b64 s[88:89], vcc
	s_cbranch_execz .LBB10_1860
; %bb.1852:                             ;   in Loop: Header=BB10_1824 Depth=2
	s_mov_b32 s58, 0
	s_mov_b64 s[90:91], 0
                                        ; implicit-def: $sgpr92_sgpr93
                                        ; implicit-def: $sgpr94_sgpr95
	s_branch .LBB10_1854
.LBB10_1853:                            ;   in Loop: Header=BB10_1854 Depth=3
	s_or_b64 exec, exec, s[34:35]
	s_and_b64 vcc, exec, vcc
	s_or_b64 s[90:91], vcc, s[90:91]
	s_andn2_b64 s[92:93], s[92:93], exec
	s_and_b64 vcc, s[94:95], exec
	s_or_b64 s[92:93], s[92:93], vcc
	s_andn2_b64 exec, exec, s[90:91]
	s_cbranch_execz .LBB10_1858
.LBB10_1854:                            ;   Parent Loop BB10_47 Depth=1
                                        ;     Parent Loop BB10_1824 Depth=2
                                        ; =>    This Inner Loop Header: Depth=3
	s_add_i32 s58, s58, 1
	s_cmpk_lg_i32 s58, 0x2710
	s_cselect_b64 s[30:31], -1, 0
	s_and_b64 vcc, exec, s[30:31]
	s_cbranch_vccz .LBB10_1856
; %bb.1855:                             ;   in Loop: Header=BB10_1854 Depth=3
	s_mov_b64 vcc, -1
	s_or_b64 s[94:95], s[94:95], exec
	s_and_saveexec_b64 s[34:35], s[30:31]
	s_cbranch_execz .LBB10_1853
	s_branch .LBB10_1857
.LBB10_1856:                            ;   in Loop: Header=BB10_1854 Depth=3
	s_trap 2
	ds_read_b64 v[0:1], v0
	s_andn2_b64 s[30:31], s[30:31], exec
	s_mov_b32 s58, 0
	s_waitcnt lgkmcnt(0)
	flat_load_dword v0, v[0:1] glc
	s_waitcnt vmcnt(0) lgkmcnt(0)
	buffer_wbinvl1_vol
	v_cmp_eq_u32_e32 vcc, 0, v0
	s_and_b64 vcc, vcc, exec
	s_or_b64 s[30:31], s[30:31], vcc
	s_mov_b64 vcc, -1
	s_or_b64 s[94:95], s[94:95], exec
	s_and_saveexec_b64 s[34:35], s[30:31]
	s_cbranch_execz .LBB10_1853
.LBB10_1857:                            ;   in Loop: Header=BB10_1854 Depth=3
	s_sleep 1
	s_trap 2
	ds_read_b64 v[0:1], v0
	s_waitcnt lgkmcnt(0)
	s_andn2_b64 s[94:95], s[94:95], exec
	v_cmp_ge_u64_e32 vcc, v[0:1], v[46:47]
	s_orn2_b64 vcc, vcc, exec
	s_branch .LBB10_1853
.LBB10_1858:                            ;   in Loop: Header=BB10_1824 Depth=2
	s_or_b64 exec, exec, s[90:91]
	s_and_saveexec_b64 s[90:91], s[92:93]
	s_xor_b64 s[90:91], exec, s[90:91]
	s_cbranch_execz .LBB10_1860
; %bb.1859:                             ;   in Loop: Header=BB10_1824 Depth=2
	v_mov_b32_e32 v0, 1
	ds_write_b32 v0, v0
	s_trap 2
.LBB10_1860:                            ;   in Loop: Header=BB10_1824 Depth=2
	s_or_b64 exec, exec, s[88:89]
	;;#ASMSTART
	s_wakeup
	;;#ASMEND
.LBB10_1861:                            ;   in Loop: Header=BB10_1824 Depth=2
	s_or_b64 exec, exec, s[44:45]
.LBB10_1862:                            ;   in Loop: Header=BB10_1824 Depth=2
	s_andn2_saveexec_b64 s[42:43], s[42:43]
	s_cbranch_execz .LBB10_1864
; %bb.1863:                             ;   in Loop: Header=BB10_1824 Depth=2
	s_waitcnt vmcnt(0) lgkmcnt(0)
	buffer_wbinvl1_vol
	s_barrier
.LBB10_1864:                            ;   in Loop: Header=BB10_1824 Depth=2
	s_or_b64 exec, exec, s[42:43]
.LBB10_1865:                            ;   in Loop: Header=BB10_1824 Depth=2
	s_or_b64 exec, exec, s[26:27]
	v_sub_u32_e32 v0, v37, v3
	v_min_i32_e32 v38, v38, v0
	s_and_saveexec_b64 s[26:27], s[24:25]
	s_xor_b64 s[26:27], exec, s[26:27]
	s_cbranch_execz .LBB10_1869
; %bb.1866:                             ;   in Loop: Header=BB10_1824 Depth=2
	s_trap 2
	ds_read_b32 v0, v0
	v_cmp_lt_i32_e32 vcc, 0, v38
	v_and_b32_e32 v1, 16, v62
	s_waitcnt lgkmcnt(0)
	v_readfirstlane_b32 s42, v0
	s_cmp_eq_u32 s42, 0
	s_cselect_b64 s[42:43], -1, 0
	s_and_b64 s[42:43], vcc, s[42:43]
	v_cmp_ne_u32_e32 vcc, 0, v1
	s_and_b64 s[44:45], vcc, s[42:43]
	s_and_saveexec_b64 s[42:43], s[44:45]
	s_cbranch_execz .LBB10_1868
; %bb.1867:                             ;   in Loop: Header=BB10_1824 Depth=2
	s_waitcnt vmcnt(0)
	buffer_wbinvl1_vol
.LBB10_1868:                            ;   in Loop: Header=BB10_1824 Depth=2
	s_or_b64 exec, exec, s[42:43]
.LBB10_1869:                            ;   in Loop: Header=BB10_1824 Depth=2
	s_andn2_saveexec_b64 s[26:27], s[26:27]
	s_cbranch_execz .LBB10_1888
; %bb.1870:                             ;   in Loop: Header=BB10_1824 Depth=2
	s_and_saveexec_b64 s[42:43], s[60:61]
	s_xor_b64 s[42:43], exec, s[42:43]
	s_cbranch_execz .LBB10_1885
; %bb.1871:                             ;   in Loop: Header=BB10_1824 Depth=2
	s_and_saveexec_b64 s[44:45], s[16:17]
	s_cbranch_execz .LBB10_1884
; %bb.1872:                             ;   in Loop: Header=BB10_1824 Depth=2
	s_mov_b64 s[90:91], exec
	v_mbcnt_lo_u32_b32 v0, s90, 0
	v_mbcnt_hi_u32_b32 v0, s91, v0
	v_cmp_eq_u32_e32 vcc, 0, v0
	;;#ASMSTART
	s_waitcnt lgkmcnt(0) vmcnt(0)
	;;#ASMEND
	s_and_saveexec_b64 s[88:89], vcc
	s_cbranch_execz .LBB10_1874
; %bb.1873:                             ;   in Loop: Header=BB10_1824 Depth=2
	s_bcnt1_i32_b64 s58, s[90:91]
	v_mov_b32_e32 v0, s58
	v_mov_b32_e32 v1, v2
	s_waitcnt lgkmcnt(0)
	ds_add_u64 v0, v[0:1]
	s_trap 2
.LBB10_1874:                            ;   in Loop: Header=BB10_1824 Depth=2
	s_or_b64 exec, exec, s[88:89]
	s_trap 2
	ds_read_b64 v[0:1], v0
	s_waitcnt lgkmcnt(0)
	v_add_co_u32_e32 v46, vcc, v46, v44
	v_addc_co_u32_e32 v47, vcc, 0, v47, vcc
	v_cmp_lt_u64_e32 vcc, v[0:1], v[46:47]
	s_and_saveexec_b64 s[88:89], vcc
	s_cbranch_execz .LBB10_1883
; %bb.1875:                             ;   in Loop: Header=BB10_1824 Depth=2
	s_mov_b32 s58, 0
	s_mov_b64 s[90:91], 0
                                        ; implicit-def: $sgpr92_sgpr93
                                        ; implicit-def: $sgpr94_sgpr95
	s_branch .LBB10_1877
.LBB10_1876:                            ;   in Loop: Header=BB10_1877 Depth=3
	s_or_b64 exec, exec, s[34:35]
	s_and_b64 vcc, exec, vcc
	s_or_b64 s[90:91], vcc, s[90:91]
	s_andn2_b64 s[92:93], s[92:93], exec
	s_and_b64 vcc, s[94:95], exec
	s_or_b64 s[92:93], s[92:93], vcc
	s_andn2_b64 exec, exec, s[90:91]
	s_cbranch_execz .LBB10_1881
.LBB10_1877:                            ;   Parent Loop BB10_47 Depth=1
                                        ;     Parent Loop BB10_1824 Depth=2
                                        ; =>    This Inner Loop Header: Depth=3
	s_add_i32 s58, s58, 1
	s_cmpk_lg_i32 s58, 0x2710
	s_cselect_b64 s[30:31], -1, 0
	s_and_b64 vcc, exec, s[30:31]
	s_cbranch_vccz .LBB10_1879
; %bb.1878:                             ;   in Loop: Header=BB10_1877 Depth=3
	s_mov_b64 vcc, -1
	s_or_b64 s[94:95], s[94:95], exec
	s_and_saveexec_b64 s[34:35], s[30:31]
	s_cbranch_execz .LBB10_1876
	s_branch .LBB10_1880
.LBB10_1879:                            ;   in Loop: Header=BB10_1877 Depth=3
	s_trap 2
	ds_read_b64 v[0:1], v0
	s_andn2_b64 s[30:31], s[30:31], exec
	s_mov_b32 s58, 0
	s_waitcnt vmcnt(0) lgkmcnt(0)
	flat_load_dword v0, v[0:1] glc
	s_waitcnt vmcnt(0) lgkmcnt(0)
	buffer_wbinvl1_vol
	v_cmp_eq_u32_e32 vcc, 0, v0
	s_and_b64 vcc, vcc, exec
	s_or_b64 s[30:31], s[30:31], vcc
	s_mov_b64 vcc, -1
	s_or_b64 s[94:95], s[94:95], exec
	s_and_saveexec_b64 s[34:35], s[30:31]
	s_cbranch_execz .LBB10_1876
.LBB10_1880:                            ;   in Loop: Header=BB10_1877 Depth=3
	s_sleep 1
	s_trap 2
	ds_read_b64 v[0:1], v0
	s_waitcnt lgkmcnt(0)
	s_andn2_b64 s[94:95], s[94:95], exec
	v_cmp_ge_u64_e32 vcc, v[0:1], v[46:47]
	s_orn2_b64 vcc, vcc, exec
	s_branch .LBB10_1876
.LBB10_1881:                            ;   in Loop: Header=BB10_1824 Depth=2
	s_or_b64 exec, exec, s[90:91]
	s_and_saveexec_b64 s[90:91], s[92:93]
	s_xor_b64 s[90:91], exec, s[90:91]
	s_cbranch_execz .LBB10_1883
; %bb.1882:                             ;   in Loop: Header=BB10_1824 Depth=2
	v_mov_b32_e32 v0, 1
	ds_write_b32 v0, v0
	s_trap 2
.LBB10_1883:                            ;   in Loop: Header=BB10_1824 Depth=2
	s_or_b64 exec, exec, s[88:89]
	;;#ASMSTART
	s_wakeup
	;;#ASMEND
.LBB10_1884:                            ;   in Loop: Header=BB10_1824 Depth=2
	s_or_b64 exec, exec, s[44:45]
.LBB10_1885:                            ;   in Loop: Header=BB10_1824 Depth=2
	s_andn2_saveexec_b64 s[42:43], s[42:43]
	s_cbranch_execz .LBB10_1887
; %bb.1886:                             ;   in Loop: Header=BB10_1824 Depth=2
	;;#ASMSTART
	s_waitcnt lgkmcnt(0) vmcnt(0)
	;;#ASMEND
	s_waitcnt vmcnt(0) lgkmcnt(0)
	s_barrier
.LBB10_1887:                            ;   in Loop: Header=BB10_1824 Depth=2
	s_or_b64 exec, exec, s[42:43]
.LBB10_1888:                            ;   in Loop: Header=BB10_1824 Depth=2
	s_or_b64 exec, exec, s[26:27]
	v_and_b32_e32 v0, 32, v62
	v_cmp_ne_u32_e32 vcc, 0, v0
	s_and_saveexec_b64 s[26:27], vcc
	s_cbranch_execz .LBB10_1823
; %bb.1889:                             ;   in Loop: Header=BB10_1824 Depth=2
	buffer_load_dword v0, off, s[0:3], s33 offset:60 ; 4-byte Folded Reload
	buffer_load_dword v1, off, s[0:3], s33 offset:64 ; 4-byte Folded Reload
	s_waitcnt vmcnt(0)
	v_add_co_u32_e32 v0, vcc, 2, v0
	v_addc_co_u32_e32 v1, vcc, 0, v1, vcc
	buffer_store_dword v0, off, s[0:3], s33 offset:60 ; 4-byte Folded Spill
	s_nop 0
	buffer_store_dword v1, off, s[0:3], s33 offset:64 ; 4-byte Folded Spill
	flat_store_dwordx2 v[40:41], v[0:1]
	s_branch .LBB10_1823
.LBB10_1890:
	s_or_b64 exec, exec, s[62:63]
.LBB10_1891:
	s_or_b64 exec, exec, s[56:57]
	v_and_b32_e32 v0, 0x800, v62
	v_cmp_eq_u32_e32 vcc, 0, v0
	s_and_saveexec_b64 s[6:7], vcc
	s_cbranch_execz .LBB10_1924
; %bb.1892:
	v_and_b32_e32 v0, 48, v62
	v_cmp_ne_u32_e32 vcc, 0, v0
	s_and_saveexec_b64 s[4:5], vcc
	s_cbranch_execz .LBB10_1894
; %bb.1893:
	buffer_load_dword v0, off, s[0:3], s33 offset:284 ; 4-byte Folded Reload
	buffer_load_dword v1, off, s[0:3], s33 offset:288 ; 4-byte Folded Reload
	;; [unrolled: 1-line block ×4, first 2 shown]
	s_waitcnt vmcnt(0)
	flat_store_dwordx2 v[0:1], v[2:3] offset:104
.LBB10_1894:
	s_or_b64 exec, exec, s[4:5]
	s_movk_i32 s4, 0x88
	v_and_b32_e32 v0, 0x88, v62
	v_cmp_eq_u32_e32 vcc, s4, v0
	s_and_saveexec_b64 s[10:11], vcc
	s_cbranch_execz .LBB10_1904
; %bb.1895:
	buffer_load_dword v0, off, s[0:3], s33 offset:60 ; 4-byte Folded Reload
	buffer_load_dword v1, off, s[0:3], s33 offset:64 ; 4-byte Folded Reload
	v_and_b32_e32 v4, 64, v62
	s_mov_b32 s22, 0
	s_waitcnt vmcnt(0)
	v_add_u32_e32 v0, 6, v0
	v_and_b32_e32 v0, 7, v0
	v_mad_u64_u32 v[0:1], s[4:5], v0, 24, v[42:43]
	v_cmp_eq_u32_e64 s[4:5], 0, v4
	flat_load_dwordx2 v[2:3], v[0:1] offset:8 glc
	s_waitcnt vmcnt(0) lgkmcnt(0)
	v_cmp_ne_u64_e32 vcc, -1, v[2:3]
	s_and_b64 s[4:5], vcc, s[4:5]
	s_and_b64 exec, exec, s[4:5]
	s_cbranch_execz .LBB10_1904
; %bb.1896:
	s_mov_b64 s[4:5], 0
                                        ; implicit-def: $sgpr12_sgpr13
                                        ; implicit-def: $sgpr14_sgpr15
	s_branch .LBB10_1899
.LBB10_1897:                            ;   in Loop: Header=BB10_1899 Depth=1
	flat_load_dwordx2 v[3:4], v[0:1] offset:8 glc
	s_waitcnt vmcnt(0)
	s_andn2_b64 s[14:15], s[14:15], exec
	s_waitcnt lgkmcnt(0)
	v_cmp_eq_u64_e32 vcc, -1, v[3:4]
	s_orn2_b64 s[18:19], vcc, exec
.LBB10_1898:                            ;   in Loop: Header=BB10_1899 Depth=1
	s_or_b64 exec, exec, s[20:21]
	s_and_b64 s[16:17], exec, s[18:19]
	s_or_b64 s[4:5], s[16:17], s[4:5]
	s_andn2_b64 s[12:13], s[12:13], exec
	s_and_b64 s[16:17], s[14:15], exec
	s_or_b64 s[12:13], s[12:13], s[16:17]
	s_andn2_b64 exec, exec, s[4:5]
	s_cbranch_execz .LBB10_1902
.LBB10_1899:                            ; =>This Inner Loop Header: Depth=1
	s_cmpk_lt_i32 s22, 0x270f
	s_cselect_b64 s[16:17], -1, 0
	s_and_b64 vcc, exec, s[16:17]
	s_cbranch_vccnz .LBB10_1901
; %bb.1900:                             ;   in Loop: Header=BB10_1899 Depth=1
	s_trap 2
	ds_read_b64 v[2:3], v0
	s_andn2_b64 s[16:17], s[16:17], exec
	s_mov_b32 s22, 0
	s_waitcnt lgkmcnt(0)
	flat_load_dword v2, v[2:3] glc
	s_waitcnt vmcnt(0) lgkmcnt(0)
	buffer_wbinvl1_vol
	v_cmp_eq_u32_e32 vcc, 0, v2
	s_and_b64 s[18:19], vcc, exec
	s_or_b64 s[16:17], s[16:17], s[18:19]
	s_mov_b64 s[18:19], -1
	s_or_b64 s[14:15], s[14:15], exec
	s_and_saveexec_b64 s[20:21], s[16:17]
	s_cbranch_execz .LBB10_1898
	s_branch .LBB10_1897
.LBB10_1901:                            ;   in Loop: Header=BB10_1899 Depth=1
	s_add_i32 s22, s22, 1
                                        ; implicit-def: $vgpr2
	s_mov_b64 s[18:19], -1
	s_or_b64 s[14:15], s[14:15], exec
	s_and_saveexec_b64 s[20:21], s[16:17]
	s_cbranch_execz .LBB10_1898
	s_branch .LBB10_1897
.LBB10_1902:
	s_or_b64 exec, exec, s[4:5]
	s_and_saveexec_b64 s[4:5], s[12:13]
	s_xor_b64 s[4:5], exec, s[4:5]
	s_cbranch_execz .LBB10_1904
; %bb.1903:
	ds_write_b32 v0, v2
	s_trap 2
.LBB10_1904:
	s_or_b64 exec, exec, s[10:11]
	v_and_b32_e32 v0, 0x2000, v62
	v_cmp_ne_u32_e32 vcc, 0, v0
	s_and_saveexec_b64 s[4:5], vcc
	s_cbranch_execz .LBB10_1906
; %bb.1905:
	s_trap 2
	ds_read_b64 v[0:1], v0
	buffer_load_dword v2, off, s[0:3], s33 offset:300 ; 4-byte Folded Reload
	buffer_load_dword v3, off, s[0:3], s33 offset:304 ; 4-byte Folded Reload
	s_waitcnt vmcnt(0) lgkmcnt(0)
	flat_store_dwordx2 v[2:3], v[0:1] offset:16
.LBB10_1906:
	s_or_b64 exec, exec, s[4:5]
	buffer_load_dword v0, off, s[0:3], s33 offset:280 ; 4-byte Folded Reload
	s_waitcnt vmcnt(0)
	v_cmp_ne_u32_e32 vcc, 64, v0
	s_and_b64 exec, exec, vcc
	s_cbranch_execz .LBB10_1924
; %bb.1907:
	buffer_load_dword v0, off, s[0:3], s33 offset:280 ; 4-byte Folded Reload
	buffer_load_dword v1, off, s[0:3], s33 offset:296 ; 4-byte Folded Reload
	s_waitcnt vmcnt(0)
	v_cmp_ne_u32_sdwa s[4:5], v0, v1 src0_sel:DWORD src1_sel:WORD_0
	s_and_saveexec_b64 s[10:11], s[4:5]
	s_xor_b64 s[4:5], exec, s[10:11]
	s_cbranch_execz .LBB10_1922
; %bb.1908:
	buffer_load_dword v0, off, s[0:3], s33 offset:292 ; 4-byte Folded Reload
	s_waitcnt vmcnt(0)
	v_and_b32_e32 v0, 63, v0
	v_cmp_eq_u32_e32 vcc, 0, v0
	s_and_saveexec_b64 s[10:11], vcc
	s_cbranch_execz .LBB10_1921
; %bb.1909:
	s_mov_b64 s[14:15], exec
	v_mbcnt_lo_u32_b32 v0, s14, 0
	v_mbcnt_hi_u32_b32 v0, s15, v0
	v_cmp_eq_u32_e32 vcc, 0, v0
	s_waitcnt lgkmcnt(0)
	buffer_wbinvl1_vol
	s_and_saveexec_b64 s[12:13], vcc
	s_cbranch_execz .LBB10_1911
; %bb.1910:
	s_bcnt1_i32_b64 s14, s[14:15]
	v_mov_b32_e32 v0, s14
	v_mov_b32_e32 v1, 0
	ds_add_u64 v0, v[0:1]
	s_trap 2
.LBB10_1911:
	s_or_b64 exec, exec, s[12:13]
	buffer_load_dword v0, off, s[0:3], s33 offset:280 ; 4-byte Folded Reload
	s_trap 2
	s_waitcnt vmcnt(0)
	v_lshrrev_b32_e32 v0, 6, v0
	ds_read_b64 v[2:3], v0
	s_waitcnt lgkmcnt(0)
	v_add_co_u32_e32 v0, vcc, v46, v0
	v_addc_co_u32_e32 v1, vcc, 0, v47, vcc
	v_cmp_lt_u64_e32 vcc, v[2:3], v[0:1]
	s_and_saveexec_b64 s[12:13], vcc
	s_cbranch_execz .LBB10_1920
; %bb.1912:
	s_mov_b32 s26, 0
	s_mov_b64 s[14:15], 0
                                        ; implicit-def: $sgpr16_sgpr17
                                        ; implicit-def: $sgpr18_sgpr19
	s_branch .LBB10_1914
.LBB10_1913:                            ;   in Loop: Header=BB10_1914 Depth=1
	s_or_b64 exec, exec, s[22:23]
	s_and_b64 s[20:21], exec, s[24:25]
	s_or_b64 s[14:15], s[20:21], s[14:15]
	s_andn2_b64 s[16:17], s[16:17], exec
	s_and_b64 s[20:21], s[18:19], exec
	s_or_b64 s[16:17], s[16:17], s[20:21]
	s_andn2_b64 exec, exec, s[14:15]
	s_cbranch_execz .LBB10_1918
.LBB10_1914:                            ; =>This Inner Loop Header: Depth=1
	s_add_i32 s26, s26, 1
	s_cmpk_lg_i32 s26, 0x2710
	s_cselect_b64 s[20:21], -1, 0
	s_and_b64 vcc, exec, s[20:21]
	s_cbranch_vccz .LBB10_1916
; %bb.1915:                             ;   in Loop: Header=BB10_1914 Depth=1
	s_mov_b64 s[24:25], -1
	s_or_b64 s[18:19], s[18:19], exec
	s_and_saveexec_b64 s[22:23], s[20:21]
	s_cbranch_execz .LBB10_1913
	s_branch .LBB10_1917
.LBB10_1916:                            ;   in Loop: Header=BB10_1914 Depth=1
	s_trap 2
	ds_read_b64 v[2:3], v0
	s_andn2_b64 s[20:21], s[20:21], exec
	s_mov_b32 s26, 0
	s_waitcnt lgkmcnt(0)
	flat_load_dword v2, v[2:3] glc
	s_waitcnt vmcnt(0) lgkmcnt(0)
	buffer_wbinvl1_vol
	v_cmp_eq_u32_e32 vcc, 0, v2
	s_and_b64 s[22:23], vcc, exec
	s_or_b64 s[20:21], s[20:21], s[22:23]
	s_mov_b64 s[24:25], -1
	s_or_b64 s[18:19], s[18:19], exec
	s_and_saveexec_b64 s[22:23], s[20:21]
	s_cbranch_execz .LBB10_1913
.LBB10_1917:                            ;   in Loop: Header=BB10_1914 Depth=1
	s_sleep 1
	s_trap 2
	ds_read_b64 v[2:3], v0
	s_waitcnt lgkmcnt(0)
	s_andn2_b64 s[18:19], s[18:19], exec
	v_cmp_ge_u64_e32 vcc, v[2:3], v[0:1]
	s_orn2_b64 s[24:25], vcc, exec
	s_branch .LBB10_1913
.LBB10_1918:
	s_or_b64 exec, exec, s[14:15]
	s_and_saveexec_b64 s[14:15], s[16:17]
	s_xor_b64 s[14:15], exec, s[14:15]
	s_cbranch_execz .LBB10_1920
; %bb.1919:
	v_mov_b32_e32 v0, 1
	ds_write_b32 v0, v0
	s_trap 2
.LBB10_1920:
	s_or_b64 exec, exec, s[12:13]
	;;#ASMSTART
	s_wakeup
	;;#ASMEND
.LBB10_1921:
	s_or_b64 exec, exec, s[10:11]
.LBB10_1922:
	s_andn2_saveexec_b64 s[4:5], s[4:5]
	s_cbranch_execz .LBB10_1924
; %bb.1923:
	s_waitcnt lgkmcnt(0)
	buffer_wbinvl1_vol
	s_barrier
.LBB10_1924:
	s_or_b64 exec, exec, s[6:7]
.LBB10_1925:
	s_andn2_saveexec_b64 s[26:27], s[46:47]
	s_cbranch_execz .LBB10_1927
; %bb.1926:
	s_getpc_b64 s[4:5]
	s_add_u32 s4, s4, __PRETTY_FUNCTION__._ZN10PrimitivesI12hip_bfloat1610FuncMinMaxIS0_E12FanSymmetricILi1EELi0E11ProtoSimpleILi2ELi2ELi0ELi4ELi0ELi0EELi0ELb0ELi0ELi0ELi0EEC2EiiPKiS9_PKvPvmhhhP15ncclDevWorkCollP14ncclDevWorkP2pii@rel32@lo+4
	s_addc_u32 s5, s5, __PRETTY_FUNCTION__._ZN10PrimitivesI12hip_bfloat1610FuncMinMaxIS0_E12FanSymmetricILi1EELi0E11ProtoSimpleILi2ELi2ELi0ELi4ELi0ELi0EELi0ELb0ELi0ELi0ELi0EEC2EiiPKiS9_PKvPvmhhhP15ncclDevWorkCollP14ncclDevWorkP2pii@rel32@hi+12
	s_getpc_b64 s[6:7]
	s_add_u32 s6, s6, __assert_fail@rel32@lo+4
	s_addc_u32 s7, s7, __assert_fail@rel32@hi+12
	v_mov_b32_e32 v0, s4
	v_mov_b32_e32 v1, s5
	s_swappc_b64 s[30:31], s[6:7]
	; divergent unreachable
.LBB10_1927:
	s_or_b64 exec, exec, s[26:27]
	buffer_load_dword v62, off, s[0:3], s33 ; 4-byte Folded Reload
	buffer_load_dword v61, off, s[0:3], s33 offset:4 ; 4-byte Folded Reload
	buffer_load_dword v60, off, s[0:3], s33 offset:8 ; 4-byte Folded Reload
	;; [unrolled: 1-line block ×4, first 2 shown]
	s_waitcnt lgkmcnt(0)
	buffer_load_dword v57, off, s[0:3], s33 offset:20 ; 4-byte Folded Reload
	buffer_load_dword v56, off, s[0:3], s33 offset:24 ; 4-byte Folded Reload
	;; [unrolled: 1-line block ×10, first 2 shown]
	v_readlane_b32 s30, v63, 31
	v_readlane_b32 s31, v63, 32
	v_readlane_b32 s96, v63, 30
	v_readlane_b32 s87, v63, 29
	v_readlane_b32 s86, v63, 28
	v_readlane_b32 s85, v63, 27
	v_readlane_b32 s84, v63, 26
	v_readlane_b32 s83, v63, 25
	v_readlane_b32 s82, v63, 24
	v_readlane_b32 s81, v63, 23
	v_readlane_b32 s80, v63, 22
	v_readlane_b32 s71, v63, 21
	v_readlane_b32 s70, v63, 20
	v_readlane_b32 s69, v63, 19
	v_readlane_b32 s68, v63, 18
	v_readlane_b32 s67, v63, 17
	v_readlane_b32 s66, v63, 16
	v_readlane_b32 s65, v63, 15
	v_readlane_b32 s64, v63, 14
	v_readlane_b32 s55, v63, 13
	v_readlane_b32 s54, v63, 12
	v_readlane_b32 s53, v63, 11
	v_readlane_b32 s52, v63, 10
	v_readlane_b32 s51, v63, 9
	v_readlane_b32 s50, v63, 8
	v_readlane_b32 s49, v63, 7
	v_readlane_b32 s48, v63, 6
	v_readlane_b32 s39, v63, 5
	v_readlane_b32 s38, v63, 4
	v_readlane_b32 s37, v63, 3
	v_readlane_b32 s36, v63, 2
	v_readlane_b32 s35, v63, 1
	v_readlane_b32 s34, v63, 0
	s_mov_b32 s32, s33
	v_readlane_b32 s4, v63, 33
	s_or_saveexec_b64 s[6:7], -1
	buffer_load_dword v63, off, s[0:3], s33 offset:308 ; 4-byte Folded Reload
	s_mov_b64 exec, s[6:7]
	s_mov_b32 s33, s4
	s_waitcnt vmcnt(0)
	s_setpc_b64 s[30:31]
.Lfunc_end10:
	.size	_ZN12_GLOBAL__N_17runRingI12hip_bfloat1610FuncMinMaxIS1_E11ProtoSimpleILi2ELi2ELi0ELi4ELi0ELi0EELi0ELi0ELi4ELi0EEEviiP15ncclDevWorkColl, .Lfunc_end10-_ZN12_GLOBAL__N_17runRingI12hip_bfloat1610FuncMinMaxIS1_E11ProtoSimpleILi2ELi2ELi0ELi4ELi0ELi0EELi0ELi0ELi4ELi0EEEviiP15ncclDevWorkColl
                                        ; -- End function
	.set .L_ZN12_GLOBAL__N_17runRingI12hip_bfloat1610FuncMinMaxIS1_E11ProtoSimpleILi2ELi2ELi0ELi4ELi0ELi0EELi0ELi0ELi4ELi0EEEviiP15ncclDevWorkColl.num_vgpr, max(64, .L__assert_fail.num_vgpr)
	.set .L_ZN12_GLOBAL__N_17runRingI12hip_bfloat1610FuncMinMaxIS1_E11ProtoSimpleILi2ELi2ELi0ELi4ELi0ELi0EELi0ELi0ELi4ELi0EEEviiP15ncclDevWorkColl.num_agpr, max(0, .L__assert_fail.num_agpr)
	.set .L_ZN12_GLOBAL__N_17runRingI12hip_bfloat1610FuncMinMaxIS1_E11ProtoSimpleILi2ELi2ELi0ELi4ELi0ELi0EELi0ELi0ELi4ELi0EEEviiP15ncclDevWorkColl.numbered_sgpr, max(97, .L__assert_fail.numbered_sgpr)
	.set .L_ZN12_GLOBAL__N_17runRingI12hip_bfloat1610FuncMinMaxIS1_E11ProtoSimpleILi2ELi2ELi0ELi4ELi0ELi0EELi0ELi0ELi4ELi0EEEviiP15ncclDevWorkColl.num_named_barrier, max(0, .L__assert_fail.num_named_barrier)
	.set .L_ZN12_GLOBAL__N_17runRingI12hip_bfloat1610FuncMinMaxIS1_E11ProtoSimpleILi2ELi2ELi0ELi4ELi0ELi0EELi0ELi0ELi4ELi0EEEviiP15ncclDevWorkColl.private_seg_size, 320+max(.L__assert_fail.private_seg_size)
	.set .L_ZN12_GLOBAL__N_17runRingI12hip_bfloat1610FuncMinMaxIS1_E11ProtoSimpleILi2ELi2ELi0ELi4ELi0ELi0EELi0ELi0ELi4ELi0EEEviiP15ncclDevWorkColl.uses_vcc, or(1, .L__assert_fail.uses_vcc)
	.set .L_ZN12_GLOBAL__N_17runRingI12hip_bfloat1610FuncMinMaxIS1_E11ProtoSimpleILi2ELi2ELi0ELi4ELi0ELi0EELi0ELi0ELi4ELi0EEEviiP15ncclDevWorkColl.uses_flat_scratch, or(0, .L__assert_fail.uses_flat_scratch)
	.set .L_ZN12_GLOBAL__N_17runRingI12hip_bfloat1610FuncMinMaxIS1_E11ProtoSimpleILi2ELi2ELi0ELi4ELi0ELi0EELi0ELi0ELi4ELi0EEEviiP15ncclDevWorkColl.has_dyn_sized_stack, or(0, .L__assert_fail.has_dyn_sized_stack)
	.set .L_ZN12_GLOBAL__N_17runRingI12hip_bfloat1610FuncMinMaxIS1_E11ProtoSimpleILi2ELi2ELi0ELi4ELi0ELi0EELi0ELi0ELi4ELi0EEEviiP15ncclDevWorkColl.has_recursion, or(1, .L__assert_fail.has_recursion)
	.set .L_ZN12_GLOBAL__N_17runRingI12hip_bfloat1610FuncMinMaxIS1_E11ProtoSimpleILi2ELi2ELi0ELi4ELi0ELi0EELi0ELi0ELi4ELi0EEEviiP15ncclDevWorkColl.has_indirect_call, or(0, .L__assert_fail.has_indirect_call)
	.section	.AMDGPU.csdata,"",@progbits
; Function info:
; codeLenInByte = 62676
; TotalNumSgprs: 101
; NumVgprs: 64
; ScratchSize: 384
; MemoryBound: 1
	.text
	.p2align	2                               ; -- Begin function _Z51ncclDevFunc_AllReduce_RING_SIMPLE_MinMax_bf16_0_0_4v
	.type	_Z51ncclDevFunc_AllReduce_RING_SIMPLE_MinMax_bf16_0_0_4v,@function
_Z51ncclDevFunc_AllReduce_RING_SIMPLE_MinMax_bf16_0_0_4v: ; @_Z51ncclDevFunc_AllReduce_RING_SIMPLE_MinMax_bf16_0_0_4v
; %bb.0:
	s_waitcnt vmcnt(0) expcnt(0) lgkmcnt(0)
	s_mov_b32 s4, s33
	s_mov_b32 s33, s32
	s_or_saveexec_b64 s[6:7], -1
	buffer_store_dword v43, off, s[0:3], s33 offset:16 ; 4-byte Folded Spill
	buffer_store_dword v44, off, s[0:3], s33 offset:20 ; 4-byte Folded Spill
	s_mov_b64 exec, s[6:7]
	v_writelane_b32 v44, s4, 38
	v_writelane_b32 v44, s100, 36
	;; [unrolled: 1-line block ×3, first 2 shown]
	s_addk_i32 s32, 0x800
	buffer_store_dword v40, off, s[0:3], s33 offset:8 ; 4-byte Folded Spill
	buffer_store_dword v41, off, s[0:3], s33 offset:4 ; 4-byte Folded Spill
	buffer_store_dword v42, off, s[0:3], s33 ; 4-byte Folded Spill
	v_writelane_b32 v44, s34, 0
	v_writelane_b32 v44, s35, 1
	;; [unrolled: 1-line block ×36, first 2 shown]
                                        ; implicit-def: $vgpr43 : SGPR spill to VGPR lane
	v_mov_b32_e32 v40, v31
	v_writelane_b32 v43, s12, 0
	v_writelane_b32 v43, s8, 1
	;; [unrolled: 1-line block ×3, first 2 shown]
	s_or_saveexec_b64 s[100:101], -1
	buffer_store_dword v43, off, s[0:3], s33 offset:12 ; 4-byte Folded Spill
	s_mov_b64 exec, s[100:101]
	s_trap 2
	ds_read_b32 v0, v0
	v_and_b32_e32 v41, 0x3ff, v40
	s_waitcnt lgkmcnt(0)
	v_cmp_lt_i32_e32 vcc, v41, v0
	s_and_saveexec_b64 s[4:5], vcc
	s_cbranch_execz .LBB11_5
; %bb.1:
	s_or_saveexec_b64 s[100:101], -1
	buffer_load_dword v43, off, s[0:3], s33 offset:12 ; 4-byte Folded Reload
	s_mov_b64 exec, s[100:101]
	s_waitcnt vmcnt(0)
	v_readlane_b32 s8, v43, 1
	v_readlane_b32 s9, v43, 2
	s_load_dword s6, s[8:9], 0x0
	v_readlane_b32 s7, v43, 0
	v_mov_b32_e32 v1, 0
	s_mov_b32 s10, 0
	v_mov_b32_e32 v4, v41
	s_waitcnt lgkmcnt(0)
	s_cmp_lt_u32 s7, s6
	s_cselect_b32 s6, 12, 18
	s_add_u32 s6, s8, s6
	s_addc_u32 s7, s9, 0
	global_load_ushort v1, v1, s[6:7]
	s_trap 2
	ds_read_b32 v2, v0
	s_mov_b64 s[6:7], 0
                                        ; implicit-def: $vgpr3
	s_waitcnt vmcnt(0) lgkmcnt(0)
	v_mul_lo_u32 v2, v2, v1
	s_branch .LBB11_3
.LBB11_2:                               ;   in Loop: Header=BB11_3 Depth=1
	s_or_b64 exec, exec, s[8:9]
	v_add_u32_e32 v4, v4, v1
	v_cmp_ge_i32_e32 vcc, v4, v0
	s_or_b64 s[6:7], vcc, s[6:7]
	v_add_u32_e32 v3, v3, v2
	s_andn2_b64 exec, exec, s[6:7]
	s_cbranch_execz .LBB11_5
.LBB11_3:                               ; =>This Inner Loop Header: Depth=1
	ds_read_b32 v5, v3
	s_waitcnt lgkmcnt(0)
	v_and_b32_e32 v5, 0x1000000, v5
	v_cmp_ne_u32_e32 vcc, 0, v5
	s_and_saveexec_b64 s[8:9], vcc
	s_cbranch_execz .LBB11_2
; %bb.4:                                ;   in Loop: Header=BB11_3 Depth=1
	ds_read_b64 v[5:6], v3 offset:104
	s_waitcnt lgkmcnt(0)
	flat_load_ushort v5, v[5:6]
	v_mov_b32_e32 v6, s10
	s_waitcnt vmcnt(0) lgkmcnt(0)
	v_and_b32_e32 v5, 0xffff, v5
	ds_write_b64 v3, v[5:6] offset:104
	s_branch .LBB11_2
.LBB11_5:
	s_or_b64 exec, exec, s[4:5]
	s_waitcnt vmcnt(0) lgkmcnt(0)
	s_barrier
	s_trap 2
	ds_read_b32 v0, v0
	s_waitcnt lgkmcnt(0)
	v_cmp_gt_i32_e32 vcc, 1, v0
	s_cbranch_vccnz .LBB11_13
; %bb.6:
	s_mov_b32 s97, 0
	v_mov_b32_e32 v42, 6
	s_branch .LBB11_8
.LBB11_7:                               ;   in Loop: Header=BB11_8 Depth=1
	s_or_b64 exec, exec, s[98:99]
	s_trap 2
	ds_read_b32 v0, v0
	s_add_i32 s97, s97, 1
	s_waitcnt lgkmcnt(0)
	v_cmp_lt_i32_e32 vcc, s97, v0
	s_cbranch_vccz .LBB11_13
.LBB11_8:                               ; =>This Inner Loop Header: Depth=1
	s_trap 2
	ds_read_b32 v0, v0
	s_cmp_eq_u32 s97, 0
	s_cbranch_scc1 .LBB11_11
; %bb.9:                                ;   in Loop: Header=BB11_8 Depth=1
	s_trap 2
	s_waitcnt lgkmcnt(0)
	ds_read_b32 v1, v0
	s_waitcnt lgkmcnt(0)
	v_xor_b32_e32 v1, v1, v0
	v_and_b32_e32 v1, 0xff0000, v1
	v_cmp_eq_u32_e32 vcc, 0, v1
	s_cbranch_vccnz .LBB11_11
; %bb.10:                               ;   in Loop: Header=BB11_8 Depth=1
	s_barrier
	ds_read_b32 v0, v0
.LBB11_11:                              ;   in Loop: Header=BB11_8 Depth=1
	s_waitcnt lgkmcnt(0)
	v_lshlrev_b32_sdwa v1, v42, v0 dst_sel:DWORD dst_unused:UNUSED_PAD src0_sel:DWORD src1_sel:BYTE_2
	v_cmp_lt_u32_e32 vcc, v41, v1
	s_and_saveexec_b64 s[98:99], vcc
	s_cbranch_execz .LBB11_7
; %bb.12:                               ;   in Loop: Header=BB11_8 Depth=1
	s_mov_b64 s[4:5], src_shared_base
	s_getpc_b64 s[6:7]
	s_add_u32 s6, s6, _ZN12_GLOBAL__N_17runRingI12hip_bfloat1610FuncMinMaxIS1_E11ProtoSimpleILi2ELi2ELi0ELi4ELi0ELi0EELi0ELi0ELi4ELi0EEEviiP15ncclDevWorkColl@rel32@lo+4
	s_addc_u32 s7, s7, _ZN12_GLOBAL__N_17runRingI12hip_bfloat1610FuncMinMaxIS1_E11ProtoSimpleILi2ELi2ELi0ELi4ELi0ELi0EELi0ELi0ELi4ELi0EEEviiP15ncclDevWorkColl@rel32@hi+12
	s_or_saveexec_b64 s[100:101], -1
	buffer_load_dword v43, off, s[0:3], s33 offset:12 ; 4-byte Folded Reload
	s_mov_b64 exec, s[100:101]
	s_waitcnt vmcnt(0)
	v_readlane_b32 s8, v43, 1
	v_readlane_b32 s9, v43, 2
	;; [unrolled: 1-line block ×3, first 2 shown]
	v_mov_b32_e32 v31, v40
	v_mov_b32_e32 v0, v41
	;; [unrolled: 1-line block ×3, first 2 shown]
	s_swappc_b64 s[30:31], s[6:7]
	s_branch .LBB11_7
.LBB11_13:
	buffer_load_dword v42, off, s[0:3], s33 ; 4-byte Folded Reload
	buffer_load_dword v41, off, s[0:3], s33 offset:4 ; 4-byte Folded Reload
	buffer_load_dword v40, off, s[0:3], s33 offset:8 ; 4-byte Folded Reload
	v_readlane_b32 s30, v44, 34
	v_readlane_b32 s31, v44, 35
	;; [unrolled: 1-line block ×36, first 2 shown]
	s_mov_b32 s32, s33
	v_readlane_b32 s4, v44, 38
	v_readlane_b32 s100, v44, 36
	;; [unrolled: 1-line block ×3, first 2 shown]
	s_or_saveexec_b64 s[6:7], -1
	buffer_load_dword v43, off, s[0:3], s33 offset:16 ; 4-byte Folded Reload
	buffer_load_dword v44, off, s[0:3], s33 offset:20 ; 4-byte Folded Reload
	s_mov_b64 exec, s[6:7]
	s_mov_b32 s33, s4
	s_waitcnt vmcnt(0)
	s_setpc_b64 s[30:31]
.Lfunc_end11:
	.size	_Z51ncclDevFunc_AllReduce_RING_SIMPLE_MinMax_bf16_0_0_4v, .Lfunc_end11-_Z51ncclDevFunc_AllReduce_RING_SIMPLE_MinMax_bf16_0_0_4v
                                        ; -- End function
	.set .L_Z51ncclDevFunc_AllReduce_RING_SIMPLE_MinMax_bf16_0_0_4v.num_vgpr, max(45, .L_ZN12_GLOBAL__N_17runRingI12hip_bfloat1610FuncMinMaxIS1_E11ProtoSimpleILi2ELi2ELi0ELi4ELi0ELi0EELi0ELi0ELi4ELi0EEEviiP15ncclDevWorkColl.num_vgpr)
	.set .L_Z51ncclDevFunc_AllReduce_RING_SIMPLE_MinMax_bf16_0_0_4v.num_agpr, max(0, .L_ZN12_GLOBAL__N_17runRingI12hip_bfloat1610FuncMinMaxIS1_E11ProtoSimpleILi2ELi2ELi0ELi4ELi0ELi0EELi0ELi0ELi4ELi0EEEviiP15ncclDevWorkColl.num_agpr)
	.set .L_Z51ncclDevFunc_AllReduce_RING_SIMPLE_MinMax_bf16_0_0_4v.numbered_sgpr, max(102, .L_ZN12_GLOBAL__N_17runRingI12hip_bfloat1610FuncMinMaxIS1_E11ProtoSimpleILi2ELi2ELi0ELi4ELi0ELi0EELi0ELi0ELi4ELi0EEEviiP15ncclDevWorkColl.numbered_sgpr)
	.set .L_Z51ncclDevFunc_AllReduce_RING_SIMPLE_MinMax_bf16_0_0_4v.num_named_barrier, max(0, .L_ZN12_GLOBAL__N_17runRingI12hip_bfloat1610FuncMinMaxIS1_E11ProtoSimpleILi2ELi2ELi0ELi4ELi0ELi0EELi0ELi0ELi4ELi0EEEviiP15ncclDevWorkColl.num_named_barrier)
	.set .L_Z51ncclDevFunc_AllReduce_RING_SIMPLE_MinMax_bf16_0_0_4v.private_seg_size, 32+max(.L_ZN12_GLOBAL__N_17runRingI12hip_bfloat1610FuncMinMaxIS1_E11ProtoSimpleILi2ELi2ELi0ELi4ELi0ELi0EELi0ELi0ELi4ELi0EEEviiP15ncclDevWorkColl.private_seg_size)
	.set .L_Z51ncclDevFunc_AllReduce_RING_SIMPLE_MinMax_bf16_0_0_4v.uses_vcc, or(1, .L_ZN12_GLOBAL__N_17runRingI12hip_bfloat1610FuncMinMaxIS1_E11ProtoSimpleILi2ELi2ELi0ELi4ELi0ELi0EELi0ELi0ELi4ELi0EEEviiP15ncclDevWorkColl.uses_vcc)
	.set .L_Z51ncclDevFunc_AllReduce_RING_SIMPLE_MinMax_bf16_0_0_4v.uses_flat_scratch, or(0, .L_ZN12_GLOBAL__N_17runRingI12hip_bfloat1610FuncMinMaxIS1_E11ProtoSimpleILi2ELi2ELi0ELi4ELi0ELi0EELi0ELi0ELi4ELi0EEEviiP15ncclDevWorkColl.uses_flat_scratch)
	.set .L_Z51ncclDevFunc_AllReduce_RING_SIMPLE_MinMax_bf16_0_0_4v.has_dyn_sized_stack, or(0, .L_ZN12_GLOBAL__N_17runRingI12hip_bfloat1610FuncMinMaxIS1_E11ProtoSimpleILi2ELi2ELi0ELi4ELi0ELi0EELi0ELi0ELi4ELi0EEEviiP15ncclDevWorkColl.has_dyn_sized_stack)
	.set .L_Z51ncclDevFunc_AllReduce_RING_SIMPLE_MinMax_bf16_0_0_4v.has_recursion, or(1, .L_ZN12_GLOBAL__N_17runRingI12hip_bfloat1610FuncMinMaxIS1_E11ProtoSimpleILi2ELi2ELi0ELi4ELi0ELi0EELi0ELi0ELi4ELi0EEEviiP15ncclDevWorkColl.has_recursion)
	.set .L_Z51ncclDevFunc_AllReduce_RING_SIMPLE_MinMax_bf16_0_0_4v.has_indirect_call, or(0, .L_ZN12_GLOBAL__N_17runRingI12hip_bfloat1610FuncMinMaxIS1_E11ProtoSimpleILi2ELi2ELi0ELi4ELi0ELi0EELi0ELi0ELi4ELi0EEEviiP15ncclDevWorkColl.has_indirect_call)
	.section	.AMDGPU.csdata,"",@progbits
; Function info:
; codeLenInByte = 1328
; TotalNumSgprs: 106
; NumVgprs: 64
; ScratchSize: 416
; MemoryBound: 0
	.text
	.p2align	2                               ; -- Begin function _ZN12_GLOBAL__N_17runRingI12hip_bfloat1610FuncMinMaxIS1_E11ProtoSimpleILi2ELi2ELi0ELi4ELi0ELi0EELi0ELi0ELi4ELi1EEEviiP15ncclDevWorkColl
	.type	_ZN12_GLOBAL__N_17runRingI12hip_bfloat1610FuncMinMaxIS1_E11ProtoSimpleILi2ELi2ELi0ELi4ELi0ELi0EELi0ELi0ELi4ELi1EEEviiP15ncclDevWorkColl,@function
_ZN12_GLOBAL__N_17runRingI12hip_bfloat1610FuncMinMaxIS1_E11ProtoSimpleILi2ELi2ELi0ELi4ELi0ELi0EELi0ELi0ELi4ELi1EEEviiP15ncclDevWorkColl: ; @_ZN12_GLOBAL__N_17runRingI12hip_bfloat1610FuncMinMaxIS1_E11ProtoSimpleILi2ELi2ELi0ELi4ELi0ELi0EELi0ELi0ELi4ELi1EEEviiP15ncclDevWorkColl
; %bb.0:
	s_waitcnt vmcnt(0) expcnt(0) lgkmcnt(0)
	s_mov_b32 s4, s33
	s_mov_b32 s33, s32
	s_or_saveexec_b64 s[6:7], -1
	buffer_store_dword v63, off, s[0:3], s33 offset:668 ; 4-byte Folded Spill
	buffer_store_dword v62, off, s[0:3], s33 offset:672 ; 4-byte Folded Spill
	s_mov_b64 exec, s[6:7]
	v_writelane_b32 v63, s4, 34
	s_add_i32 s32, s32, 0xac00
	buffer_store_dword v40, off, s[0:3], s33 offset:52 ; 4-byte Folded Spill
	buffer_store_dword v41, off, s[0:3], s33 offset:48 ; 4-byte Folded Spill
	buffer_store_dword v42, off, s[0:3], s33 offset:44 ; 4-byte Folded Spill
	buffer_store_dword v43, off, s[0:3], s33 offset:40 ; 4-byte Folded Spill
	buffer_store_dword v44, off, s[0:3], s33 offset:36 ; 4-byte Folded Spill
	buffer_store_dword v45, off, s[0:3], s33 offset:32 ; 4-byte Folded Spill
	buffer_store_dword v46, off, s[0:3], s33 offset:28 ; 4-byte Folded Spill
	buffer_store_dword v47, off, s[0:3], s33 offset:24 ; 4-byte Folded Spill
	buffer_store_dword v56, off, s[0:3], s33 offset:20 ; 4-byte Folded Spill
	buffer_store_dword v57, off, s[0:3], s33 offset:16 ; 4-byte Folded Spill
	buffer_store_dword v58, off, s[0:3], s33 offset:12 ; 4-byte Folded Spill
	buffer_store_dword v59, off, s[0:3], s33 offset:8 ; 4-byte Folded Spill
	buffer_store_dword v60, off, s[0:3], s33 offset:4 ; 4-byte Folded Spill
	buffer_store_dword v61, off, s[0:3], s33 ; 4-byte Folded Spill
	v_writelane_b32 v63, s34, 0
	v_writelane_b32 v63, s35, 1
	;; [unrolled: 1-line block ×34, first 2 shown]
	buffer_store_dword v31, off, s[0:3], s33 offset:652 ; 4-byte Folded Spill
	buffer_store_dword v1, off, s[0:3], s33 offset:640 ; 4-byte Folded Spill
	buffer_store_dword v0, off, s[0:3], s33 offset:484 ; 4-byte Folded Spill
	s_trap 2
	flat_load_dword v5, v[2:3]
	ds_read_b32 v6, v0
                                        ; implicit-def: $vgpr7_vgpr8
	s_mov_b64 s[28:29], s[8:9]
                                        ; kill: killed $vgpr7_vgpr8
                                        ; implicit-def: $vgpr7_vgpr8
                                        ; implicit-def: $vgpr0_vgpr1
	buffer_store_dword v7, off, s[0:3], s33 offset:608 ; 4-byte Folded Spill
	s_nop 0
	buffer_store_dword v8, off, s[0:3], s33 offset:612 ; 4-byte Folded Spill
	buffer_store_dword v9, off, s[0:3], s33 offset:616 ; 4-byte Folded Spill
	buffer_store_dword v10, off, s[0:3], s33 offset:620 ; 4-byte Folded Spill
	s_waitcnt lgkmcnt(0)
	v_readfirstlane_b32 s52, v6
	s_waitcnt vmcnt(0)
	v_cmp_ne_u32_sdwa s[4:5], v6, v5 src0_sel:DWORD src1_sel:BYTE_0
	s_and_saveexec_b64 s[6:7], s[4:5]
	s_xor_b64 s[4:5], exec, s[6:7]
	s_cbranch_execz .LBB12_6
; %bb.1:
                                        ; implicit-def: $vgpr7_vgpr8
	v_not_b32_sdwa v4, v5 dst_sel:DWORD dst_unused:UNUSED_PAD src0_sel:BYTE_0
	v_cmp_ne_u32_sdwa s[6:7], v6, v5 src0_sel:DWORD src1_sel:BYTE_1
                                        ; kill: killed $vgpr7_vgpr8
                                        ; implicit-def: $vgpr7_vgpr8
                                        ; implicit-def: $vgpr0_vgpr1
	buffer_store_dword v7, off, s[0:3], s33 offset:608 ; 4-byte Folded Spill
	s_nop 0
	buffer_store_dword v8, off, s[0:3], s33 offset:612 ; 4-byte Folded Spill
	buffer_store_dword v9, off, s[0:3], s33 offset:616 ; 4-byte Folded Spill
	buffer_store_dword v10, off, s[0:3], s33 offset:620 ; 4-byte Folded Spill
	s_and_saveexec_b64 s[8:9], s[6:7]
	s_xor_b64 s[6:7], exec, s[8:9]
	s_cbranch_execz .LBB12_3
; %bb.2:
	flat_load_dwordx4 v[7:10], v[2:3] offset:72
	flat_load_dwordx2 v[0:1], v[2:3] offset:96
	v_add_u32_e32 v4, v6, v4
	v_ashrrev_i32_e32 v5, 31, v4
	s_waitcnt vmcnt(0) lgkmcnt(0)
	v_mul_lo_u32 v5, v9, v5
	v_mad_u64_u32 v[6:7], s[8:9], v9, v4, v[7:8]
	v_mul_lo_u32 v4, v10, v4
	v_lshrrev_b64 v[0:1], 13, v[0:1]
	v_add3_u32 v7, v4, v7, v5
	buffer_store_dword v6, off, s[0:3], s33 offset:624 ; 4-byte Folded Spill
	s_nop 0
	buffer_store_dword v7, off, s[0:3], s33 offset:628 ; 4-byte Folded Spill
	v_mov_b32_e32 v4, v9
	v_mov_b32_e32 v5, v10
	buffer_store_dword v4, off, s[0:3], s33 offset:608 ; 4-byte Folded Spill
	s_nop 0
	buffer_store_dword v5, off, s[0:3], s33 offset:612 ; 4-byte Folded Spill
	buffer_store_dword v6, off, s[0:3], s33 offset:616 ; 4-byte Folded Spill
	;; [unrolled: 1-line block ×3, first 2 shown]
                                        ; implicit-def: $vgpr5
                                        ; implicit-def: $vgpr4
.LBB12_3:
	s_andn2_saveexec_b64 s[6:7], s[6:7]
	s_cbranch_execz .LBB12_5
; %bb.4:
	flat_load_dwordx4 v[6:9], v[2:3] offset:72
	flat_load_dwordx4 v[10:13], v[2:3] offset:88
	v_add_u32_sdwa v0, v5, v4 dst_sel:DWORD dst_unused:UNUSED_PAD src0_sel:BYTE_1 src1_sel:DWORD
	v_ashrrev_i32_e32 v1, 31, v0
	s_waitcnt vmcnt(0) lgkmcnt(0)
	v_mul_lo_u32 v1, v8, v1
	v_mad_u64_u32 v[4:5], s[8:9], v8, v0, v[6:7]
	v_mul_lo_u32 v0, v9, v0
	v_add3_u32 v5, v0, v5, v1
	v_mov_b32_e32 v0, v10
	v_mov_b32_e32 v1, v11
	buffer_store_dword v4, off, s[0:3], s33 offset:624 ; 4-byte Folded Spill
	s_nop 0
	buffer_store_dword v5, off, s[0:3], s33 offset:628 ; 4-byte Folded Spill
	buffer_store_dword v0, off, s[0:3], s33 offset:608 ; 4-byte Folded Spill
	s_nop 0
	buffer_store_dword v1, off, s[0:3], s33 offset:612 ; 4-byte Folded Spill
	buffer_store_dword v2, off, s[0:3], s33 offset:616 ; 4-byte Folded Spill
	;; [unrolled: 1-line block ×3, first 2 shown]
	v_lshrrev_b32_e32 v0, 2, v13
.LBB12_5:
	s_or_b64 exec, exec, s[6:7]
.LBB12_6:
	s_andn2_saveexec_b64 s[4:5], s[4:5]
	s_cbranch_execz .LBB12_8
; %bb.7:
	flat_load_dwordx2 v[0:1], v[2:3] offset:96
	flat_load_dwordx2 v[4:5], v[2:3] offset:72
	s_waitcnt vmcnt(0) lgkmcnt(0)
	buffer_store_dword v4, off, s[0:3], s33 offset:608 ; 4-byte Folded Spill
	s_nop 0
	buffer_store_dword v5, off, s[0:3], s33 offset:612 ; 4-byte Folded Spill
	buffer_store_dword v6, off, s[0:3], s33 offset:616 ; 4-byte Folded Spill
	;; [unrolled: 1-line block ×3, first 2 shown]
	v_lshlrev_b64 v[0:1], 8, v[0:1]
	v_mov_b32_e32 v4, 0
	v_mov_b32_e32 v5, 0
	buffer_store_dword v4, off, s[0:3], s33 offset:624 ; 4-byte Folded Spill
	s_nop 0
	buffer_store_dword v5, off, s[0:3], s33 offset:628 ; 4-byte Folded Spill
.LBB12_8:
	s_or_b64 exec, exec, s[4:5]
	s_trap 2
	ds_read_b64 v[4:5], v0
	s_waitcnt lgkmcnt(0)
	v_cmp_ne_u32_e32 vcc, -1, v4
	v_cndmask_b32_e64 v1, 0, 1, vcc
	v_cmp_ne_u32_e32 vcc, -1, v5
	buffer_load_dword v5, off, s[0:3], s33 offset:640 ; 4-byte Folded Reload
	v_addc_co_u32_e64 v10, s[4:5], 0, v1, vcc
	v_lshlrev_b32_e32 v4, 1, v10
	s_waitcnt vmcnt(0)
	v_cmp_le_u32_e64 s[4:5], v4, v5
	s_and_saveexec_b64 s[6:7], s[4:5]
	s_xor_b64 s[6:7], exec, s[6:7]
                                        ; implicit-def: $vgpr62 : SGPR spill to VGPR lane
	v_writelane_b32 v62, s6, 0
	v_writelane_b32 v62, s7, 1
	s_cbranch_execnz .LBB12_9
; %bb.3548:
	s_getpc_b64 s[98:99]
.Lpost_getpc0:
	s_add_u32 s98, s98, (.LBB12_3545-.Lpost_getpc0)&4294967295
	s_addc_u32 s99, s99, (.LBB12_3545-.Lpost_getpc0)>>32
	s_setpc_b64 s[98:99]
.LBB12_9:
	flat_load_dwordx4 v[4:7], v[2:3] offset:16
	flat_load_dwordx2 v[8:9], v[2:3] offset:104
	flat_load_ushort v12, v[2:3] offset:8
	flat_load_dword v11, v[2:3] offset:4
	s_trap 2
	s_load_dword s4, s[28:29], 0x0
	v_mov_b32_e32 v13, 0
	s_waitcnt lgkmcnt(0)
	s_cmp_lt_u32 s12, s4
	s_cselect_b32 s4, 12, 18
	s_add_u32 s4, s28, s4
	s_addc_u32 s5, s29, 0
	global_load_ushort v13, v13, s[4:5]
	s_waitcnt vmcnt(0)
	buffer_store_dword v13, off, s[0:3], s33 offset:656 ; 4-byte Folded Spill
	ds_read_b32 v13, v0
	s_waitcnt lgkmcnt(0)
	v_readfirstlane_b32 s8, v13
	buffer_load_dword v13, off, s[0:3], s33 offset:484 ; 4-byte Folded Reload
	s_waitcnt vmcnt(0)
	v_cmp_ge_u32_e64 s[4:5], v13, v1
	v_mov_b32_e32 v13, 4
	s_and_saveexec_b64 s[6:7], s[4:5]
	s_cbranch_execz .LBB12_19
; %bb.10:
	buffer_load_dword v13, off, s[0:3], s33 offset:484 ; 4-byte Folded Reload
	s_waitcnt vmcnt(0)
	v_cmp_ge_u32_e64 s[4:5], v13, v10
                                        ; implicit-def: $vgpr13
	s_and_saveexec_b64 s[10:11], s[4:5]
	s_xor_b64 s[4:5], exec, s[10:11]
	s_cbranch_execz .LBB12_16
; %bb.11:
	buffer_load_dword v14, off, s[0:3], s33 offset:640 ; 4-byte Folded Reload
	v_cndmask_b32_e64 v13, 0, 1, vcc
	s_waitcnt vmcnt(0)
	v_sub_u32_e32 v13, v14, v13
	buffer_load_dword v14, off, s[0:3], s33 offset:484 ; 4-byte Folded Reload
	s_waitcnt vmcnt(0)
	v_cmp_ge_u32_e32 vcc, v14, v13
	s_and_saveexec_b64 s[10:11], vcc
	s_xor_b64 s[10:11], exec, s[10:11]
; %bb.12:
                                        ; implicit-def: $vgpr10
; %bb.13:
	s_or_saveexec_b64 s[10:11], s[10:11]
	v_mov_b32_e32 v13, 16
	s_xor_b64 exec, exec, s[10:11]
	s_cbranch_execz .LBB12_15
; %bb.14:
	buffer_load_dword v13, off, s[0:3], s33 offset:640 ; 4-byte Folded Reload
	s_waitcnt vmcnt(0)
	v_sub_u32_e32 v10, v13, v10
	buffer_load_dword v13, off, s[0:3], s33 offset:484 ; 4-byte Folded Reload
	s_waitcnt vmcnt(0)
	v_cmp_lt_i32_e32 vcc, v13, v10
	v_cndmask_b32_e64 v13, 32, 0, vcc
.LBB12_15:
	s_or_b64 exec, exec, s[10:11]
.LBB12_16:
	s_andn2_saveexec_b64 s[4:5], s[4:5]
; %bb.17:
	v_mov_b32_e32 v13, 8
; %bb.18:
	s_or_b64 exec, exec, s[4:5]
.LBB12_19:
	s_or_b64 exec, exec, s[6:7]
	v_and_b32_e32 v10, 36, v13
	v_cmp_ne_u32_e32 vcc, 0, v10
	v_mov_b32_e32 v10, -1
	buffer_store_dword v13, off, s[0:3], s33 offset:156 ; 4-byte Folded Spill
	s_and_saveexec_b64 s[4:5], vcc
	s_cbranch_execz .LBB12_21
; %bb.20:
	s_trap 2
	ds_read_b32 v10, v0
.LBB12_21:
	s_or_b64 exec, exec, s[4:5]
	buffer_load_dword v13, off, s[0:3], s33 offset:156 ; 4-byte Folded Reload
	s_waitcnt vmcnt(0)
	v_and_b32_e32 v13, 24, v13
	v_cmp_ne_u32_e64 s[4:5], 0, v13
	s_and_saveexec_b64 s[6:7], s[4:5]
	s_cbranch_execz .LBB12_23
; %bb.22:
	s_trap 2
	s_waitcnt lgkmcnt(0)
	ds_read_b32 v10, v0
.LBB12_23:
	s_or_b64 exec, exec, s[6:7]
	v_lshrrev_b64 v[11:12], 31, v[11:12]
	v_mov_b32_e32 v12, 0
	v_mov_b32_e32 v13, 0
	buffer_store_dword v12, off, s[0:3], s33 offset:644 ; 4-byte Folded Spill
	s_nop 0
	buffer_store_dword v13, off, s[0:3], s33 offset:648 ; 4-byte Folded Spill
	v_and_b32_e32 v14, 3, v11
	v_mov_b32_e32 v11, 0
	v_mov_b32_e32 v12, 0
	buffer_store_dword v11, off, s[0:3], s33 offset:412 ; 4-byte Folded Spill
	s_nop 0
	buffer_store_dword v12, off, s[0:3], s33 offset:416 ; 4-byte Folded Spill
	buffer_store_dword v13, off, s[0:3], s33 offset:420 ; 4-byte Folded Spill
	;; [unrolled: 1-line block ×3, first 2 shown]
                                        ; implicit-def: $vgpr12_vgpr13
                                        ; kill: killed $vgpr12_vgpr13
	s_waitcnt lgkmcnt(0)
	v_ashrrev_i32_e32 v11, 31, v10
                                        ; implicit-def: $vgpr12
                                        ; kill: killed $vgpr12
                                        ; implicit-def: $vgpr12_vgpr13
                                        ; kill: killed $vgpr12_vgpr13
                                        ; implicit-def: $vgpr12_vgpr13
                                        ; kill: killed $vgpr12_vgpr13
	;; [unrolled: 2-line block ×4, first 2 shown]
	s_and_saveexec_b64 s[4:5], vcc
	s_cbranch_execz .LBB12_33
; %bb.24:
	s_trap 2
	ds_read_b64 v[12:13], v0
	v_lshlrev_b64 v[15:16], 3, v[10:11]
	s_movk_i32 s6, 0xa8
	s_waitcnt lgkmcnt(0)
	v_add_co_u32_e32 v12, vcc, v12, v15
	v_addc_co_u32_e32 v13, vcc, v13, v16, vcc
	flat_load_dwordx2 v[12:13], v[12:13]
	v_and_b32_e32 v15, 0xffff, v14
	s_waitcnt vmcnt(0) lgkmcnt(0)
	v_mad_u64_u32 v[12:13], s[6:7], v15, s6, v[12:13]
	flat_load_dword v15, v[12:13] offset:640
	s_waitcnt vmcnt(0) lgkmcnt(0)
	v_cmp_eq_u32_e32 vcc, 1, v15
                                        ; implicit-def: $vgpr15_vgpr16
                                        ; kill: killed $vgpr15_vgpr16
	s_and_saveexec_b64 s[6:7], vcc
	s_cbranch_execz .LBB12_26
; %bb.25:
	flat_load_dwordx2 v[17:18], v[12:13] offset:648
	s_waitcnt vmcnt(0) lgkmcnt(0)
	flat_load_dwordx2 v[15:16], v[17:18]
	s_trap 2
	s_waitcnt vmcnt(0) lgkmcnt(0)
	ds_write_b64 v0, v[15:16]
	flat_load_dwordx2 v[15:16], v[17:18] offset:8
	s_waitcnt vmcnt(0) lgkmcnt(0)
	ds_write_b64 v0, v[15:16]
	buffer_store_dword v17, off, s[0:3], s33 offset:660 ; 4-byte Folded Spill
	s_nop 0
	buffer_store_dword v18, off, s[0:3], s33 offset:664 ; 4-byte Folded Spill
	flat_load_dwordx2 v[15:16], v[17:18] offset:16
	s_waitcnt vmcnt(0) lgkmcnt(0)
	ds_write_b64 v0, v[15:16]
	buffer_load_dword v15, off, s[0:3], s33 offset:156 ; 4-byte Folded Reload
	s_waitcnt vmcnt(0)
	v_or_b32_e32 v15, 0x2000, v15
	buffer_store_dword v15, off, s[0:3], s33 offset:156 ; 4-byte Folded Spill
.LBB12_26:
	s_or_b64 exec, exec, s[6:7]
	flat_load_dwordx2 v[15:16], v[12:13] offset:608
	buffer_load_dword v17, off, s[0:3], s33 offset:156 ; 4-byte Folded Reload
	s_waitcnt vmcnt(0) lgkmcnt(0)
	v_add_co_u32_e32 v15, vcc, 3, v15
	v_and_b32_e32 v17, 32, v17
	v_addc_co_u32_e32 v16, vcc, 0, v16, vcc
	v_and_b32_e32 v15, -4, v15
	buffer_store_dword v15, off, s[0:3], s33 offset:256 ; 4-byte Folded Spill
	s_nop 0
	buffer_store_dword v16, off, s[0:3], s33 offset:260 ; 4-byte Folded Spill
	v_cmp_ne_u32_e32 vcc, 0, v17
                                        ; implicit-def: $vgpr15_vgpr16
                                        ; kill: killed $vgpr15_vgpr16
	s_and_saveexec_b64 s[6:7], vcc
	s_cbranch_execz .LBB12_28
; %bb.27:
	flat_load_dwordx2 v[15:16], v[12:13] offset:560
	s_waitcnt vmcnt(0) lgkmcnt(0)
	buffer_store_dword v15, off, s[0:3], s33 offset:144 ; 4-byte Folded Spill
	s_nop 0
	buffer_store_dword v16, off, s[0:3], s33 offset:148 ; 4-byte Folded Spill
	buffer_load_dword v17, off, s[0:3], s33 offset:256 ; 4-byte Folded Reload
	buffer_load_dword v18, off, s[0:3], s33 offset:260 ; 4-byte Folded Reload
	s_waitcnt vmcnt(0)
	flat_store_dwordx2 v[15:16], v[17:18]
.LBB12_28:
	s_or_b64 exec, exec, s[6:7]
	v_add_co_u32_e32 v15, vcc, 0x1f8, v12
	v_addc_co_u32_e32 v16, vcc, 0, v13, vcc
	buffer_store_dword v15, off, s[0:3], s33 offset:644 ; 4-byte Folded Spill
	s_nop 0
	buffer_store_dword v16, off, s[0:3], s33 offset:648 ; 4-byte Folded Spill
	buffer_load_dword v15, off, s[0:3], s33 offset:156 ; 4-byte Folded Reload
	v_mov_b32_e32 v16, 0
	v_mov_b32_e32 v17, 0
	buffer_store_dword v16, off, s[0:3], s33 offset:412 ; 4-byte Folded Spill
	s_nop 0
	buffer_store_dword v17, off, s[0:3], s33 offset:416 ; 4-byte Folded Spill
	buffer_store_dword v18, off, s[0:3], s33 offset:420 ; 4-byte Folded Spill
	;; [unrolled: 1-line block ×3, first 2 shown]
	s_waitcnt vmcnt(0)
	v_and_b32_e32 v15, 4, v15
	v_cmp_ne_u32_e32 vcc, 0, v15
                                        ; implicit-def: $vgpr15
                                        ; kill: killed $vgpr15
                                        ; implicit-def: $vgpr15_vgpr16
                                        ; kill: killed $vgpr15_vgpr16
                                        ; implicit-def: $vgpr15_vgpr16
                                        ; kill: killed $vgpr15_vgpr16
	s_and_saveexec_b64 s[6:7], vcc
	s_cbranch_execz .LBB12_32
; %bb.29:
	buffer_load_dword v15, off, s[0:3], s33 offset:156 ; 4-byte Folded Reload
	s_waitcnt vmcnt(0)
	v_and_b32_e32 v15, 0x800, v15
	v_cmp_eq_u32_e32 vcc, 0, v15
	s_and_saveexec_b64 s[10:11], vcc
	s_cbranch_execz .LBB12_31
; %bb.30:
	s_trap 2
	buffer_load_dword v15, off, s[0:3], s33 offset:644 ; 4-byte Folded Reload
	buffer_load_dword v16, off, s[0:3], s33 offset:648 ; 4-byte Folded Reload
	s_waitcnt vmcnt(0)
	ds_write_b64 v0, v[15:16]
.LBB12_31:
	s_or_b64 exec, exec, s[10:11]
	flat_load_dwordx2 v[15:16], v[12:13] offset:552
	s_waitcnt vmcnt(0) lgkmcnt(0)
	buffer_store_dword v15, off, s[0:3], s33 offset:144 ; 4-byte Folded Spill
	s_nop 0
	buffer_store_dword v16, off, s[0:3], s33 offset:148 ; 4-byte Folded Spill
	flat_load_dwordx2 v[15:16], v[15:16] glc
	s_waitcnt vmcnt(0) lgkmcnt(0)
	buffer_store_dword v15, off, s[0:3], s33 offset:136 ; 4-byte Folded Spill
	s_nop 0
	buffer_store_dword v16, off, s[0:3], s33 offset:140 ; 4-byte Folded Spill
	flat_load_dword v15, v[12:13] offset:576
	s_nop 0
	flat_load_dwordx2 v[17:18], v[12:13] offset:600
	s_nop 0
	flat_load_dwordx2 v[12:13], v[12:13] offset:520
	s_waitcnt vmcnt(0) lgkmcnt(0)
	buffer_store_dword v12, off, s[0:3], s33 offset:404 ; 4-byte Folded Spill
	s_nop 0
	buffer_store_dword v13, off, s[0:3], s33 offset:408 ; 4-byte Folded Spill
	v_ashrrev_i32_e32 v15, 1, v15
	buffer_load_dword v13, off, s[0:3], s33 offset:156 ; 4-byte Folded Reload
	s_waitcnt vmcnt(0)
	v_or_b32_e32 v12, 0x100, v13
	buffer_store_dword v15, off, s[0:3], s33 offset:436 ; 4-byte Folded Spill
	v_mov_b32_e32 v15, v17
	v_mov_b32_e32 v16, v18
	buffer_store_dword v15, off, s[0:3], s33 offset:412 ; 4-byte Folded Spill
	s_nop 0
	buffer_store_dword v16, off, s[0:3], s33 offset:416 ; 4-byte Folded Spill
	buffer_store_dword v17, off, s[0:3], s33 offset:420 ; 4-byte Folded Spill
	;; [unrolled: 1-line block ×3, first 2 shown]
	v_cmp_eq_u64_e32 vcc, 0, v[17:18]
	v_cndmask_b32_e32 v13, v12, v13, vcc
	buffer_store_dword v13, off, s[0:3], s33 offset:156 ; 4-byte Folded Spill
.LBB12_32:
	s_or_b64 exec, exec, s[6:7]
.LBB12_33:
	s_or_b64 exec, exec, s[4:5]
	buffer_load_dword v12, off, s[0:3], s33 offset:156 ; 4-byte Folded Reload
	s_waitcnt vmcnt(0)
	v_and_b32_e32 v12, 24, v12
	v_cmp_ne_u32_e32 vcc, 0, v12
                                        ; implicit-def: $vgpr12_vgpr13
                                        ; kill: killed $vgpr12_vgpr13
	s_and_saveexec_b64 s[4:5], vcc
	s_cbranch_execz .LBB12_41
; %bb.34:
	s_trap 2
	ds_read_b64 v[12:13], v0
	v_lshlrev_b64 v[10:11], 3, v[10:11]
	s_movk_i32 s6, 0xa8
	s_waitcnt lgkmcnt(0)
	v_add_co_u32_e32 v10, vcc, v12, v10
	v_addc_co_u32_e32 v11, vcc, v13, v11, vcc
	flat_load_dwordx2 v[10:11], v[10:11]
	v_and_b32_e32 v12, 0xffff, v14
	s_waitcnt vmcnt(0) lgkmcnt(0)
	v_mad_u64_u32 v[10:11], s[6:7], v12, s6, v[10:11]
	buffer_store_dword v10, off, s[0:3], s33 offset:644 ; 4-byte Folded Spill
	s_nop 0
	buffer_store_dword v11, off, s[0:3], s33 offset:648 ; 4-byte Folded Spill
	flat_load_dwordx4 v[12:15], v[10:11] offset:96
	s_nop 0
	buffer_load_dword v11, off, s[0:3], s33 offset:156 ; 4-byte Folded Reload
	s_waitcnt vmcnt(0) lgkmcnt(0)
	buffer_store_dword v12, off, s[0:3], s33 offset:412 ; 4-byte Folded Spill
	s_nop 0
	buffer_store_dword v13, off, s[0:3], s33 offset:416 ; 4-byte Folded Spill
	buffer_store_dword v14, off, s[0:3], s33 offset:420 ; 4-byte Folded Spill
	;; [unrolled: 1-line block ×3, first 2 shown]
	v_or_b32_e32 v10, 0x100, v11
	v_cmp_eq_u64_e32 vcc, 0, v[12:13]
	v_cndmask_b32_e32 v11, v10, v11, vcc
	v_and_b32_e32 v10, 16, v11
	v_cmp_ne_u32_e32 vcc, 0, v10
	buffer_store_dword v11, off, s[0:3], s33 offset:156 ; 4-byte Folded Spill
                                        ; implicit-def: $vgpr10_vgpr11
                                        ; kill: killed $vgpr10_vgpr11
	s_and_saveexec_b64 s[6:7], vcc
	s_cbranch_execz .LBB12_36
; %bb.35:
	buffer_load_dword v10, off, s[0:3], s33 offset:644 ; 4-byte Folded Reload
	buffer_load_dword v11, off, s[0:3], s33 offset:648 ; 4-byte Folded Reload
	s_waitcnt vmcnt(0)
	flat_load_dwordx2 v[12:13], v[10:11] offset:48
	s_waitcnt vmcnt(0) lgkmcnt(0)
	buffer_store_dword v12, off, s[0:3], s33 offset:144 ; 4-byte Folded Spill
	s_nop 0
	buffer_store_dword v13, off, s[0:3], s33 offset:148 ; 4-byte Folded Spill
	flat_load_dwordx2 v[12:13], v[10:11] offset:120
	s_waitcnt vmcnt(0) lgkmcnt(0)
	buffer_store_dword v12, off, s[0:3], s33 offset:428 ; 4-byte Folded Spill
	s_nop 0
	buffer_store_dword v13, off, s[0:3], s33 offset:432 ; 4-byte Folded Spill
	;; [unrolled: 5-line block ×3, first 2 shown]
.LBB12_36:
	s_or_b64 exec, exec, s[6:7]
	buffer_load_dword v10, off, s[0:3], s33 offset:412 ; 4-byte Folded Reload
	buffer_load_dword v11, off, s[0:3], s33 offset:416 ; 4-byte Folded Reload
	;; [unrolled: 1-line block ×4, first 2 shown]
	s_waitcnt vmcnt(1)
	v_add_co_u32_e32 v10, vcc, 3, v12
	s_waitcnt vmcnt(0)
	v_addc_co_u32_e32 v11, vcc, 0, v13, vcc
	v_and_b32_e32 v10, -4, v10
	buffer_store_dword v10, off, s[0:3], s33 offset:256 ; 4-byte Folded Spill
	s_nop 0
	buffer_store_dword v11, off, s[0:3], s33 offset:260 ; 4-byte Folded Spill
	buffer_load_dword v10, off, s[0:3], s33 offset:156 ; 4-byte Folded Reload
	s_waitcnt vmcnt(0)
	v_and_b32_e32 v10, 8, v10
	v_cmp_ne_u32_e32 vcc, 0, v10
	s_and_saveexec_b64 s[6:7], vcc
	s_cbranch_execz .LBB12_40
; %bb.37:
	buffer_load_dword v10, off, s[0:3], s33 offset:156 ; 4-byte Folded Reload
	s_waitcnt vmcnt(0)
	v_and_b32_e32 v10, 0x800, v10
	v_cmp_eq_u32_e32 vcc, 0, v10
	s_and_saveexec_b64 s[10:11], vcc
	s_cbranch_execz .LBB12_39
; %bb.38:
	s_trap 2
	buffer_load_dword v10, off, s[0:3], s33 offset:644 ; 4-byte Folded Reload
	buffer_load_dword v11, off, s[0:3], s33 offset:648 ; 4-byte Folded Reload
	s_waitcnt vmcnt(0)
	ds_write_b64 v0, v[10:11]
.LBB12_39:
	s_or_b64 exec, exec, s[10:11]
	buffer_load_dword v11, off, s[0:3], s33 offset:644 ; 4-byte Folded Reload
	buffer_load_dword v12, off, s[0:3], s33 offset:648 ; 4-byte Folded Reload
	s_waitcnt vmcnt(0)
	flat_load_dwordx2 v[13:14], v[11:12] offset:56
	s_waitcnt vmcnt(0) lgkmcnt(0)
	buffer_store_dword v13, off, s[0:3], s33 offset:144 ; 4-byte Folded Spill
	s_nop 0
	buffer_store_dword v14, off, s[0:3], s33 offset:148 ; 4-byte Folded Spill
	flat_load_dwordx2 v[13:14], v[13:14] glc
	s_waitcnt vmcnt(0) lgkmcnt(0)
	buffer_store_dword v13, off, s[0:3], s33 offset:136 ; 4-byte Folded Spill
	s_nop 0
	buffer_store_dword v14, off, s[0:3], s33 offset:140 ; 4-byte Folded Spill
	flat_load_dword v10, v[11:12] offset:72
	s_nop 0
	flat_load_dwordx2 v[11:12], v[11:12] offset:16
	s_waitcnt vmcnt(0) lgkmcnt(0)
	buffer_store_dword v11, off, s[0:3], s33 offset:404 ; 4-byte Folded Spill
	s_nop 0
	buffer_store_dword v12, off, s[0:3], s33 offset:408 ; 4-byte Folded Spill
	v_ashrrev_i32_e32 v10, 1, v10
	buffer_store_dword v10, off, s[0:3], s33 offset:436 ; 4-byte Folded Spill
.LBB12_40:
	s_or_b64 exec, exec, s[6:7]
.LBB12_41:
	s_or_b64 exec, exec, s[4:5]
	buffer_load_dword v10, off, s[0:3], s33 offset:484 ; 4-byte Folded Reload
	s_waitcnt vmcnt(0)
	v_cmp_eq_u32_e64 s[4:5], 0, v10
	s_and_saveexec_b64 s[6:7], s[4:5]
	s_cbranch_execz .LBB12_43
; %bb.42:
	flat_load_dwordx2 v[10:11], v[2:3] offset:32
	ds_write2_b64 v0, v[6:7], v[4:5] offset1:1
	s_trap 2
	s_waitcnt vmcnt(0) lgkmcnt(0)
	ds_write_b64 v0, v[10:11]
	ds_write_b64 v0, v[8:9]
.LBB12_43:
	s_or_b64 exec, exec, s[6:7]
	v_mov_b32_e32 v4, 0
	v_mov_b32_e32 v5, 0
	buffer_store_dword v4, off, s[0:3], s33 offset:160 ; 4-byte Folded Spill
	s_nop 0
	buffer_store_dword v5, off, s[0:3], s33 offset:164 ; 4-byte Folded Spill
	buffer_load_dword v4, off, s[0:3], s33 offset:608 ; 4-byte Folded Reload
	s_nop 0
	buffer_load_dword v5, off, s[0:3], s33 offset:612 ; 4-byte Folded Reload
	buffer_load_dword v6, off, s[0:3], s33 offset:616 ; 4-byte Folded Reload
	;; [unrolled: 1-line block ×3, first 2 shown]
	s_waitcnt vmcnt(0)
	v_cmp_lt_i64_e32 vcc, 0, v[4:5]
	s_mov_b64 s[6:7], exec
	v_writelane_b32 v62, s6, 2
	v_writelane_b32 v62, s7, 3
	s_and_b64 s[6:7], s[6:7], vcc
	s_mov_b64 exec, s[6:7]
	s_cbranch_execnz .LBB12_44
; %bb.3550:
	s_getpc_b64 s[98:99]
.Lpost_getpc1:
	s_add_u32 s98, s98, (.LBB12_3511-.Lpost_getpc1)&4294967295
	s_addc_u32 s99, s99, (.LBB12_3511-.Lpost_getpc1)>>32
	s_setpc_b64 s[98:99]
.LBB12_44:
	flat_load_dword v2, v[2:3] offset:4
	v_and_b32_e32 v10, 0x1fffff00, v0
	buffer_load_dword v3, off, s[0:3], s33 offset:640 ; 4-byte Folded Reload
	buffer_load_dword v4, off, s[0:3], s33 offset:484 ; 4-byte Folded Reload
	;; [unrolled: 1-line block ×4, first 2 shown]
	v_mov_b32_e32 v7, 0
	s_movk_i32 s54, 0x2000
	s_movk_i32 s64, 0x800
	;; [unrolled: 1-line block ×4, first 2 shown]
	s_ashr_i32 s9, s8, 31
	s_lshr_b32 s9, s9, 29
	s_add_i32 s9, s8, s9
	s_ashr_i32 s53, s52, 31
	s_ashr_i32 s27, s9, 4
	s_add_u32 s8, s52, -1
	s_addc_u32 s66, s53, -1
	s_add_i32 s67, s52, s52
	s_movk_i32 s81, 0x1000
	v_writelane_b32 v62, s28, 4
	v_writelane_b32 v62, s29, 5
	s_mov_b64 s[60:61], 0
	s_movk_i32 s97, 0x108
	s_mov_b32 s56, 0x7f800000
	s_movk_i32 s57, 0x7fff
	s_mov_b32 s46, 0xffff0000
	s_waitcnt vmcnt(0)
	v_cmp_eq_u32_e64 s[6:7], 64, v3
	v_and_b32_e32 v41, 63, v4
	v_and_b32_e32 v0, 63, v0
	v_ashrrev_i32_e32 v5, 31, v5
	buffer_store_dword v5, off, s[0:3], s33 offset:440 ; 4-byte Folded Spill
	s_trap 2
	buffer_load_dword v5, off, s[0:3], s33 offset:656 ; 4-byte Folded Reload
	v_cmp_ge_u32_e32 vcc, v4, v3
	v_cmp_ne_u32_e64 s[10:11], 64, v3
	v_lshrrev_b32_e32 v8, 6, v3
	v_lshrrev_b32_e32 v9, 6, v4
	v_mov_b32_e32 v4, 0xfffff800
	v_cmp_lt_u32_e64 s[20:21], v41, v1
	v_cmp_le_u32_e64 s[22:23], v41, v1
	v_lshlrev_b32_e32 v12, 7, v8
	v_lshlrev_b32_e32 v44, 10, v8
	v_add_u32_e32 v46, 0xfffffc00, v44
	v_cmp_eq_u32_e64 s[18:19], 0, v41
	s_waitcnt vmcnt(0)
	v_cmp_ne_u32_sdwa s[58:59], v3, v5 src0_sel:DWORD src1_sel:WORD_0
	buffer_load_dword v5, off, s[0:3], s33 offset:428 ; 4-byte Folded Reload
	buffer_load_dword v6, off, s[0:3], s33 offset:432 ; 4-byte Folded Reload
	v_mov_b32_e32 v3, 0xffffe000
	v_lshl_add_u32 v3, v8, 13, v3
	s_waitcnt vmcnt(0)
	v_cmp_eq_u64_e64 s[12:13], 0, v[5:6]
	v_cmp_ne_u64_e64 s[14:15], 0, v[5:6]
	v_mov_b32_e32 v6, 0
	buffer_store_dword v6, off, s[0:3], s33 offset:128 ; 4-byte Folded Spill
	s_nop 0
	buffer_store_dword v7, off, s[0:3], s33 offset:132 ; 4-byte Folded Spill
	v_mov_b32_e32 v5, 0xfffff000
	v_mov_b32_e32 v11, v7
	buffer_store_dword v10, off, s[0:3], s33 offset:564 ; 4-byte Folded Spill
	s_nop 0
	buffer_store_dword v11, off, s[0:3], s33 offset:568 ; 4-byte Folded Spill
	buffer_store_dword v12, off, s[0:3], s33 offset:280 ; 4-byte Folded Spill
	;; [unrolled: 1-line block ×3, first 2 shown]
	v_add_u32_e32 v12, 0xffffff80, v12
	v_ashrrev_i32_e32 v13, 31, v12
	v_mad_i64_i32 v[6:7], s[16:17], v10, s52, 0
	v_cmp_eq_u32_e64 s[16:17], 0, v0
	v_lshlrev_b32_e32 v0, 4, v41
	v_lshl_or_b32 v1, v9, 13, v0
	v_lshl_or_b32 v0, v9, 12, v0
	v_lshl_add_u32 v10, v8, 11, v4
	v_ashrrev_i32_e32 v4, 31, v3
	buffer_store_dword v0, off, s[0:3], s33 offset:480 ; 4-byte Folded Spill
	v_add_co_u32_e64 v0, s[24:25], s54, v3
	buffer_store_dword v1, off, s[0:3], s33 offset:552 ; 4-byte Folded Spill
	buffer_store_dword v0, off, s[0:3], s33 offset:396 ; 4-byte Folded Spill
	;; [unrolled: 1-line block ×3, first 2 shown]
	s_nop 0
	buffer_store_dword v4, off, s[0:3], s33 offset:448 ; 4-byte Folded Spill
	v_ashrrev_i32_e32 v11, 31, v10
	v_addc_co_u32_e64 v0, s[24:25], 0, v4, s[24:25]
	v_add_co_u32_e64 v1, s[24:25], s64, v10
	buffer_store_dword v0, off, s[0:3], s33 offset:400 ; 4-byte Folded Spill
	buffer_store_dword v1, off, s[0:3], s33 offset:232 ; 4-byte Folded Spill
	;; [unrolled: 1-line block ×3, first 2 shown]
	s_nop 0
	buffer_store_dword v11, off, s[0:3], s33 offset:276 ; 4-byte Folded Spill
	v_ashrrev_i32_e32 v0, 31, v46
	v_addc_co_u32_e64 v1, s[24:25], 0, v11, s[24:25]
	buffer_store_dword v1, off, s[0:3], s33 offset:236 ; 4-byte Folded Spill
	v_add_co_u32_e64 v1, s[24:25], s55, v46
	buffer_store_dword v1, off, s[0:3], s33 offset:344 ; 4-byte Folded Spill
	buffer_store_dword v0, off, s[0:3], s33 offset:340 ; 4-byte Folded Spill
	v_addc_co_u32_e64 v0, s[24:25], 0, v0, s[24:25]
	buffer_store_dword v0, off, s[0:3], s33 offset:348 ; 4-byte Folded Spill
	v_add_co_u32_e64 v0, s[24:25], s26, v12
	buffer_store_dword v0, off, s[0:3], s33 offset:324 ; 4-byte Folded Spill
	buffer_store_dword v12, off, s[0:3], s33 offset:316 ; 4-byte Folded Spill
	s_nop 0
	buffer_store_dword v13, off, s[0:3], s33 offset:320 ; 4-byte Folded Spill
	buffer_store_dword v8, off, s[0:3], s33 offset:152 ; 4-byte Folded Spill
	v_addc_co_u32_e64 v0, s[24:25], 0, v13, s[24:25]
	s_not_b32 s24, s52
	s_cmp_gt_i32 s52, 0
	s_cselect_b32 s24, s24, -1
	s_ashr_i32 s9, s9, 31
	buffer_store_dword v0, off, s[0:3], s33 offset:328 ; 4-byte Folded Spill
	s_lshr_b32 s9, s9, 28
	s_waitcnt lgkmcnt(0)
	v_and_b32_e32 v0, 1, v2
	s_add_i32 s68, s24, s67
	s_add_i32 s27, s27, s9
	v_cmp_eq_u32_e64 s[24:25], 1, v0
	v_lshl_add_u32 v0, v8, 12, v5
	s_ashr_i32 s70, s27, 4
	v_ashrrev_i32_e32 v1, 31, v0
	v_add_co_u32_e64 v2, s[26:27], s81, v0
	buffer_store_dword v2, off, s[0:3], s33 offset:264 ; 4-byte Folded Spill
	buffer_store_dword v0, off, s[0:3], s33 offset:332 ; 4-byte Folded Spill
	s_nop 0
	buffer_store_dword v1, off, s[0:3], s33 offset:336 ; 4-byte Folded Spill
	s_ashr_i32 s69, s68, 31
	s_cmp_gt_i32 s52, 2
	s_cselect_b64 s[62:63], -1, 0
	s_lshr_b32 s9, s33, 6
	s_add_i32 s71, s9, 0x70
	s_lshr_b32 s9, s33, 6
	s_add_i32 s80, s9, 0x50
	s_lshr_b32 s9, s33, 6
	s_add_i32 s82, s9, 0x70
	s_lshr_b32 s9, s33, 6
	s_add_i32 s83, s9, 0x50
	s_lshr_b32 s9, s33, 6
	s_add_i32 s84, s9, 0x70
	s_lshr_b32 s9, s33, 6
	s_xor_b64 s[72:73], s[24:25], -1
	s_add_i32 s85, s9, 0x50
	s_add_i32 s9, s52, 1
	s_cmp_ge_i32 s9, s52
	v_mov_b32_e32 v4, 0
	v_mov_b32_e32 v5, 0
	v_addc_co_u32_e64 v0, s[26:27], 0, v1, s[26:27]
	buffer_store_dword v0, off, s[0:3], s33 offset:268 ; 4-byte Folded Spill
	v_mov_b32_e32 v0, 0
	v_mov_b32_e32 v1, 0
	buffer_store_dword v0, off, s[0:3], s33 offset:160 ; 4-byte Folded Spill
	s_nop 0
	buffer_store_dword v1, off, s[0:3], s33 offset:164 ; 4-byte Folded Spill
	buffer_load_dword v0, off, s[0:3], s33 offset:608 ; 4-byte Folded Reload
	s_nop 0
	buffer_load_dword v1, off, s[0:3], s33 offset:612 ; 4-byte Folded Reload
	buffer_load_dword v2, off, s[0:3], s33 offset:616 ; 4-byte Folded Reload
	;; [unrolled: 1-line block ×3, first 2 shown]
	s_cselect_b32 s26, s52, 0
	s_sub_i32 s86, s9, s26
	s_ashr_i32 s87, s86, 31
	s_add_i32 s96, s52, -2
	s_xor_b64 s[74:75], vcc, -1
	s_ashr_i32 s76, s53, 31
	buffer_store_dword v41, off, s[0:3], s33 offset:524 ; 4-byte Folded Spill
	buffer_store_dword v44, off, s[0:3], s33 offset:528 ; 4-byte Folded Spill
	;; [unrolled: 1-line block ×4, first 2 shown]
	s_nop 0
	buffer_store_dword v7, off, s[0:3], s33 offset:636 ; 4-byte Folded Spill
	s_branch .LBB12_47
.LBB12_45:                              ;   in Loop: Header=BB12_47 Depth=1
	s_or_b64 exec, exec, s[40:41]
.LBB12_46:                              ;   in Loop: Header=BB12_47 Depth=1
	s_or_b64 exec, exec, s[28:29]
	buffer_load_dword v6, off, s[0:3], s33 offset:632 ; 4-byte Folded Reload
	buffer_load_dword v7, off, s[0:3], s33 offset:636 ; 4-byte Folded Reload
	;; [unrolled: 1-line block ×8, first 2 shown]
	s_waitcnt vmcnt(0)
	v_add_co_u32_e32 v4, vcc, v4, v6
	v_addc_co_u32_e32 v5, vcc, v5, v7, vcc
	v_cmp_ge_i64_e32 vcc, v[4:5], v[0:1]
	s_or_b64 s[60:61], vcc, s[60:61]
	s_andn2_b64 exec, exec, s[60:61]
	s_cbranch_execnz .LBB12_47
; %bb.3552:
	s_getpc_b64 s[98:99]
.Lpost_getpc2:
	s_add_u32 s98, s98, (.LBB12_3510-.Lpost_getpc2)&4294967295
	s_addc_u32 s99, s99, (.LBB12_3510-.Lpost_getpc2)>>32
	s_setpc_b64 s[98:99]
.LBB12_47:                              ; =>This Loop Header: Depth=1
                                        ;     Child Loop BB12_57 Depth 2
                                        ;       Child Loop BB12_65 Depth 3
                                        ;       Child Loop BB12_89 Depth 3
	;; [unrolled: 1-line block ×9, first 2 shown]
                                        ;     Child Loop BB12_228 Depth 2
                                        ;       Child Loop BB12_234 Depth 3
                                        ;       Child Loop BB12_258 Depth 3
	;; [unrolled: 1-line block ×3, first 2 shown]
                                        ;     Child Loop BB12_300 Depth 2
                                        ;       Child Loop BB12_303 Depth 3
                                        ;         Child Loop BB12_311 Depth 4
                                        ;         Child Loop BB12_339 Depth 4
	;; [unrolled: 1-line block ×5, first 2 shown]
                                        ;           Child Loop BB12_786 Depth 5
                                        ;           Child Loop BB12_823 Depth 5
                                        ;         Child Loop BB12_900 Depth 4
                                        ;         Child Loop BB12_1103 Depth 4
                                        ;           Child Loop BB12_1104 Depth 5
                                        ;           Child Loop BB12_1113 Depth 5
                                        ;         Child Loop BB12_1132 Depth 4
                                        ;         Child Loop BB12_1151 Depth 4
                                        ;       Child Loop BB12_1170 Depth 3
                                        ;         Child Loop BB12_1176 Depth 4
                                        ;         Child Loop BB12_1204 Depth 4
	;; [unrolled: 1-line block ×3, first 2 shown]
                                        ;     Child Loop BB12_1245 Depth 2
                                        ;       Child Loop BB12_1253 Depth 3
                                        ;       Child Loop BB12_1281 Depth 3
                                        ;       Child Loop BB12_1300 Depth 3
                                        ;       Child Loop BB12_1323 Depth 3
                                        ;       Child Loop BB12_1723 Depth 3
                                        ;         Child Loop BB12_1724 Depth 4
                                        ;         Child Loop BB12_1759 Depth 4
	;; [unrolled: 1-line block ×4, first 2 shown]
                                        ;       Child Loop BB12_1835 Depth 3
                                        ;       Child Loop BB12_1843 Depth 3
	;; [unrolled: 1-line block ×3, first 2 shown]
                                        ;         Child Loop BB12_2049 Depth 4
                                        ;         Child Loop BB12_2056 Depth 4
	;; [unrolled: 1-line block ×4, first 2 shown]
                                        ;       Child Loop BB12_2075 Depth 3
                                        ;       Child Loop BB12_2087 Depth 3
	;; [unrolled: 1-line block ×3, first 2 shown]
                                        ;         Child Loop BB12_2488 Depth 4
                                        ;         Child Loop BB12_2525 Depth 4
                                        ;       Child Loop BB12_2602 Depth 3
                                        ;       Child Loop BB12_2805 Depth 3
                                        ;         Child Loop BB12_2806 Depth 4
                                        ;         Child Loop BB12_2815 Depth 4
                                        ;       Child Loop BB12_2834 Depth 3
                                        ;       Child Loop BB12_2857 Depth 3
                                        ;     Child Loop BB12_2875 Depth 2
                                        ;       Child Loop BB12_2881 Depth 3
                                        ;       Child Loop BB12_2909 Depth 3
	;; [unrolled: 1-line block ×3, first 2 shown]
                                        ;     Child Loop BB12_2951 Depth 2
                                        ;       Child Loop BB12_2954 Depth 3
                                        ;         Child Loop BB12_2962 Depth 4
                                        ;         Child Loop BB12_2990 Depth 4
	;; [unrolled: 1-line block ×5, first 2 shown]
                                        ;           Child Loop BB12_3052 Depth 5
                                        ;           Child Loop BB12_3057 Depth 5
                                        ;         Child Loop BB12_3063 Depth 4
                                        ;         Child Loop BB12_3071 Depth 4
	;; [unrolled: 1-line block ×3, first 2 shown]
                                        ;           Child Loop BB12_3083 Depth 5
                                        ;           Child Loop BB12_3088 Depth 5
                                        ;         Child Loop BB12_3092 Depth 4
                                        ;         Child Loop BB12_3104 Depth 4
	;; [unrolled: 1-line block ×7, first 2 shown]
                                        ;       Child Loop BB12_3196 Depth 3
                                        ;         Child Loop BB12_3202 Depth 4
                                        ;         Child Loop BB12_3230 Depth 4
	;; [unrolled: 1-line block ×3, first 2 shown]
                                        ;     Child Loop BB12_3275 Depth 2
                                        ;       Child Loop BB12_3283 Depth 3
                                        ;       Child Loop BB12_3307 Depth 3
	;; [unrolled: 1-line block ×9, first 2 shown]
                                        ;     Child Loop BB12_3444 Depth 2
                                        ;       Child Loop BB12_3450 Depth 3
                                        ;       Child Loop BB12_3474 Depth 3
	;; [unrolled: 1-line block ×3, first 2 shown]
	s_waitcnt vmcnt(0)
	v_sub_co_u32_e32 v0, vcc, v0, v4
	buffer_store_dword v4, off, s[0:3], s33 offset:600 ; 4-byte Folded Spill
	s_nop 0
	buffer_store_dword v5, off, s[0:3], s33 offset:604 ; 4-byte Folded Spill
	s_waitcnt vmcnt(9)
	v_subb_co_u32_e32 v1, vcc, v1, v5, vcc
	buffer_store_dword v0, off, s[0:3], s33 offset:556 ; 4-byte Folded Spill
	s_nop 0
	buffer_store_dword v1, off, s[0:3], s33 offset:560 ; 4-byte Folded Spill
	v_cmp_lt_i64_e32 vcc, v[0:1], v[6:7]
	s_and_saveexec_b64 s[28:29], vcc
	s_cbranch_execz .LBB12_53
; %bb.48:                               ;   in Loop: Header=BB12_47 Depth=1
	buffer_load_dword v2, off, s[0:3], s33 offset:556 ; 4-byte Folded Reload
	buffer_load_dword v3, off, s[0:3], s33 offset:560 ; 4-byte Folded Reload
	v_mov_b32_e32 v0, s66
	s_waitcnt vmcnt(0)
	v_add_co_u32_e32 v2, vcc, s8, v2
	s_waitcnt vmcnt(0)
	v_addc_co_u32_e32 v3, vcc, v0, v3, vcc
	buffer_load_dword v0, off, s[0:3], s33 offset:128 ; 4-byte Folded Reload
	buffer_load_dword v1, off, s[0:3], s33 offset:132 ; 4-byte Folded Reload
	v_or_b32_e32 v5, s53, v3
	s_waitcnt vmcnt(0)
	v_mov_b32_e32 v4, v0
	v_cmp_ne_u64_e32 vcc, 0, v[4:5]
	buffer_store_dword v0, off, s[0:3], s33 offset:128 ; 4-byte Folded Spill
	s_waitcnt vmcnt(1)
	buffer_store_dword v1, off, s[0:3], s33 offset:132 ; 4-byte Folded Spill
                                        ; implicit-def: $vgpr0_vgpr1
	s_and_saveexec_b64 s[26:27], vcc
	s_xor_b64 s[40:41], exec, s[26:27]
	s_cbranch_execz .LBB12_50
; %bb.49:                               ;   in Loop: Header=BB12_47 Depth=1
	s_add_u32 s26, s52, s76
	s_mov_b32 s77, s76
	s_addc_u32 s27, s53, s76
	s_xor_b64 s[42:43], s[26:27], s[76:77]
	v_cvt_f32_u32_e32 v0, s42
	v_cvt_f32_u32_e32 v1, s43
	s_sub_u32 s9, 0, s42
	s_subb_u32 s44, 0, s43
	v_ashrrev_i32_e32 v4, 31, v3
	v_mac_f32_e32 v0, 0x4f800000, v1
	v_rcp_f32_e32 v0, v0
	v_mul_f32_e32 v0, 0x5f7ffffc, v0
	v_mul_f32_e32 v1, 0x2f800000, v0
	v_trunc_f32_e32 v1, v1
	v_mac_f32_e32 v0, 0xcf800000, v1
	v_cvt_u32_f32_e32 v1, v1
	v_cvt_u32_f32_e32 v0, v0
	v_readfirstlane_b32 s45, v1
	v_readfirstlane_b32 s26, v0
	s_mul_i32 s27, s9, s45
	s_mul_hi_u32 s77, s9, s26
	s_mul_i32 s47, s44, s26
	s_add_i32 s27, s77, s27
	s_add_i32 s27, s27, s47
	s_mul_i32 s78, s9, s26
	s_mul_i32 s77, s26, s27
	s_mul_hi_u32 s79, s26, s78
	s_mul_hi_u32 s47, s26, s27
	s_add_u32 s77, s79, s77
	s_addc_u32 s47, 0, s47
	s_mul_hi_u32 s88, s45, s78
	s_mul_i32 s78, s45, s78
	s_add_u32 s77, s77, s78
	s_mul_hi_u32 s79, s45, s27
	s_addc_u32 s47, s47, s88
	s_addc_u32 s77, s79, 0
	s_mul_i32 s27, s45, s27
	s_add_u32 s27, s47, s27
	s_addc_u32 s47, 0, s77
	s_add_u32 s77, s26, s27
	s_cselect_b64 s[26:27], -1, 0
	s_cmp_lg_u64 s[26:27], 0
	s_addc_u32 s45, s45, s47
	s_mul_i32 s26, s9, s45
	s_mul_hi_u32 s27, s9, s77
	s_add_i32 s26, s27, s26
	s_mul_i32 s44, s44, s77
	s_add_i32 s26, s26, s44
	s_mul_i32 s9, s9, s77
	s_mul_hi_u32 s44, s45, s9
	s_mul_i32 s47, s45, s9
	s_mul_i32 s79, s77, s26
	s_mul_hi_u32 s9, s77, s9
	s_mul_hi_u32 s78, s77, s26
	s_add_u32 s9, s9, s79
	s_addc_u32 s78, 0, s78
	s_add_u32 s9, s9, s47
	s_mul_hi_u32 s27, s45, s26
	s_addc_u32 s9, s78, s44
	s_addc_u32 s27, s27, 0
	s_mul_i32 s26, s45, s26
	s_add_u32 s9, s9, s26
	s_addc_u32 s44, 0, s27
	s_add_u32 s9, s77, s9
	s_cselect_b64 s[26:27], -1, 0
	s_cmp_lg_u64 s[26:27], 0
	v_add_co_u32_e32 v0, vcc, v2, v4
	s_addc_u32 s44, s45, s44
	v_xor_b32_e32 v5, v0, v4
	v_addc_co_u32_e32 v2, vcc, v3, v4, vcc
	v_mad_u64_u32 v[0:1], s[26:27], v5, s44, 0
	v_mul_hi_u32 v3, v5, s9
	v_xor_b32_e32 v6, v2, v4
	v_add_co_u32_e32 v7, vcc, v3, v0
	v_addc_co_u32_e32 v8, vcc, 0, v1, vcc
	v_mad_u64_u32 v[0:1], s[26:27], v6, s9, 0
	v_mad_u64_u32 v[2:3], s[26:27], v6, s44, 0
	v_add_co_u32_e32 v0, vcc, v7, v0
	v_addc_co_u32_e32 v0, vcc, v8, v1, vcc
	v_addc_co_u32_e32 v1, vcc, 0, v3, vcc
	v_add_co_u32_e32 v2, vcc, v0, v2
	v_addc_co_u32_e32 v3, vcc, 0, v1, vcc
	v_mul_lo_u32 v7, s43, v2
	v_mul_lo_u32 v8, s42, v3
	v_mad_u64_u32 v[0:1], s[26:27], s42, v2, 0
	v_add3_u32 v1, v1, v8, v7
	v_sub_u32_e32 v7, v6, v1
	v_mov_b32_e32 v8, s43
	v_sub_co_u32_e32 v0, vcc, v5, v0
	v_subb_co_u32_e64 v5, s[26:27], v7, v8, vcc
	v_subrev_co_u32_e64 v7, s[26:27], s42, v0
	v_subbrev_co_u32_e64 v5, s[26:27], 0, v5, s[26:27]
	v_cmp_le_u32_e64 s[26:27], s43, v5
	v_cndmask_b32_e64 v8, 0, -1, s[26:27]
	v_cmp_le_u32_e64 s[26:27], s42, v7
	v_cndmask_b32_e64 v7, 0, -1, s[26:27]
	v_cmp_eq_u32_e64 s[26:27], s43, v5
	v_cndmask_b32_e64 v5, v8, v7, s[26:27]
	v_add_co_u32_e64 v7, s[26:27], 2, v2
	v_subb_co_u32_e32 v1, vcc, v6, v1, vcc
	v_addc_co_u32_e64 v8, s[26:27], 0, v3, s[26:27]
	v_cmp_le_u32_e32 vcc, s43, v1
	v_add_co_u32_e64 v9, s[26:27], 1, v2
	v_cndmask_b32_e64 v6, 0, -1, vcc
	v_cmp_le_u32_e32 vcc, s42, v0
	v_addc_co_u32_e64 v10, s[26:27], 0, v3, s[26:27]
	v_cndmask_b32_e64 v0, 0, -1, vcc
	v_cmp_eq_u32_e32 vcc, s43, v1
	v_cmp_ne_u32_e64 s[26:27], 0, v5
	v_cndmask_b32_e32 v0, v6, v0, vcc
	v_cndmask_b32_e64 v5, v10, v8, s[26:27]
	v_cmp_ne_u32_e32 vcc, 0, v0
	v_cndmask_b32_e64 v1, v9, v7, s[26:27]
	v_cndmask_b32_e32 v0, v3, v5, vcc
	v_cndmask_b32_e32 v1, v2, v1, vcc
	v_xor_b32_e32 v2, s76, v4
	v_xor_b32_e32 v3, v0, v2
	;; [unrolled: 1-line block ×3, first 2 shown]
	v_sub_co_u32_e32 v0, vcc, v0, v2
	v_subb_co_u32_e32 v1, vcc, v3, v2, vcc
                                        ; implicit-def: $vgpr2
.LBB12_50:                              ;   in Loop: Header=BB12_47 Depth=1
	s_andn2_saveexec_b64 s[40:41], s[40:41]
	s_cbranch_execz .LBB12_52
; %bb.51:                               ;   in Loop: Header=BB12_47 Depth=1
	v_cvt_f32_u32_e32 v0, s52
	s_sub_i32 s9, 0, s52
	v_rcp_iflag_f32_e32 v0, v0
	v_mul_f32_e32 v0, 0x4f7ffffe, v0
	v_cvt_u32_f32_e32 v0, v0
	v_mul_lo_u32 v1, s9, v0
	v_mul_hi_u32 v1, v0, v1
	v_add_u32_e32 v0, v0, v1
	v_mul_hi_u32 v0, v2, v0
	v_mul_lo_u32 v1, v0, s52
	v_sub_u32_e32 v1, v2, v1
	v_cmp_le_u32_e32 vcc, s52, v1
	v_subrev_u32_e32 v2, s52, v1
	v_cndmask_b32_e32 v1, v1, v2, vcc
	v_cmp_le_u32_e64 s[26:27], s52, v1
	v_add_u32_e32 v1, 1, v0
	v_cndmask_b32_e32 v0, v0, v1, vcc
	v_add_u32_e32 v1, 1, v0
	v_cndmask_b32_e64 v0, v0, v1, s[26:27]
	buffer_load_dword v1, off, s[0:3], s33 offset:128 ; 4-byte Folded Reload
	buffer_load_dword v2, off, s[0:3], s33 offset:132 ; 4-byte Folded Reload
.LBB12_52:                              ;   in Loop: Header=BB12_47 Depth=1
	s_or_b64 exec, exec, s[40:41]
	v_add_co_u32_e32 v0, vcc, 7, v0
	s_waitcnt vmcnt(0)
	v_addc_co_u32_e32 v1, vcc, 0, v1, vcc
	v_and_b32_e32 v0, -8, v0
	buffer_store_dword v0, off, s[0:3], s33 offset:564 ; 4-byte Folded Spill
	s_nop 0
	buffer_store_dword v1, off, s[0:3], s33 offset:568 ; 4-byte Folded Spill
.LBB12_53:                              ;   in Loop: Header=BB12_47 Depth=1
	s_or_b64 exec, exec, s[28:29]
	buffer_load_dword v4, off, s[0:3], s33 offset:564 ; 4-byte Folded Reload
	buffer_load_dword v5, off, s[0:3], s33 offset:568 ; 4-byte Folded Reload
	v_mov_b32_e32 v54, 0
	s_waitcnt vmcnt(0)
	v_mul_lo_u32 v3, v4, s69
	s_waitcnt vmcnt(0)
	v_mul_lo_u32 v2, v5, s68
	v_mad_u64_u32 v[0:1], s[26:27], v4, s68, 0
	v_add3_u32 v1, v1, v3, v2
	buffer_load_dword v2, off, s[0:3], s33 offset:624 ; 4-byte Folded Reload
	buffer_load_dword v3, off, s[0:3], s33 offset:628 ; 4-byte Folded Reload
	;; [unrolled: 1-line block ×4, first 2 shown]
	s_waitcnt vmcnt(0)
	v_add_co_u32_e32 v2, vcc, v6, v2
	s_waitcnt vmcnt(0)
	v_addc_co_u32_e32 v3, vcc, v7, v3, vcc
	buffer_store_dword v2, off, s[0:3], s33 offset:472 ; 4-byte Folded Spill
	s_nop 0
	buffer_store_dword v3, off, s[0:3], s33 offset:476 ; 4-byte Folded Spill
	buffer_load_dword v2, off, s[0:3], s33 offset:556 ; 4-byte Folded Reload
	s_nop 0
	buffer_load_dword v3, off, s[0:3], s33 offset:560 ; 4-byte Folded Reload
	s_waitcnt vmcnt(0)
	v_sub_co_u32_e32 v2, vcc, v2, v0
	s_waitcnt vmcnt(0)
	v_subb_co_u32_e32 v3, vcc, v3, v1, vcc
	v_cmp_lt_i64_e32 vcc, v[4:5], v[2:3]
	v_cndmask_b32_e32 v3, v2, v4, vcc
	v_max_i32_e32 v51, 0, v3
	v_add_u32_e32 v4, 31, v51
	v_lshrrev_b32_e32 v4, 1, v4
	v_and_b32_e32 v4, 0x3ffffff0, v4
	v_cmp_lt_i32_e32 vcc, 0, v3
	v_mov_b32_e32 v2, 0
	v_max_i32_e32 v52, s70, v4
	s_and_b64 s[26:27], s[74:75], vcc
	s_and_saveexec_b64 s[28:29], s[26:27]
	s_cbranch_execz .LBB12_224
; %bb.54:                               ;   in Loop: Header=BB12_47 Depth=1
	s_mov_b32 s9, 1
	s_mov_b64 s[42:43], -1
	v_mov_b32_e32 v54, 0
	v_lshlrev_b64 v[42:43], 1, v[0:1]
	s_mov_b64 s[40:41], 0
	buffer_store_dword v51, off, s[0:3], s33 offset:352 ; 4-byte Folded Spill
	buffer_store_dword v42, off, s[0:3], s33 offset:360 ; 4-byte Folded Spill
	s_nop 0
	buffer_store_dword v43, off, s[0:3], s33 offset:364 ; 4-byte Folded Spill
	s_branch .LBB12_57
.LBB12_55:                              ;   in Loop: Header=BB12_57 Depth=2
	s_or_b64 exec, exec, s[44:45]
	buffer_load_dword v2, off, s[0:3], s33 offset:256 ; 4-byte Folded Reload
	buffer_load_dword v3, off, s[0:3], s33 offset:260 ; 4-byte Folded Reload
	;; [unrolled: 1-line block ×4, first 2 shown]
	s_waitcnt vmcnt(0)
	v_add_co_u32_e32 v2, vcc, 2, v2
	v_addc_co_u32_e32 v3, vcc, 0, v3, vcc
	buffer_store_dword v2, off, s[0:3], s33 offset:256 ; 4-byte Folded Spill
	s_nop 0
	buffer_store_dword v3, off, s[0:3], s33 offset:260 ; 4-byte Folded Spill
	flat_store_dwordx2 v[0:1], v[2:3]
.LBB12_56:                              ;   in Loop: Header=BB12_57 Depth=2
	s_or_b64 exec, exec, s[26:27]
	v_add_u32_e32 v54, v52, v54
	v_cmp_ge_i32_e32 vcc, v54, v51
	s_xor_b64 s[26:27], s[42:43], -1
	s_or_b64 s[26:27], s[26:27], vcc
	s_and_b64 s[26:27], exec, s[26:27]
	s_or_b64 s[40:41], s[26:27], s[40:41]
	s_mov_b64 s[42:43], 0
	v_mov_b32_e32 v2, s9
	s_mov_b32 s9, 2
	s_andn2_b64 exec, exec, s[40:41]
	s_cbranch_execz .LBB12_223
.LBB12_57:                              ;   Parent Loop BB12_47 Depth=1
                                        ; =>  This Loop Header: Depth=2
                                        ;       Child Loop BB12_65 Depth 3
                                        ;       Child Loop BB12_89 Depth 3
	;; [unrolled: 1-line block ×9, first 2 shown]
	s_and_saveexec_b64 s[26:27], s[4:5]
	s_cbranch_execz .LBB12_59
; %bb.58:                               ;   in Loop: Header=BB12_57 Depth=2
	s_trap 2
	ds_read_b64 v[0:1], v0
	buffer_load_dword v2, off, s[0:3], s33 offset:472 ; 4-byte Folded Reload
	buffer_load_dword v3, off, s[0:3], s33 offset:476 ; 4-byte Folded Reload
	v_ashrrev_i32_e32 v55, 31, v54
	s_waitcnt vmcnt(0)
	v_lshlrev_b64 v[2:3], 1, v[2:3]
	s_waitcnt lgkmcnt(0)
	v_add_co_u32_e32 v0, vcc, v0, v2
	v_addc_co_u32_e32 v1, vcc, v1, v3, vcc
	v_add_co_u32_e32 v2, vcc, v0, v42
	v_addc_co_u32_e32 v3, vcc, v1, v43, vcc
	v_lshlrev_b64 v[0:1], 1, v[54:55]
	v_add_co_u32_e32 v0, vcc, v2, v0
	v_addc_co_u32_e32 v1, vcc, v3, v1, vcc
	ds_write_b64 v0, v[0:1]
	buffer_load_dword v0, off, s[0:3], s33 offset:128 ; 4-byte Folded Reload
	buffer_load_dword v1, off, s[0:3], s33 offset:132 ; 4-byte Folded Reload
	s_waitcnt vmcnt(0)
	v_mov_b32_e32 v1, v0
	v_mov_b32_e32 v2, v0
	buffer_store_dword v0, off, s[0:3], s33 offset:128 ; 4-byte Folded Spill
	s_nop 0
	buffer_store_dword v1, off, s[0:3], s33 offset:132 ; 4-byte Folded Spill
	ds_write_b64 v0, v[1:2]
.LBB12_59:                              ;   in Loop: Header=BB12_57 Depth=2
	s_or_b64 exec, exec, s[26:27]
	v_sub_u32_e32 v0, v51, v54
	v_min_i32_e32 v52, v52, v0
	buffer_load_dword v0, off, s[0:3], s33 offset:156 ; 4-byte Folded Reload
	s_waitcnt vmcnt(0)
	v_and_b32_e32 v0, 8, v0
	v_cmp_ne_u32_e32 vcc, 0, v0
	s_and_saveexec_b64 s[44:45], vcc
	s_cbranch_execz .LBB12_81
; %bb.60:                               ;   in Loop: Header=BB12_57 Depth=2
	buffer_load_dword v0, off, s[0:3], s33 offset:136 ; 4-byte Folded Reload
	buffer_load_dword v1, off, s[0:3], s33 offset:140 ; 4-byte Folded Reload
	;; [unrolled: 1-line block ×4, first 2 shown]
	s_waitcnt vmcnt(0)
	v_add_co_u32_e32 v0, vcc, 8, v0
	s_waitcnt vmcnt(2)
	v_addc_co_u32_e32 v1, vcc, 0, v1, vcc
	s_waitcnt vmcnt(1)
	v_add_co_u32_e32 v2, vcc, 2, v2
	s_waitcnt vmcnt(0)
	v_addc_co_u32_e32 v3, vcc, 0, v3, vcc
	v_cmp_lt_u64_e32 vcc, v[0:1], v[2:3]
	s_and_saveexec_b64 s[78:79], vcc
	s_cbranch_execz .LBB12_72
; %bb.61:                               ;   in Loop: Header=BB12_57 Depth=2
	buffer_load_dword v0, off, s[0:3], s33 offset:156 ; 4-byte Folded Reload
	s_mov_b32 s47, 0
	s_mov_b64 s[88:89], 0
                                        ; implicit-def: $sgpr90_sgpr91
                                        ; implicit-def: $sgpr92_sgpr93
                                        ; implicit-def: $sgpr94_sgpr95
	s_waitcnt vmcnt(0)
	v_and_b32_e32 v0, 64, v0
	v_cmp_eq_u32_e32 vcc, 0, v0
	s_branch .LBB12_65
.LBB12_62:                              ;   in Loop: Header=BB12_65 Depth=3
	buffer_load_dword v4, off, s[0:3], s33 offset:136 ; 4-byte Folded Reload
	buffer_load_dword v5, off, s[0:3], s33 offset:140 ; 4-byte Folded Reload
	s_or_b64 s[36:37], s[36:37], exec
	s_waitcnt vmcnt(1)
	v_add_co_u32_e64 v4, s[26:27], 8, v4
	s_waitcnt vmcnt(0)
	v_addc_co_u32_e64 v5, s[26:27], 0, v5, s[26:27]
	v_cmp_ge_u64_e64 s[26:27], v[4:5], v[2:3]
	s_orn2_b64 s[34:35], s[26:27], exec
.LBB12_63:                              ;   in Loop: Header=BB12_65 Depth=3
	s_or_b64 exec, exec, s[48:49]
	s_andn2_b64 s[26:27], s[94:95], exec
	s_and_b64 s[94:95], s[36:37], exec
	s_or_b64 s[94:95], s[26:27], s[94:95]
	s_andn2_b64 s[26:27], s[92:93], exec
	s_and_b64 s[92:93], s[34:35], exec
	s_or_b64 s[92:93], s[26:27], s[92:93]
.LBB12_64:                              ;   in Loop: Header=BB12_65 Depth=3
	s_or_b64 exec, exec, s[30:31]
	s_and_b64 s[26:27], exec, s[92:93]
	s_or_b64 s[88:89], s[26:27], s[88:89]
	s_andn2_b64 s[26:27], s[90:91], exec
	s_and_b64 s[90:91], s[94:95], exec
	s_or_b64 s[90:91], s[26:27], s[90:91]
	s_andn2_b64 exec, exec, s[88:89]
	s_cbranch_execz .LBB12_69
.LBB12_65:                              ;   Parent Loop BB12_47 Depth=1
                                        ;     Parent Loop BB12_57 Depth=2
                                        ; =>    This Inner Loop Header: Depth=3
	s_sleep 1
	buffer_load_dword v0, off, s[0:3], s33 offset:144 ; 4-byte Folded Reload
	buffer_load_dword v1, off, s[0:3], s33 offset:148 ; 4-byte Folded Reload
	s_or_b64 s[94:95], s[94:95], exec
	s_or_b64 s[92:93], s[92:93], exec
	s_waitcnt vmcnt(0)
	flat_load_dwordx2 v[0:1], v[0:1] glc
	s_waitcnt vmcnt(0) lgkmcnt(0)
	buffer_store_dword v0, off, s[0:3], s33 offset:136 ; 4-byte Folded Spill
	s_nop 0
	buffer_store_dword v1, off, s[0:3], s33 offset:140 ; 4-byte Folded Spill
                                        ; implicit-def: $vgpr0
	s_and_saveexec_b64 s[30:31], vcc
	s_cbranch_execz .LBB12_64
; %bb.66:                               ;   in Loop: Header=BB12_65 Depth=3
	s_cmpk_lt_i32 s47, 0x270f
	s_cselect_b64 s[38:39], -1, 0
	s_cmpk_gt_i32 s47, 0x270e
	s_mov_b64 s[34:35], -1
	s_cbranch_scc0 .LBB12_68
; %bb.67:                               ;   in Loop: Header=BB12_65 Depth=3
	s_trap 2
	ds_read_b64 v[0:1], v0
	s_andn2_b64 s[38:39], s[38:39], exec
	s_mov_b32 s47, 0
	s_mov_b64 s[36:37], 0
	s_waitcnt vmcnt(0) lgkmcnt(0)
	flat_load_dword v0, v[0:1] glc
	s_waitcnt vmcnt(0) lgkmcnt(0)
	buffer_wbinvl1_vol
	v_cmp_eq_u32_e64 s[26:27], 0, v0
	s_and_b64 s[26:27], s[26:27], exec
	s_or_b64 s[38:39], s[38:39], s[26:27]
	s_and_saveexec_b64 s[48:49], s[38:39]
	s_cbranch_execz .LBB12_63
	s_branch .LBB12_62
.LBB12_68:                              ;   in Loop: Header=BB12_65 Depth=3
	s_add_i32 s47, s47, 1
	s_mov_b64 s[36:37], -1
                                        ; implicit-def: $vgpr0
	s_and_saveexec_b64 s[48:49], s[38:39]
	s_cbranch_execz .LBB12_63
	s_branch .LBB12_62
.LBB12_69:                              ;   in Loop: Header=BB12_57 Depth=2
	s_or_b64 exec, exec, s[88:89]
	s_xor_b64 s[26:27], s[90:91], -1
	s_and_saveexec_b64 s[88:89], s[26:27]
	s_xor_b64 s[26:27], exec, s[88:89]
	s_cbranch_execz .LBB12_71
; %bb.70:                               ;   in Loop: Header=BB12_57 Depth=2
	ds_write_b32 v0, v0
	s_trap 2
	buffer_load_dword v0, off, s[0:3], s33 offset:156 ; 4-byte Folded Reload
	s_waitcnt vmcnt(0)
	v_or_b32_e32 v0, 64, v0
	buffer_store_dword v0, off, s[0:3], s33 offset:156 ; 4-byte Folded Spill
.LBB12_71:                              ;   in Loop: Header=BB12_57 Depth=2
	s_or_b64 exec, exec, s[26:27]
.LBB12_72:                              ;   in Loop: Header=BB12_57 Depth=2
	s_or_b64 exec, exec, s[78:79]
	;;#ASMSTART
	s_wakeup
	;;#ASMEND
	buffer_load_dword v0, off, s[0:3], s33 offset:156 ; 4-byte Folded Reload
	s_mov_b64 s[26:27], -1
	s_waitcnt vmcnt(0)
	v_and_b32_e32 v0, 0x100, v0
	v_cmp_ne_u32_e32 vcc, 0, v0
	buffer_load_dword v0, off, s[0:3], s33 offset:256 ; 4-byte Folded Reload
	buffer_load_dword v1, off, s[0:3], s33 offset:260 ; 4-byte Folded Reload
	s_waitcnt vmcnt(0)
	v_and_b32_e32 v6, 7, v0
                                        ; implicit-def: $vgpr0_vgpr1
	s_and_saveexec_b64 s[78:79], vcc
	s_cbranch_execz .LBB12_76
; %bb.73:                               ;   in Loop: Header=BB12_57 Depth=2
	buffer_load_dword v7, off, s[0:3], s33 offset:412 ; 4-byte Folded Reload
	buffer_load_dword v8, off, s[0:3], s33 offset:416 ; 4-byte Folded Reload
	;; [unrolled: 1-line block ×4, first 2 shown]
	v_ashrrev_i32_e32 v53, 31, v52
	s_waitcnt vmcnt(0)
	v_lshlrev_b64 v[0:1], 1, v[52:53]
	s_waitcnt vmcnt(2)
	v_mad_u64_u32 v[4:5], s[26:27], v6, 24, v[7:8]
	flat_store_dwordx2 v[4:5], v[0:1] offset:8
	flat_load_dword v0, v[4:5]
	s_waitcnt vmcnt(0) lgkmcnt(0)
	v_cmp_ne_u32_e32 vcc, 1, v0
	v_cmp_eq_u32_e64 s[26:27], 1, v0
                                        ; implicit-def: $vgpr0_vgpr1
	s_and_saveexec_b64 s[88:89], s[26:27]
	s_cbranch_execz .LBB12_75
; %bb.74:                               ;   in Loop: Header=BB12_57 Depth=2
	flat_load_dword v0, v[4:5] offset:4 glc
	s_waitcnt vmcnt(0) lgkmcnt(0)
	v_ashrrev_i32_e32 v1, 31, v0
	v_lshrrev_b64 v[0:1], 1, v[0:1]
.LBB12_75:                              ;   in Loop: Header=BB12_57 Depth=2
	s_or_b64 exec, exec, s[88:89]
	s_orn2_b64 s[26:27], vcc, exec
.LBB12_76:                              ;   in Loop: Header=BB12_57 Depth=2
	s_or_b64 exec, exec, s[78:79]
	s_and_saveexec_b64 s[78:79], s[26:27]
	s_cbranch_execz .LBB12_78
; %bb.77:                               ;   in Loop: Header=BB12_57 Depth=2
	buffer_load_dword v0, off, s[0:3], s33 offset:436 ; 4-byte Folded Reload
	s_waitcnt vmcnt(0)
	v_mad_i64_i32 v[0:1], s[26:27], v6, v0, 0
.LBB12_78:                              ;   in Loop: Header=BB12_57 Depth=2
	s_or_b64 exec, exec, s[78:79]
	buffer_load_dword v4, off, s[0:3], s33 offset:404 ; 4-byte Folded Reload
	buffer_load_dword v5, off, s[0:3], s33 offset:408 ; 4-byte Folded Reload
	s_waitcnt vmcnt(0)
	v_lshlrev_b64 v[0:1], 1, v[0:1]
	s_waitcnt vmcnt(1)
	v_add_co_u32_e32 v0, vcc, v4, v0
	s_waitcnt vmcnt(0)
	v_addc_co_u32_e32 v1, vcc, v5, v1, vcc
	ds_write_b64 v0, v[0:1] offset:784
	buffer_load_dword v0, off, s[0:3], s33 offset:156 ; 4-byte Folded Reload
	s_waitcnt vmcnt(0)
	v_and_b32_e32 v0, 0x2000, v0
	v_cmp_ne_u32_e32 vcc, 0, v0
	s_and_saveexec_b64 s[26:27], vcc
	s_cbranch_execz .LBB12_80
; %bb.79:                               ;   in Loop: Header=BB12_57 Depth=2
	ds_read_b64 v[0:1], v0 offset:872
	s_waitcnt lgkmcnt(0)
	v_add_co_u32_e32 v0, vcc, 1, v0
	v_addc_co_u32_e32 v1, vcc, 0, v1, vcc
	ds_write_b64 v0, v[0:1] offset:872
.LBB12_80:                              ;   in Loop: Header=BB12_57 Depth=2
	s_or_b64 exec, exec, s[26:27]
	buffer_store_dword v2, off, s[0:3], s33 offset:256 ; 4-byte Folded Spill
	s_nop 0
	buffer_store_dword v3, off, s[0:3], s33 offset:260 ; 4-byte Folded Spill
.LBB12_81:                              ;   in Loop: Header=BB12_57 Depth=2
	s_or_b64 exec, exec, s[44:45]
	s_and_saveexec_b64 s[26:27], s[10:11]
	s_cbranch_execz .LBB12_100
; %bb.82:                               ;   in Loop: Header=BB12_57 Depth=2
	s_and_saveexec_b64 s[44:45], s[58:59]
	s_xor_b64 s[44:45], exec, s[44:45]
	s_cbranch_execz .LBB12_97
; %bb.83:                               ;   in Loop: Header=BB12_57 Depth=2
	s_and_saveexec_b64 s[78:79], s[16:17]
	s_cbranch_execz .LBB12_96
; %bb.84:                               ;   in Loop: Header=BB12_57 Depth=2
	s_mov_b64 s[90:91], exec
	v_mbcnt_lo_u32_b32 v0, s90, 0
	v_mbcnt_hi_u32_b32 v0, s91, v0
	v_cmp_eq_u32_e32 vcc, 0, v0
	s_waitcnt vmcnt(0) lgkmcnt(0)
	buffer_wbinvl1_vol
	s_and_saveexec_b64 s[88:89], vcc
	s_cbranch_execz .LBB12_86
; %bb.85:                               ;   in Loop: Header=BB12_57 Depth=2
	buffer_load_dword v1, off, s[0:3], s33 offset:128 ; 4-byte Folded Reload
	buffer_load_dword v2, off, s[0:3], s33 offset:132 ; 4-byte Folded Reload
	s_bcnt1_i32_b64 s47, s[90:91]
	v_mov_b32_e32 v0, s47
	s_waitcnt vmcnt(1)
	ds_add_u64 v0, v[0:1]
	s_trap 2
.LBB12_86:                              ;   in Loop: Header=BB12_57 Depth=2
	s_or_b64 exec, exec, s[88:89]
	s_trap 2
	ds_read_b64 v[0:1], v0
	s_waitcnt lgkmcnt(0)
	buffer_load_dword v2, off, s[0:3], s33 offset:152 ; 4-byte Folded Reload
	buffer_load_dword v3, off, s[0:3], s33 offset:160 ; 4-byte Folded Reload
	buffer_load_dword v4, off, s[0:3], s33 offset:164 ; 4-byte Folded Reload
	s_waitcnt vmcnt(1)
	v_add_co_u32_e32 v3, vcc, v3, v2
	s_waitcnt vmcnt(0)
	v_addc_co_u32_e32 v4, vcc, 0, v4, vcc
	buffer_store_dword v3, off, s[0:3], s33 offset:160 ; 4-byte Folded Spill
	s_nop 0
	buffer_store_dword v4, off, s[0:3], s33 offset:164 ; 4-byte Folded Spill
	v_cmp_lt_u64_e32 vcc, v[0:1], v[3:4]
	s_and_saveexec_b64 s[88:89], vcc
	s_cbranch_execz .LBB12_95
; %bb.87:                               ;   in Loop: Header=BB12_57 Depth=2
	s_mov_b32 s47, 0
	s_mov_b64 s[90:91], 0
                                        ; implicit-def: $sgpr92_sgpr93
                                        ; implicit-def: $sgpr94_sgpr95
	s_branch .LBB12_89
.LBB12_88:                              ;   in Loop: Header=BB12_89 Depth=3
	s_or_b64 exec, exec, s[34:35]
	s_and_b64 vcc, exec, vcc
	s_or_b64 s[90:91], vcc, s[90:91]
	s_andn2_b64 s[92:93], s[92:93], exec
	s_and_b64 vcc, s[94:95], exec
	s_or_b64 s[92:93], s[92:93], vcc
	s_andn2_b64 exec, exec, s[90:91]
	s_cbranch_execz .LBB12_93
.LBB12_89:                              ;   Parent Loop BB12_47 Depth=1
                                        ;     Parent Loop BB12_57 Depth=2
                                        ; =>    This Inner Loop Header: Depth=3
	s_add_i32 s47, s47, 1
	s_cmpk_lg_i32 s47, 0x2710
	s_cselect_b64 s[30:31], -1, 0
	s_and_b64 vcc, exec, s[30:31]
	s_cbranch_vccz .LBB12_91
; %bb.90:                               ;   in Loop: Header=BB12_89 Depth=3
	s_mov_b64 vcc, -1
	s_or_b64 s[94:95], s[94:95], exec
	s_and_saveexec_b64 s[34:35], s[30:31]
	s_cbranch_execz .LBB12_88
	s_branch .LBB12_92
.LBB12_91:                              ;   in Loop: Header=BB12_89 Depth=3
	s_trap 2
	ds_read_b64 v[0:1], v0
	s_andn2_b64 s[30:31], s[30:31], exec
	s_mov_b32 s47, 0
	s_waitcnt vmcnt(0) lgkmcnt(0)
	flat_load_dword v0, v[0:1] glc
	s_waitcnt vmcnt(0) lgkmcnt(0)
	buffer_wbinvl1_vol
	v_cmp_eq_u32_e32 vcc, 0, v0
	s_and_b64 vcc, vcc, exec
	s_or_b64 s[30:31], s[30:31], vcc
	s_mov_b64 vcc, -1
	s_or_b64 s[94:95], s[94:95], exec
	s_and_saveexec_b64 s[34:35], s[30:31]
	s_cbranch_execz .LBB12_88
.LBB12_92:                              ;   in Loop: Header=BB12_89 Depth=3
	s_sleep 1
	s_trap 2
	ds_read_b64 v[0:1], v0
	s_waitcnt lgkmcnt(0)
	buffer_load_dword v2, off, s[0:3], s33 offset:160 ; 4-byte Folded Reload
	buffer_load_dword v3, off, s[0:3], s33 offset:164 ; 4-byte Folded Reload
	s_andn2_b64 s[94:95], s[94:95], exec
	s_waitcnt vmcnt(0)
	v_cmp_ge_u64_e32 vcc, v[0:1], v[2:3]
	s_orn2_b64 vcc, vcc, exec
	s_branch .LBB12_88
.LBB12_93:                              ;   in Loop: Header=BB12_57 Depth=2
	s_or_b64 exec, exec, s[90:91]
	s_and_saveexec_b64 s[90:91], s[92:93]
	s_xor_b64 s[90:91], exec, s[90:91]
	s_cbranch_execz .LBB12_95
; %bb.94:                               ;   in Loop: Header=BB12_57 Depth=2
	v_mov_b32_e32 v0, 1
	ds_write_b32 v0, v0
	s_trap 2
.LBB12_95:                              ;   in Loop: Header=BB12_57 Depth=2
	s_or_b64 exec, exec, s[88:89]
	;;#ASMSTART
	s_wakeup
	;;#ASMEND
.LBB12_96:                              ;   in Loop: Header=BB12_57 Depth=2
	s_or_b64 exec, exec, s[78:79]
.LBB12_97:                              ;   in Loop: Header=BB12_57 Depth=2
	s_andn2_saveexec_b64 s[44:45], s[44:45]
	s_cbranch_execz .LBB12_99
; %bb.98:                               ;   in Loop: Header=BB12_57 Depth=2
	s_waitcnt vmcnt(0) lgkmcnt(0)
	buffer_wbinvl1_vol
	s_barrier
.LBB12_99:                              ;   in Loop: Header=BB12_57 Depth=2
	s_or_b64 exec, exec, s[44:45]
.LBB12_100:                             ;   in Loop: Header=BB12_57 Depth=2
	s_or_b64 exec, exec, s[26:27]
	s_trap 2
	buffer_load_dword v1, off, s[0:3], s33 offset:156 ; 4-byte Folded Reload
	ds_read_b32 v0, v0
	s_xor_b64 s[26:27], s[6:7], -1
	s_waitcnt vmcnt(0)
	v_and_b32_e32 v1, 0x4000, v1
	v_cmp_ne_u32_e32 vcc, 0, v1
	s_and_b64 s[44:45], s[26:27], vcc
	s_and_saveexec_b64 s[26:27], s[44:45]
	s_cbranch_execz .LBB12_119
; %bb.101:                              ;   in Loop: Header=BB12_57 Depth=2
	s_and_saveexec_b64 s[44:45], s[58:59]
	s_xor_b64 s[44:45], exec, s[44:45]
	s_cbranch_execz .LBB12_116
; %bb.102:                              ;   in Loop: Header=BB12_57 Depth=2
	s_and_saveexec_b64 s[78:79], s[16:17]
	s_cbranch_execz .LBB12_115
; %bb.103:                              ;   in Loop: Header=BB12_57 Depth=2
	s_mov_b64 s[90:91], exec
	v_mbcnt_lo_u32_b32 v1, s90, 0
	v_mbcnt_hi_u32_b32 v1, s91, v1
	v_cmp_eq_u32_e32 vcc, 0, v1
	s_waitcnt lgkmcnt(0)
	buffer_wbinvl1_vol
	s_and_saveexec_b64 s[88:89], vcc
	s_cbranch_execz .LBB12_105
; %bb.104:                              ;   in Loop: Header=BB12_57 Depth=2
	buffer_load_dword v2, off, s[0:3], s33 offset:128 ; 4-byte Folded Reload
	buffer_load_dword v3, off, s[0:3], s33 offset:132 ; 4-byte Folded Reload
	s_bcnt1_i32_b64 s47, s[90:91]
	v_mov_b32_e32 v1, s47
	s_waitcnt vmcnt(1)
	ds_add_u64 v0, v[1:2]
	s_trap 2
.LBB12_105:                             ;   in Loop: Header=BB12_57 Depth=2
	s_or_b64 exec, exec, s[88:89]
	s_trap 2
	ds_read_b64 v[1:2], v0
	s_waitcnt lgkmcnt(0)
	buffer_load_dword v3, off, s[0:3], s33 offset:152 ; 4-byte Folded Reload
	buffer_load_dword v4, off, s[0:3], s33 offset:160 ; 4-byte Folded Reload
	;; [unrolled: 1-line block ×3, first 2 shown]
	s_waitcnt vmcnt(1)
	v_add_co_u32_e32 v4, vcc, v4, v3
	s_waitcnt vmcnt(0)
	v_addc_co_u32_e32 v5, vcc, 0, v5, vcc
	buffer_store_dword v4, off, s[0:3], s33 offset:160 ; 4-byte Folded Spill
	s_nop 0
	buffer_store_dword v5, off, s[0:3], s33 offset:164 ; 4-byte Folded Spill
	v_cmp_lt_u64_e32 vcc, v[1:2], v[4:5]
	s_and_saveexec_b64 s[88:89], vcc
	s_cbranch_execz .LBB12_114
; %bb.106:                              ;   in Loop: Header=BB12_57 Depth=2
	s_mov_b32 s47, 0
	s_mov_b64 s[90:91], 0
                                        ; implicit-def: $sgpr92_sgpr93
                                        ; implicit-def: $sgpr94_sgpr95
	s_branch .LBB12_108
.LBB12_107:                             ;   in Loop: Header=BB12_108 Depth=3
	s_or_b64 exec, exec, s[34:35]
	s_and_b64 vcc, exec, vcc
	s_or_b64 s[90:91], vcc, s[90:91]
	s_andn2_b64 s[92:93], s[92:93], exec
	s_and_b64 vcc, s[94:95], exec
	s_or_b64 s[92:93], s[92:93], vcc
	s_andn2_b64 exec, exec, s[90:91]
	s_cbranch_execz .LBB12_112
.LBB12_108:                             ;   Parent Loop BB12_47 Depth=1
                                        ;     Parent Loop BB12_57 Depth=2
                                        ; =>    This Inner Loop Header: Depth=3
	s_add_i32 s47, s47, 1
	s_cmpk_lg_i32 s47, 0x2710
	s_cselect_b64 s[30:31], -1, 0
	s_and_b64 vcc, exec, s[30:31]
	s_cbranch_vccz .LBB12_110
; %bb.109:                              ;   in Loop: Header=BB12_108 Depth=3
	s_mov_b64 vcc, -1
	s_or_b64 s[94:95], s[94:95], exec
	s_and_saveexec_b64 s[34:35], s[30:31]
	s_cbranch_execz .LBB12_107
	s_branch .LBB12_111
.LBB12_110:                             ;   in Loop: Header=BB12_108 Depth=3
	s_trap 2
	ds_read_b64 v[1:2], v0
	s_andn2_b64 s[30:31], s[30:31], exec
	s_mov_b32 s47, 0
	s_waitcnt vmcnt(0) lgkmcnt(0)
	flat_load_dword v1, v[1:2] glc
	s_waitcnt vmcnt(0) lgkmcnt(0)
	buffer_wbinvl1_vol
	v_cmp_eq_u32_e32 vcc, 0, v1
	s_and_b64 vcc, vcc, exec
	s_or_b64 s[30:31], s[30:31], vcc
	s_mov_b64 vcc, -1
	s_or_b64 s[94:95], s[94:95], exec
	s_and_saveexec_b64 s[34:35], s[30:31]
	s_cbranch_execz .LBB12_107
.LBB12_111:                             ;   in Loop: Header=BB12_108 Depth=3
	s_sleep 1
	s_trap 2
	ds_read_b64 v[1:2], v0
	s_waitcnt lgkmcnt(0)
	buffer_load_dword v3, off, s[0:3], s33 offset:160 ; 4-byte Folded Reload
	buffer_load_dword v4, off, s[0:3], s33 offset:164 ; 4-byte Folded Reload
	s_andn2_b64 s[94:95], s[94:95], exec
	s_waitcnt vmcnt(0)
	v_cmp_ge_u64_e32 vcc, v[1:2], v[3:4]
	s_orn2_b64 vcc, vcc, exec
	s_branch .LBB12_107
.LBB12_112:                             ;   in Loop: Header=BB12_57 Depth=2
	s_or_b64 exec, exec, s[90:91]
	s_and_saveexec_b64 s[90:91], s[92:93]
	s_xor_b64 s[90:91], exec, s[90:91]
	s_cbranch_execz .LBB12_114
; %bb.113:                              ;   in Loop: Header=BB12_57 Depth=2
	v_mov_b32_e32 v1, 1
	ds_write_b32 v0, v1
	s_trap 2
.LBB12_114:                             ;   in Loop: Header=BB12_57 Depth=2
	s_or_b64 exec, exec, s[88:89]
	;;#ASMSTART
	s_wakeup
	;;#ASMEND
.LBB12_115:                             ;   in Loop: Header=BB12_57 Depth=2
	s_or_b64 exec, exec, s[78:79]
.LBB12_116:                             ;   in Loop: Header=BB12_57 Depth=2
	s_andn2_saveexec_b64 s[44:45], s[44:45]
	s_cbranch_execz .LBB12_118
; %bb.117:                              ;   in Loop: Header=BB12_57 Depth=2
	s_waitcnt vmcnt(0) lgkmcnt(0)
	buffer_wbinvl1_vol
	s_barrier
.LBB12_118:                             ;   in Loop: Header=BB12_57 Depth=2
	s_or_b64 exec, exec, s[44:45]
.LBB12_119:                             ;   in Loop: Header=BB12_57 Depth=2
	s_or_b64 exec, exec, s[26:27]
	s_trap 2
	s_waitcnt lgkmcnt(0)
	ds_read_b64 v[55:56], v0
	s_waitcnt lgkmcnt(0)
	v_cmp_eq_u64_e32 vcc, 0, v[55:56]
	s_cbranch_vccnz .LBB12_127
; %bb.120:                              ;   in Loop: Header=BB12_57 Depth=2
	s_trap 2
	ds_read_b64 v[57:58], v0
	s_waitcnt lgkmcnt(0)
	v_cmp_eq_u64_e32 vcc, 0, v[57:58]
	s_cbranch_vccnz .LBB12_127
; %bb.121:                              ;   in Loop: Header=BB12_57 Depth=2
	s_mov_b64 s[44:45], -1
	s_and_saveexec_b64 s[26:27], s[18:19]
	s_cbranch_execz .LBB12_123
; %bb.122:                              ;   in Loop: Header=BB12_57 Depth=2
	ds_read_b32 v1, v0 offset:720
	s_waitcnt lgkmcnt(0)
	v_and_b32_e32 v1, 15, v1
	v_cmp_eq_u32_e32 vcc, 0, v1
	s_orn2_b64 s[44:45], vcc, exec
.LBB12_123:                             ;   in Loop: Header=BB12_57 Depth=2
	s_or_b64 exec, exec, s[26:27]
	s_and_saveexec_b64 s[26:27], s[20:21]
	s_cbranch_execz .LBB12_125
; %bb.124:                              ;   in Loop: Header=BB12_57 Depth=2
	ds_read_b32 v1, v0 offset:784
	s_waitcnt lgkmcnt(0)
	v_and_b32_e32 v1, 15, v1
	v_cmp_eq_u32_e32 vcc, 0, v1
	s_and_b64 s[78:79], s[44:45], vcc
	s_andn2_b64 s[44:45], s[44:45], exec
	s_and_b64 s[78:79], s[78:79], exec
	s_or_b64 s[44:45], s[44:45], s[78:79]
.LBB12_125:                             ;   in Loop: Header=BB12_57 Depth=2
	s_or_b64 exec, exec, s[26:27]
	s_xor_b64 s[44:45], s[44:45], -1
	v_cmp_eq_u32_e64 s[26:27], 0, v0
	v_cndmask_b32_e64 v0, 0, 1, s[44:45]
	s_mov_b64 s[78:79], -1
	v_cmp_ne_u32_e32 vcc, 0, v0
	s_cbranch_vccz .LBB12_128
; %bb.126:                              ;   in Loop: Header=BB12_57 Depth=2
	s_mov_b64 s[78:79], 0
	s_mov_b64 s[44:45], -1
	s_branch .LBB12_129
.LBB12_127:                             ;   in Loop: Header=BB12_57 Depth=2
	s_mov_b64 s[26:27], 0
	s_and_saveexec_b64 s[44:45], s[10:11]
	s_cbranch_execnz .LBB12_179
	s_branch .LBB12_197
.LBB12_128:                             ;   in Loop: Header=BB12_57 Depth=2
	s_mov_b64 s[44:45], 0
.LBB12_129:                             ;   in Loop: Header=BB12_57 Depth=2
	v_cndmask_b32_e64 v53, 0, v52, s[26:27]
	v_lshlrev_b32_e32 v40, 1, v53
	s_andn2_b64 vcc, exec, s[78:79]
	v_mov_b32_e32 v0, 0
	s_cbranch_vccnz .LBB12_137
; %bb.130:                              ;   in Loop: Header=BB12_57 Depth=2
	v_ashrrev_i32_e32 v0, 31, v40
	v_lshrrev_b32_e32 v0, 19, v0
	buffer_store_dword v55, off, s[0:3], s33 offset:216 ; 4-byte Folded Spill
	s_nop 0
	buffer_store_dword v56, off, s[0:3], s33 offset:220 ; 4-byte Folded Spill
	buffer_store_dword v53, off, s[0:3], s33 offset:292 ; 4-byte Folded Spill
	;; [unrolled: 1-line block ×3, first 2 shown]
	s_nop 0
	buffer_store_dword v55, off, s[0:3], s33 offset:288 ; 4-byte Folded Spill
	buffer_store_dword v52, off, s[0:3], s33 offset:240 ; 4-byte Folded Spill
	s_nop 0
	buffer_store_dword v53, off, s[0:3], s33 offset:244 ; 4-byte Folded Spill
	v_add_u32_e32 v0, v40, v0
	v_ashrrev_i32_e32 v2, 13, v0
	buffer_load_dword v0, off, s[0:3], s33 offset:488 ; 4-byte Folded Reload
	s_mov_b64 s[78:79], 0
	buffer_store_dword v40, off, s[0:3], s33 offset:308 ; 4-byte Folded Spill
                                        ; implicit-def: $vgpr14_vgpr15
                                        ; implicit-def: $vgpr18_vgpr19
                                        ; implicit-def: $vgpr22_vgpr23
                                        ; implicit-def: $vgpr26_vgpr27
                                        ; implicit-def: $vgpr30_vgpr31
	s_waitcnt vmcnt(1)
	v_sub_u32_e32 v46, v2, v0
	buffer_load_dword v0, off, s[0:3], s33 offset:552 ; 4-byte Folded Reload
	s_waitcnt vmcnt(0)
	v_add_co_u32_e32 v60, vcc, v57, v0
	buffer_store_dword v57, off, s[0:3], s33 offset:300 ; 4-byte Folded Spill
	s_nop 0
	buffer_store_dword v58, off, s[0:3], s33 offset:304 ; 4-byte Folded Spill
                                        ; implicit-def: $vgpr0_vgpr1
	buffer_store_dword v0, off, s[0:3], s33 offset:168 ; 4-byte Folded Spill
	s_nop 0
	buffer_store_dword v1, off, s[0:3], s33 offset:172 ; 4-byte Folded Spill
	buffer_store_dword v2, off, s[0:3], s33 offset:176 ; 4-byte Folded Spill
	buffer_store_dword v3, off, s[0:3], s33 offset:180 ; 4-byte Folded Spill
                                        ; implicit-def: $vgpr0_vgpr1
	buffer_store_dword v0, off, s[0:3], s33 offset:184 ; 4-byte Folded Spill
	s_nop 0
	buffer_store_dword v1, off, s[0:3], s33 offset:188 ; 4-byte Folded Spill
	buffer_store_dword v2, off, s[0:3], s33 offset:192 ; 4-byte Folded Spill
	;; [unrolled: 6-line block ×3, first 2 shown]
	buffer_store_dword v3, off, s[0:3], s33 offset:212 ; 4-byte Folded Spill
	v_addc_co_u32_e32 v61, vcc, 0, v58, vcc
	v_cmp_lt_i32_e32 vcc, 0, v46
	s_and_saveexec_b64 s[26:27], vcc
	s_cbranch_execz .LBB12_139
; %bb.131:                              ;   in Loop: Header=BB12_57 Depth=2
	buffer_store_dword v2, off, s[0:3], s33 offset:368 ; 4-byte Folded Spill
	buffer_load_dword v0, off, s[0:3], s33 offset:552 ; 4-byte Folded Reload
	s_nop 0
	buffer_load_dword v1, off, s[0:3], s33 offset:216 ; 4-byte Folded Reload
	buffer_load_dword v2, off, s[0:3], s33 offset:220 ; 4-byte Folded Reload
	s_mov_b64 s[90:91], 0
                                        ; implicit-def: $sgpr88_sgpr89
                                        ; implicit-def: $vgpr14_vgpr15
                                        ; implicit-def: $vgpr18_vgpr19
                                        ; implicit-def: $vgpr22_vgpr23
                                        ; implicit-def: $vgpr26_vgpr27
                                        ; implicit-def: $vgpr30_vgpr31
	s_waitcnt vmcnt(1)
	v_add_co_u32_e32 v0, vcc, v1, v0
	s_waitcnt vmcnt(0)
	v_addc_co_u32_e32 v1, vcc, 0, v2, vcc
                                        ; implicit-def: $vgpr2_vgpr3
	buffer_store_dword v2, off, s[0:3], s33 offset:168 ; 4-byte Folded Spill
	s_nop 0
	buffer_store_dword v3, off, s[0:3], s33 offset:172 ; 4-byte Folded Spill
	buffer_store_dword v4, off, s[0:3], s33 offset:176 ; 4-byte Folded Spill
	buffer_store_dword v5, off, s[0:3], s33 offset:180 ; 4-byte Folded Spill
                                        ; implicit-def: $vgpr2_vgpr3
	buffer_store_dword v2, off, s[0:3], s33 offset:184 ; 4-byte Folded Spill
	s_nop 0
	buffer_store_dword v3, off, s[0:3], s33 offset:188 ; 4-byte Folded Spill
	buffer_store_dword v4, off, s[0:3], s33 offset:192 ; 4-byte Folded Spill
	buffer_store_dword v5, off, s[0:3], s33 offset:196 ; 4-byte Folded Spill
	;; [unrolled: 6-line block ×3, first 2 shown]
	s_branch .LBB12_133
.LBB12_132:                             ;   in Loop: Header=BB12_133 Depth=3
	s_or_b64 exec, exec, s[92:93]
	v_add_co_u32_e32 v12, vcc, s81, v60
	v_addc_co_u32_e32 v13, vcc, 0, v61, vcc
	global_store_dwordx4 v[60:61], v[34:37], off glc slc
	global_store_dwordx4 v[60:61], v[48:51], off offset:1024 glc slc
	global_store_dwordx4 v[60:61], v[52:55], off offset:2048 glc slc
	;; [unrolled: 1-line block ×3, first 2 shown]
	global_store_dwordx4 v[12:13], v[42:45], off glc slc
	global_store_dwordx4 v[12:13], v[56:59], off offset:1024 glc slc
	global_store_dwordx4 v[12:13], v[2:5], off offset:2048 glc slc
	;; [unrolled: 1-line block ×3, first 2 shown]
	s_waitcnt vmcnt(9)
	v_add_co_u32_e32 v2, vcc, v60, v46
	s_waitcnt vmcnt(8)
	v_addc_co_u32_e32 v3, vcc, v61, v47, vcc
	v_add_co_u32_e32 v60, vcc, s54, v2
	v_addc_co_u32_e32 v61, vcc, 0, v3, vcc
	v_add_co_u32_e32 v0, vcc, v0, v46
	v_addc_co_u32_e32 v1, vcc, v1, v47, vcc
	v_sub_u32_e32 v46, v10, v11
	v_cmp_gt_i32_e32 vcc, 1, v46
	s_or_b64 s[78:79], vcc, s[78:79]
	s_andn2_b64 s[88:89], s[88:89], exec
	s_and_b64 s[92:93], s[90:91], exec
	s_or_b64 s[88:89], s[88:89], s[92:93]
	s_andn2_b64 exec, exec, s[78:79]
	s_cbranch_execz .LBB12_138
.LBB12_133:                             ;   Parent Loop BB12_47 Depth=1
                                        ;     Parent Loop BB12_57 Depth=2
                                        ; =>    This Inner Loop Header: Depth=3
	v_add_co_u32_e32 v6, vcc, 0x1000, v0
	v_addc_co_u32_e32 v7, vcc, 0, v1, vcc
	global_load_dwordx4 v[34:37], v[0:1], off glc slc
	global_load_dwordx4 v[48:51], v[0:1], off offset:1024 glc slc
	global_load_dwordx4 v[52:55], v[0:1], off offset:2048 glc slc
	;; [unrolled: 1-line block ×3, first 2 shown]
	global_load_dwordx4 v[42:45], v[6:7], off glc slc
	global_load_dwordx4 v[56:59], v[6:7], off offset:1024 glc slc
	global_load_dwordx4 v[2:5], v[6:7], off offset:2048 glc slc
	s_nop 0
	global_load_dwordx4 v[6:9], v[6:7], off offset:3072 glc slc
	s_and_saveexec_b64 s[92:93], s[90:91]
	s_cbranch_execz .LBB12_135
; %bb.134:                              ;   in Loop: Header=BB12_133 Depth=3
	buffer_load_dword v10, off, s[0:3], s33 offset:168 ; 4-byte Folded Reload
	buffer_load_dword v11, off, s[0:3], s33 offset:172 ; 4-byte Folded Reload
	;; [unrolled: 1-line block ×4, first 2 shown]
	s_waitcnt vmcnt(0)
	global_store_dwordx4 v[60:61], v[10:13], off glc slc
	buffer_load_dword v10, off, s[0:3], s33 offset:184 ; 4-byte Folded Reload
	s_nop 0
	buffer_load_dword v11, off, s[0:3], s33 offset:188 ; 4-byte Folded Reload
	buffer_load_dword v12, off, s[0:3], s33 offset:192 ; 4-byte Folded Reload
	;; [unrolled: 1-line block ×3, first 2 shown]
	s_waitcnt vmcnt(0)
	global_store_dwordx4 v[60:61], v[10:13], off offset:1024 glc slc
	buffer_load_dword v10, off, s[0:3], s33 offset:200 ; 4-byte Folded Reload
	s_nop 0
	buffer_load_dword v11, off, s[0:3], s33 offset:204 ; 4-byte Folded Reload
	buffer_load_dword v12, off, s[0:3], s33 offset:208 ; 4-byte Folded Reload
	;; [unrolled: 1-line block ×3, first 2 shown]
	s_waitcnt vmcnt(0)
	global_store_dwordx4 v[60:61], v[10:13], off offset:2048 glc slc
	global_store_dwordx4 v[60:61], v[14:17], off offset:3072 glc slc
	v_add_co_u32_e32 v10, vcc, 0x1000, v60
	v_addc_co_u32_e32 v11, vcc, 0, v61, vcc
	global_store_dwordx4 v[10:11], v[18:21], off glc slc
	global_store_dwordx4 v[10:11], v[22:25], off offset:1024 glc slc
	global_store_dwordx4 v[10:11], v[26:29], off offset:2048 glc slc
	;; [unrolled: 1-line block ×3, first 2 shown]
	buffer_load_dword v10, off, s[0:3], s33 offset:396 ; 4-byte Folded Reload
	s_waitcnt vmcnt(0)
	v_add_co_u32_e32 v60, vcc, v60, v10
	buffer_load_dword v10, off, s[0:3], s33 offset:400 ; 4-byte Folded Reload
	s_waitcnt vmcnt(0)
	v_addc_co_u32_e32 v61, vcc, v61, v10, vcc
.LBB12_135:                             ;   in Loop: Header=BB12_133 Depth=3
	s_or_b64 exec, exec, s[92:93]
	buffer_load_dword v10, off, s[0:3], s33 offset:396 ; 4-byte Folded Reload
	v_mov_b32_e32 v11, 0
	s_waitcnt vmcnt(0)
	v_add_co_u32_e32 v0, vcc, v0, v10
	buffer_load_dword v10, off, s[0:3], s33 offset:400 ; 4-byte Folded Reload
	s_waitcnt vmcnt(0)
	v_addc_co_u32_e32 v1, vcc, v1, v10, vcc
	buffer_load_dword v10, off, s[0:3], s33 offset:152 ; 4-byte Folded Reload
	s_waitcnt vmcnt(0)
	v_sub_u32_e32 v10, v46, v10
	v_mov_b32_e32 v46, 0
	v_mov_b32_e32 v47, 0
	v_cmp_lt_i32_e64 s[90:91], 0, v10
	s_and_saveexec_b64 s[92:93], s[90:91]
	s_cbranch_execz .LBB12_132
; %bb.136:                              ;   in Loop: Header=BB12_133 Depth=3
	global_load_dwordx4 v[11:14], v[0:1], off glc slc
	s_waitcnt vmcnt(0)
	buffer_store_dword v11, off, s[0:3], s33 offset:168 ; 4-byte Folded Spill
	s_nop 0
	buffer_store_dword v12, off, s[0:3], s33 offset:172 ; 4-byte Folded Spill
	buffer_store_dword v13, off, s[0:3], s33 offset:176 ; 4-byte Folded Spill
	;; [unrolled: 1-line block ×3, first 2 shown]
	global_load_dwordx4 v[11:14], v[0:1], off offset:1024 glc slc
	s_waitcnt vmcnt(0)
	buffer_store_dword v11, off, s[0:3], s33 offset:184 ; 4-byte Folded Spill
	s_nop 0
	buffer_store_dword v12, off, s[0:3], s33 offset:188 ; 4-byte Folded Spill
	buffer_store_dword v13, off, s[0:3], s33 offset:192 ; 4-byte Folded Spill
	;; [unrolled: 1-line block ×3, first 2 shown]
	global_load_dwordx4 v[11:14], v[0:1], off offset:2048 glc slc
	s_waitcnt vmcnt(0)
	buffer_store_dword v11, off, s[0:3], s33 offset:200 ; 4-byte Folded Spill
	s_nop 0
	buffer_store_dword v12, off, s[0:3], s33 offset:204 ; 4-byte Folded Spill
	buffer_store_dword v13, off, s[0:3], s33 offset:208 ; 4-byte Folded Spill
	;; [unrolled: 1-line block ×3, first 2 shown]
	v_add_co_u32_e32 v11, vcc, s81, v0
	v_addc_co_u32_e32 v12, vcc, 0, v1, vcc
	global_load_dwordx4 v[14:17], v[0:1], off offset:3072 glc slc
	global_load_dwordx4 v[18:21], v[11:12], off glc slc
	global_load_dwordx4 v[22:25], v[11:12], off offset:1024 glc slc
	global_load_dwordx4 v[26:29], v[11:12], off offset:2048 glc slc
	;; [unrolled: 1-line block ×3, first 2 shown]
	s_nop 0
	buffer_load_dword v11, off, s[0:3], s33 offset:152 ; 4-byte Folded Reload
	buffer_load_dword v46, off, s[0:3], s33 offset:444 ; 4-byte Folded Reload
	;; [unrolled: 1-line block ×3, first 2 shown]
	v_add_co_u32_e32 v0, vcc, 0x2000, v0
	v_addc_co_u32_e32 v1, vcc, 0, v1, vcc
	s_branch .LBB12_132
.LBB12_137:                             ;   in Loop: Header=BB12_57 Depth=2
	buffer_load_dword v1, off, s[0:3], s33 offset:484 ; 4-byte Folded Reload
	v_mov_b32_e32 v7, v41
	s_and_saveexec_b64 s[26:27], s[44:45]
	s_cbranch_execnz .LBB12_158
	s_branch .LBB12_178
.LBB12_138:                             ;   in Loop: Header=BB12_57 Depth=2
	s_or_b64 exec, exec, s[78:79]
	buffer_load_dword v2, off, s[0:3], s33 offset:368 ; 4-byte Folded Reload
	s_and_b64 s[78:79], s[88:89], exec
.LBB12_139:                             ;   in Loop: Header=BB12_57 Depth=2
	s_or_b64 exec, exec, s[26:27]
	s_and_saveexec_b64 s[26:27], s[78:79]
	s_cbranch_execz .LBB12_141
; %bb.140:                              ;   in Loop: Header=BB12_57 Depth=2
	buffer_load_dword v3, off, s[0:3], s33 offset:168 ; 4-byte Folded Reload
	buffer_load_dword v4, off, s[0:3], s33 offset:172 ; 4-byte Folded Reload
	;; [unrolled: 1-line block ×4, first 2 shown]
	v_add_co_u32_e32 v0, vcc, 0x1000, v60
	v_addc_co_u32_e32 v1, vcc, 0, v61, vcc
	s_waitcnt vmcnt(0)
	global_store_dwordx4 v[60:61], v[3:6], off glc slc
	buffer_load_dword v3, off, s[0:3], s33 offset:184 ; 4-byte Folded Reload
	s_nop 0
	buffer_load_dword v4, off, s[0:3], s33 offset:188 ; 4-byte Folded Reload
	buffer_load_dword v5, off, s[0:3], s33 offset:192 ; 4-byte Folded Reload
	;; [unrolled: 1-line block ×3, first 2 shown]
	s_waitcnt vmcnt(0)
	global_store_dwordx4 v[60:61], v[3:6], off offset:1024 glc slc
	buffer_load_dword v3, off, s[0:3], s33 offset:200 ; 4-byte Folded Reload
	s_nop 0
	buffer_load_dword v4, off, s[0:3], s33 offset:204 ; 4-byte Folded Reload
	buffer_load_dword v5, off, s[0:3], s33 offset:208 ; 4-byte Folded Reload
	;; [unrolled: 1-line block ×3, first 2 shown]
	s_waitcnt vmcnt(0)
	global_store_dwordx4 v[60:61], v[3:6], off offset:2048 glc slc
	global_store_dwordx4 v[60:61], v[14:17], off offset:3072 glc slc
	global_store_dwordx4 v[0:1], v[18:21], off glc slc
	global_store_dwordx4 v[0:1], v[22:25], off offset:1024 glc slc
	global_store_dwordx4 v[0:1], v[26:29], off offset:2048 glc slc
	;; [unrolled: 1-line block ×3, first 2 shown]
.LBB12_141:                             ;   in Loop: Header=BB12_57 Depth=2
	s_or_b64 exec, exec, s[26:27]
	buffer_load_dword v40, off, s[0:3], s33 offset:308 ; 4-byte Folded Reload
	s_waitcnt vmcnt(1)
	v_lshlrev_b32_e32 v12, 13, v2
                                        ; implicit-def: $vgpr0
                                        ; implicit-def: $vgpr1
                                        ; implicit-def: $vgpr7
	s_waitcnt vmcnt(0)
	v_cmp_ne_u32_e32 vcc, v40, v12
	s_mov_b64 s[78:79], exec
	buffer_load_dword v51, off, s[0:3], s33 offset:352 ; 4-byte Folded Reload
	buffer_load_dword v52, off, s[0:3], s33 offset:240 ; 4-byte Folded Reload
	;; [unrolled: 1-line block ×12, first 2 shown]
	s_and_b64 s[26:27], s[78:79], vcc
	s_mov_b64 exec, s[26:27]
	s_cbranch_execz .LBB12_157
; %bb.142:                              ;   in Loop: Header=BB12_57 Depth=2
	buffer_load_dword v2, off, s[0:3], s33 offset:524 ; 4-byte Folded Reload
	v_lshlrev_b32_e32 v0, 6, v46
	v_sub_u32_e32 v1, v40, v12
	s_mov_b64 s[90:91], 0
	s_waitcnt vmcnt(0)
	v_sub_u32_e32 v0, v2, v0
	v_ashrrev_i32_e32 v2, 31, v0
	v_lshrrev_b32_e32 v2, 26, v2
	v_add_u32_e32 v2, v0, v2
	v_ashrrev_i32_e32 v3, 6, v2
	v_and_b32_e32 v2, 0xffffffc0, v2
	v_sub_u32_e32 v13, v0, v2
	v_lshlrev_b32_e32 v0, 4, v13
	v_lshl_add_u32 v2, v3, 10, v0
	v_add_u32_e32 v0, v2, v12
	v_sub_u32_e32 v17, v1, v2
	v_ashrrev_i32_e32 v2, 31, v1
	v_lshrrev_b32_e32 v2, 22, v2
	v_add_u32_e32 v2, v1, v2
	v_and_b32_e32 v14, 0xfffffc00, v2
	v_sub_u32_e32 v16, v1, v14
	v_ashrrev_i32_e32 v4, 10, v2
	v_cmp_lt_i32_e64 s[26:27], 15, v16
	v_addc_co_u32_e64 v1, vcc, 0, v4, s[26:27]
	v_sub_u32_e32 v15, v1, v3
	v_ashrrev_i32_e32 v1, 31, v0
	v_add_co_u32_e32 v10, vcc, v0, v57
	v_addc_co_u32_e32 v11, vcc, v1, v58, vcc
	v_cmp_lt_i32_e32 vcc, 15, v17
                                        ; implicit-def: $vgpr2_vgpr3
	s_mov_b64 s[88:89], exec
	buffer_load_dword v20, off, s[0:3], s33 offset:528 ; 4-byte Folded Reload
	buffer_load_dword v21, off, s[0:3], s33 offset:532 ; 4-byte Folded Reload
	s_and_b64 s[92:93], s[88:89], vcc
	s_mov_b64 exec, s[92:93]
	s_cbranch_execz .LBB12_152
; %bb.143:                              ;   in Loop: Header=BB12_57 Depth=2
	v_add_co_u32_e32 v0, vcc, v0, v55
	v_addc_co_u32_e32 v1, vcc, v1, v56, vcc
	s_mov_b64 s[94:95], 0
                                        ; implicit-def: $sgpr92_sgpr93
                                        ; implicit-def: $vgpr2_vgpr3
	s_branch .LBB12_145
.LBB12_144:                             ;   in Loop: Header=BB12_145 Depth=3
	s_or_b64 exec, exec, s[30:31]
	v_cmp_gt_i32_e32 vcc, 16, v17
	s_or_b64 s[90:91], vcc, s[90:91]
	s_andn2_b64 s[92:93], s[92:93], exec
	s_and_b64 vcc, s[94:95], exec
	s_or_b64 s[92:93], s[92:93], vcc
	s_andn2_b64 exec, exec, s[90:91]
	s_cbranch_execz .LBB12_151
.LBB12_145:                             ;   Parent Loop BB12_47 Depth=1
                                        ;     Parent Loop BB12_57 Depth=2
                                        ; =>    This Inner Loop Header: Depth=3
	global_load_dwordx4 v[6:9], v[0:1], off glc slc
	s_and_saveexec_b64 s[30:31], s[94:95]
	s_cbranch_execz .LBB12_147
; %bb.146:                              ;   in Loop: Header=BB12_145 Depth=3
	buffer_load_dword v18, off, s[0:3], s33 offset:344 ; 4-byte Folded Reload
	buffer_load_dword v19, off, s[0:3], s33 offset:348 ; 4-byte Folded Reload
	s_waitcnt vmcnt(1)
	v_add_co_u32_e32 v18, vcc, v10, v18
	s_waitcnt vmcnt(0)
	v_addc_co_u32_e32 v19, vcc, v11, v19, vcc
	global_store_dwordx4 v[10:11], v[2:5], off glc slc
	v_mov_b32_e32 v10, v18
	v_mov_b32_e32 v11, v19
.LBB12_147:                             ;   in Loop: Header=BB12_145 Depth=3
	s_or_b64 exec, exec, s[30:31]
	buffer_load_dword v18, off, s[0:3], s33 offset:344 ; 4-byte Folded Reload
	s_waitcnt vmcnt(3)
	v_sub_u32_e32 v17, v17, v20
	v_cmp_lt_i32_e64 s[94:95], 15, v17
	s_waitcnt vmcnt(0)
	v_add_co_u32_e32 v0, vcc, v0, v18
	buffer_load_dword v18, off, s[0:3], s33 offset:348 ; 4-byte Folded Reload
	s_waitcnt vmcnt(0)
	v_addc_co_u32_e32 v1, vcc, v1, v18, vcc
	s_and_saveexec_b64 s[30:31], s[94:95]
	s_cbranch_execz .LBB12_149
; %bb.148:                              ;   in Loop: Header=BB12_145 Depth=3
	global_load_dwordx4 v[2:5], v[0:1], off glc slc
	v_add_co_u32_e32 v0, vcc, 0x400, v0
	v_addc_co_u32_e32 v1, vcc, 0, v1, vcc
.LBB12_149:                             ;   in Loop: Header=BB12_145 Depth=3
	s_or_b64 exec, exec, s[30:31]
	buffer_load_dword v18, off, s[0:3], s33 offset:152 ; 4-byte Folded Reload
	s_waitcnt vmcnt(0)
	v_sub_u32_e32 v15, v15, v18
	global_store_dwordx4 v[10:11], v[6:9], off glc slc
	v_add_co_u32_e32 v10, vcc, 0x400, v10
	v_addc_co_u32_e32 v11, vcc, 0, v11, vcc
	s_and_saveexec_b64 s[30:31], s[94:95]
	s_cbranch_execz .LBB12_144
; %bb.150:                              ;   in Loop: Header=BB12_145 Depth=3
	buffer_load_dword v6, off, s[0:3], s33 offset:152 ; 4-byte Folded Reload
	v_add_co_u32_e32 v0, vcc, v0, v21
	v_sub_u32_e32 v17, v17, v20
	s_waitcnt vmcnt(0)
	v_sub_u32_e32 v15, v15, v6
	buffer_load_dword v6, off, s[0:3], s33 offset:340 ; 4-byte Folded Reload
	s_waitcnt vmcnt(0)
	v_addc_co_u32_e32 v1, vcc, v1, v6, vcc
	v_add_co_u32_e32 v10, vcc, v10, v21
	v_addc_co_u32_e32 v11, vcc, v11, v6, vcc
	s_branch .LBB12_144
.LBB12_151:                             ;   in Loop: Header=BB12_57 Depth=2
	s_or_b64 exec, exec, s[90:91]
	s_and_b64 s[90:91], s[92:93], exec
.LBB12_152:                             ;   in Loop: Header=BB12_57 Depth=2
	s_or_b64 exec, exec, s[88:89]
	s_and_saveexec_b64 s[88:89], s[90:91]
	s_cbranch_execz .LBB12_154
; %bb.153:                              ;   in Loop: Header=BB12_57 Depth=2
	global_store_dwordx4 v[10:11], v[2:5], off glc slc
.LBB12_154:                             ;   in Loop: Header=BB12_57 Depth=2
	s_or_b64 exec, exec, s[88:89]
	v_and_b32_e32 v2, 14, v40
	v_cndmask_b32_e64 v40, v16, v2, s[26:27]
	v_cmp_ne_u32_e32 vcc, 0, v40
	s_mov_b64 s[90:91], s[44:45]
                                        ; implicit-def: $vgpr0
                                        ; implicit-def: $vgpr1
                                        ; implicit-def: $vgpr7
	s_and_saveexec_b64 s[88:89], vcc
	s_cbranch_execz .LBB12_156
; %bb.155:                              ;   in Loop: Header=BB12_57 Depth=2
	buffer_load_dword v1, off, s[0:3], s33 offset:152 ; 4-byte Folded Reload
	v_cmp_lt_i32_e32 vcc, 0, v15
	v_sub_u32_e32 v0, v16, v2
	v_cndmask_b32_e64 v0, 0, v0, s[26:27]
	v_add3_u32 v0, v14, v12, v0
	s_or_b64 s[90:91], s[44:45], exec
	s_waitcnt vmcnt(0)
	v_cndmask_b32_e32 v1, 0, v1, vcc
	v_sub_u32_e32 v1, v1, v15
	v_lshl_add_u32 v1, v1, 6, v13
	v_ashrrev_i32_e32 v2, 31, v1
	v_lshrrev_b32_e32 v2, 26, v2
	v_add_u32_e32 v2, v1, v2
	v_and_b32_e32 v2, 0xffffffc0, v2
	v_sub_u32_e32 v7, v1, v2
.LBB12_156:                             ;   in Loop: Header=BB12_57 Depth=2
	s_or_b64 exec, exec, s[88:89]
	s_andn2_b64 s[26:27], s[44:45], exec
	s_and_b64 s[44:45], s[90:91], exec
	s_or_b64 s[44:45], s[26:27], s[44:45]
.LBB12_157:                             ;   in Loop: Header=BB12_57 Depth=2
	s_or_b64 exec, exec, s[78:79]
	buffer_load_dword v41, off, s[0:3], s33 offset:524 ; 4-byte Folded Reload
	buffer_load_dword v44, off, s[0:3], s33 offset:528 ; 4-byte Folded Reload
	buffer_load_dword v46, off, s[0:3], s33 offset:532 ; 4-byte Folded Reload
	s_and_saveexec_b64 s[26:27], s[44:45]
	s_cbranch_execz .LBB12_178
.LBB12_158:                             ;   in Loop: Header=BB12_57 Depth=2
	s_waitcnt vmcnt(0)
	v_ashrrev_i32_e32 v2, 31, v1
	v_lshrrev_b32_e32 v2, 26, v2
	v_add_u32_e32 v1, v1, v2
	v_ashrrev_i32_e32 v1, 6, v1
	v_lshlrev_b32_e32 v2, 11, v1
	v_lshlrev_b32_e32 v3, 1, v7
	v_add3_u32 v3, v0, v3, v2
	v_ashrrev_i32_e32 v2, 31, v40
	v_lshrrev_b32_e32 v2, 21, v2
	v_add_u32_e32 v2, v40, v2
	v_ashrrev_i32_e32 v8, 11, v2
	v_sub_u32_e32 v5, v8, v1
	v_ashrrev_i32_e32 v4, 31, v3
	v_add_co_u32_e32 v1, vcc, v57, v3
	v_addc_co_u32_e32 v2, vcc, v58, v4, vcc
	v_cmp_lt_i32_e32 vcc, 0, v5
	s_mov_b64 s[78:79], 0
                                        ; implicit-def: $vgpr9
                                        ; implicit-def: $vgpr10
                                        ; implicit-def: $vgpr11
                                        ; implicit-def: $vgpr12
                                        ; implicit-def: $vgpr13
                                        ; implicit-def: $vgpr14
                                        ; implicit-def: $vgpr15
                                        ; implicit-def: $vgpr16
                                        ; implicit-def: $vgpr17
                                        ; implicit-def: $vgpr18
                                        ; implicit-def: $vgpr19
                                        ; implicit-def: $vgpr20
                                        ; implicit-def: $vgpr21
                                        ; implicit-def: $vgpr22
                                        ; implicit-def: $vgpr23
                                        ; implicit-def: $vgpr24
	s_and_saveexec_b64 s[44:45], vcc
	s_cbranch_execz .LBB12_166
; %bb.159:                              ;   in Loop: Header=BB12_57 Depth=2
	v_add_co_u32_e32 v3, vcc, v3, v55
	v_addc_co_u32_e32 v4, vcc, v4, v56, vcc
	s_mov_b64 s[90:91], 0
                                        ; implicit-def: $sgpr88_sgpr89
                                        ; implicit-def: $vgpr9
                                        ; implicit-def: $vgpr10
                                        ; implicit-def: $vgpr11
                                        ; implicit-def: $vgpr12
                                        ; implicit-def: $vgpr13
                                        ; implicit-def: $vgpr14
                                        ; implicit-def: $vgpr15
                                        ; implicit-def: $vgpr16
                                        ; implicit-def: $vgpr17
                                        ; implicit-def: $vgpr18
                                        ; implicit-def: $vgpr19
                                        ; implicit-def: $vgpr20
                                        ; implicit-def: $vgpr21
                                        ; implicit-def: $vgpr22
                                        ; implicit-def: $vgpr23
                                        ; implicit-def: $vgpr24
	s_branch .LBB12_161
.LBB12_160:                             ;   in Loop: Header=BB12_161 Depth=3
	s_or_b64 exec, exec, s[92:93]
	s_waitcnt lgkmcnt(0)
	flat_store_short v[1:2], v25 glc slc
	flat_store_short v[1:2], v26 offset:128 glc slc
	flat_store_short v[1:2], v27 offset:256 glc slc
	;; [unrolled: 1-line block ×15, first 2 shown]
	s_waitcnt vmcnt(0)
	v_add_co_u32_e32 v1, vcc, v1, v5
	v_addc_co_u32_e32 v2, vcc, v2, v6, vcc
	v_add_co_u32_e32 v1, vcc, s64, v1
	v_addc_co_u32_e32 v2, vcc, 0, v2, vcc
	;; [unrolled: 2-line block ×3, first 2 shown]
	v_sub_u32_e32 v5, v49, v50
	v_cmp_gt_i32_e32 vcc, 1, v5
	s_or_b64 s[78:79], vcc, s[78:79]
	s_andn2_b64 s[88:89], s[88:89], exec
	s_and_b64 s[92:93], s[90:91], exec
	s_or_b64 s[88:89], s[88:89], s[92:93]
	s_andn2_b64 exec, exec, s[78:79]
	s_cbranch_execz .LBB12_165
.LBB12_161:                             ;   Parent Loop BB12_47 Depth=1
                                        ;     Parent Loop BB12_57 Depth=2
                                        ; =>    This Inner Loop Header: Depth=3
	flat_load_ushort v25, v[3:4] glc slc
	flat_load_ushort v26, v[3:4] offset:128 glc slc
	flat_load_ushort v27, v[3:4] offset:256 glc slc
	;; [unrolled: 1-line block ×15, first 2 shown]
	s_and_saveexec_b64 s[92:93], s[90:91]
	s_cbranch_execz .LBB12_163
; %bb.162:                              ;   in Loop: Header=BB12_161 Depth=3
	flat_store_short v[1:2], v9 glc slc
	flat_store_short v[1:2], v10 offset:128 glc slc
	flat_store_short v[1:2], v11 offset:256 glc slc
	;; [unrolled: 1-line block ×15, first 2 shown]
	buffer_load_dword v6, off, s[0:3], s33 offset:232 ; 4-byte Folded Reload
	s_waitcnt vmcnt(0)
	v_add_co_u32_e32 v1, vcc, v1, v6
	buffer_load_dword v6, off, s[0:3], s33 offset:236 ; 4-byte Folded Reload
	s_waitcnt vmcnt(0)
	v_addc_co_u32_e32 v2, vcc, v2, v6, vcc
.LBB12_163:                             ;   in Loop: Header=BB12_161 Depth=3
	s_or_b64 exec, exec, s[92:93]
	buffer_load_dword v6, off, s[0:3], s33 offset:232 ; 4-byte Folded Reload
	v_mov_b32_e32 v50, 0
	s_waitcnt vmcnt(0)
	v_add_co_u32_e32 v3, vcc, v3, v6
	buffer_load_dword v6, off, s[0:3], s33 offset:236 ; 4-byte Folded Reload
	s_waitcnt vmcnt(0)
	v_addc_co_u32_e32 v4, vcc, v4, v6, vcc
	buffer_load_dword v6, off, s[0:3], s33 offset:152 ; 4-byte Folded Reload
	s_waitcnt vmcnt(0)
	v_sub_u32_e32 v49, v5, v6
	v_mov_b32_e32 v5, 0
	v_mov_b32_e32 v6, 0
	v_cmp_lt_i32_e64 s[90:91], 0, v49
	s_and_saveexec_b64 s[92:93], s[90:91]
	s_cbranch_execz .LBB12_160
; %bb.164:                              ;   in Loop: Header=BB12_161 Depth=3
	flat_load_ushort v9, v[3:4] glc slc
	flat_load_ushort v10, v[3:4] offset:128 glc slc
	flat_load_ushort v11, v[3:4] offset:256 glc slc
	flat_load_ushort v12, v[3:4] offset:384 glc slc
	flat_load_ushort v13, v[3:4] offset:512 glc slc
	flat_load_ushort v14, v[3:4] offset:640 glc slc
	flat_load_ushort v15, v[3:4] offset:768 glc slc
	flat_load_ushort v16, v[3:4] offset:896 glc slc
	flat_load_ushort v17, v[3:4] offset:1024 glc slc
	flat_load_ushort v18, v[3:4] offset:1152 glc slc
	flat_load_ushort v19, v[3:4] offset:1280 glc slc
	flat_load_ushort v20, v[3:4] offset:1408 glc slc
	flat_load_ushort v21, v[3:4] offset:1536 glc slc
	flat_load_ushort v22, v[3:4] offset:1664 glc slc
	flat_load_ushort v23, v[3:4] offset:1792 glc slc
	flat_load_ushort v24, v[3:4] offset:1920 glc slc
	buffer_load_dword v50, off, s[0:3], s33 offset:152 ; 4-byte Folded Reload
	buffer_load_dword v5, off, s[0:3], s33 offset:272 ; 4-byte Folded Reload
	buffer_load_dword v6, off, s[0:3], s33 offset:276 ; 4-byte Folded Reload
	v_add_co_u32_e32 v3, vcc, 0x800, v3
	v_addc_co_u32_e32 v4, vcc, 0, v4, vcc
	s_branch .LBB12_160
.LBB12_165:                             ;   in Loop: Header=BB12_57 Depth=2
	s_or_b64 exec, exec, s[78:79]
	s_and_b64 s[78:79], s[88:89], exec
.LBB12_166:                             ;   in Loop: Header=BB12_57 Depth=2
	s_or_b64 exec, exec, s[44:45]
	s_and_saveexec_b64 s[44:45], s[78:79]
	s_cbranch_execz .LBB12_168
; %bb.167:                              ;   in Loop: Header=BB12_57 Depth=2
	flat_store_short v[1:2], v9 glc slc
	flat_store_short v[1:2], v10 offset:128 glc slc
	flat_store_short v[1:2], v11 offset:256 glc slc
	;; [unrolled: 1-line block ×15, first 2 shown]
.LBB12_168:                             ;   in Loop: Header=BB12_57 Depth=2
	s_or_b64 exec, exec, s[44:45]
	v_lshlrev_b32_e32 v1, 11, v8
	v_cmp_ne_u32_e32 vcc, v40, v1
	s_and_b64 exec, exec, vcc
	s_cbranch_execz .LBB12_178
; %bb.169:                              ;   in Loop: Header=BB12_57 Depth=2
	v_lshlrev_b32_e32 v2, 6, v5
	v_sub_u32_e32 v2, v7, v2
	v_ashrrev_i32_e32 v3, 31, v2
	v_lshrrev_b32_e32 v3, 26, v3
	v_add_u32_e32 v3, v2, v3
	v_and_b32_e32 v4, 0x7fffffc0, v3
	v_sub_u32_e32 v2, v2, v4
	v_lshlrev_b32_e32 v3, 1, v3
	v_and_b32_e32 v3, 0xffffff80, v3
	v_lshlrev_b32_e32 v2, 1, v2
	v_add3_u32 v1, v3, v2, v1
	v_sub_u32_e32 v4, v40, v1
	v_cmp_lt_i32_e32 vcc, 1, v4
	s_and_b64 exec, exec, vcc
	s_cbranch_execz .LBB12_178
; %bb.170:                              ;   in Loop: Header=BB12_57 Depth=2
	v_add_u32_e32 v2, v1, v0
	v_ashrrev_i32_e32 v3, 31, v2
	v_add_co_u32_e32 v0, vcc, v57, v2
	v_addc_co_u32_e32 v1, vcc, v58, v3, vcc
	v_add_co_u32_e32 v2, vcc, v2, v55
	v_addc_co_u32_e32 v3, vcc, v3, v56, vcc
	s_mov_b64 s[88:89], 0
	s_mov_b64 s[44:45], 0
                                        ; implicit-def: $sgpr78_sgpr79
                                        ; implicit-def: $vgpr6
	s_branch .LBB12_172
.LBB12_171:                             ;   in Loop: Header=BB12_172 Depth=3
	s_or_b64 exec, exec, s[90:91]
	s_waitcnt lgkmcnt(0)
	flat_store_short v[0:1], v7 glc slc
	s_waitcnt vmcnt(0)
	v_add_co_u32_e32 v0, vcc, v0, v4
	v_addc_co_u32_e32 v1, vcc, v1, v5, vcc
	v_add_co_u32_e32 v2, vcc, v2, v4
	v_addc_co_u32_e32 v3, vcc, v3, v5, vcc
	;; [unrolled: 2-line block ×3, first 2 shown]
	v_sub_u32_e32 v4, v8, v9
	v_cmp_gt_i32_e32 vcc, 2, v4
	s_or_b64 s[44:45], vcc, s[44:45]
	s_andn2_b64 s[78:79], s[78:79], exec
	s_and_b64 s[90:91], s[88:89], exec
	s_or_b64 s[78:79], s[78:79], s[90:91]
	s_andn2_b64 exec, exec, s[44:45]
	s_cbranch_execz .LBB12_176
.LBB12_172:                             ;   Parent Loop BB12_47 Depth=1
                                        ;     Parent Loop BB12_57 Depth=2
                                        ; =>    This Inner Loop Header: Depth=3
	flat_load_ushort v7, v[2:3] glc slc
	s_and_saveexec_b64 s[90:91], s[88:89]
	s_cbranch_execz .LBB12_174
; %bb.173:                              ;   in Loop: Header=BB12_172 Depth=3
	buffer_load_dword v5, off, s[0:3], s33 offset:324 ; 4-byte Folded Reload
	s_waitcnt vmcnt(0)
	v_add_co_u32_e32 v8, vcc, v0, v5
	buffer_load_dword v5, off, s[0:3], s33 offset:328 ; 4-byte Folded Reload
	s_waitcnt vmcnt(0)
	v_addc_co_u32_e32 v9, vcc, v1, v5, vcc
	flat_store_short v[0:1], v6 glc slc
	v_mov_b32_e32 v0, v8
	v_mov_b32_e32 v1, v9
.LBB12_174:                             ;   in Loop: Header=BB12_172 Depth=3
	s_or_b64 exec, exec, s[90:91]
	buffer_load_dword v5, off, s[0:3], s33 offset:324 ; 4-byte Folded Reload
	v_mov_b32_e32 v9, 0
	s_waitcnt vmcnt(0)
	v_add_co_u32_e32 v2, vcc, v2, v5
	buffer_load_dword v5, off, s[0:3], s33 offset:328 ; 4-byte Folded Reload
	s_waitcnt vmcnt(0)
	v_addc_co_u32_e32 v3, vcc, v3, v5, vcc
	buffer_load_dword v5, off, s[0:3], s33 offset:280 ; 4-byte Folded Reload
	s_waitcnt vmcnt(0)
	v_sub_u32_e32 v8, v4, v5
	v_mov_b32_e32 v4, 0
	v_cmp_lt_i32_e64 s[88:89], 1, v8
	v_mov_b32_e32 v5, 0
	s_and_saveexec_b64 s[90:91], s[88:89]
	s_cbranch_execz .LBB12_171
; %bb.175:                              ;   in Loop: Header=BB12_172 Depth=3
	flat_load_ushort v6, v[2:3] glc slc
	buffer_load_dword v9, off, s[0:3], s33 offset:280 ; 4-byte Folded Reload
	buffer_load_dword v4, off, s[0:3], s33 offset:316 ; 4-byte Folded Reload
	;; [unrolled: 1-line block ×3, first 2 shown]
	v_add_co_u32_e32 v2, vcc, 0x80, v2
	v_addc_co_u32_e32 v3, vcc, 0, v3, vcc
	s_branch .LBB12_171
.LBB12_176:                             ;   in Loop: Header=BB12_57 Depth=2
	s_or_b64 exec, exec, s[44:45]
	s_and_b64 exec, exec, s[78:79]
	s_cbranch_execz .LBB12_178
; %bb.177:                              ;   in Loop: Header=BB12_57 Depth=2
	flat_store_short v[0:1], v6 glc slc
.LBB12_178:                             ;   in Loop: Header=BB12_57 Depth=2
	s_or_b64 exec, exec, s[26:27]
	s_waitcnt vmcnt(0)
	v_cmp_lt_i32_e64 s[26:27], 0, v53
	s_and_saveexec_b64 s[44:45], s[10:11]
	s_cbranch_execz .LBB12_197
.LBB12_179:                             ;   in Loop: Header=BB12_57 Depth=2
	s_and_saveexec_b64 s[78:79], s[58:59]
	s_xor_b64 s[78:79], exec, s[78:79]
	s_cbranch_execz .LBB12_194
; %bb.180:                              ;   in Loop: Header=BB12_57 Depth=2
	s_and_saveexec_b64 s[88:89], s[16:17]
	s_cbranch_execz .LBB12_193
; %bb.181:                              ;   in Loop: Header=BB12_57 Depth=2
	s_mov_b64 s[92:93], exec
	v_mbcnt_lo_u32_b32 v0, s92, 0
	v_mbcnt_hi_u32_b32 v0, s93, v0
	v_cmp_eq_u32_e32 vcc, 0, v0
	s_waitcnt vmcnt(0) lgkmcnt(0)
	buffer_wbinvl1_vol
	s_and_saveexec_b64 s[90:91], vcc
	s_cbranch_execz .LBB12_183
; %bb.182:                              ;   in Loop: Header=BB12_57 Depth=2
	buffer_load_dword v1, off, s[0:3], s33 offset:128 ; 4-byte Folded Reload
	buffer_load_dword v2, off, s[0:3], s33 offset:132 ; 4-byte Folded Reload
	s_bcnt1_i32_b64 s47, s[92:93]
	v_mov_b32_e32 v0, s47
	s_waitcnt vmcnt(1)
	ds_add_u64 v0, v[0:1]
	s_trap 2
.LBB12_183:                             ;   in Loop: Header=BB12_57 Depth=2
	s_or_b64 exec, exec, s[90:91]
	s_trap 2
	ds_read_b64 v[0:1], v0
	s_waitcnt lgkmcnt(0)
	buffer_load_dword v2, off, s[0:3], s33 offset:152 ; 4-byte Folded Reload
	buffer_load_dword v3, off, s[0:3], s33 offset:160 ; 4-byte Folded Reload
	;; [unrolled: 1-line block ×3, first 2 shown]
	s_waitcnt vmcnt(1)
	v_add_co_u32_e32 v3, vcc, v3, v2
	s_waitcnt vmcnt(0)
	v_addc_co_u32_e32 v4, vcc, 0, v4, vcc
	buffer_store_dword v3, off, s[0:3], s33 offset:160 ; 4-byte Folded Spill
	s_nop 0
	buffer_store_dword v4, off, s[0:3], s33 offset:164 ; 4-byte Folded Spill
	v_cmp_lt_u64_e32 vcc, v[0:1], v[3:4]
	s_and_saveexec_b64 s[90:91], vcc
	s_cbranch_execz .LBB12_192
; %bb.184:                              ;   in Loop: Header=BB12_57 Depth=2
	s_mov_b32 s47, 0
	s_mov_b64 s[92:93], 0
                                        ; implicit-def: $sgpr94_sgpr95
                                        ; implicit-def: $sgpr30_sgpr31
	s_branch .LBB12_186
.LBB12_185:                             ;   in Loop: Header=BB12_186 Depth=3
	s_or_b64 exec, exec, s[36:37]
	s_and_b64 vcc, exec, vcc
	s_or_b64 s[92:93], vcc, s[92:93]
	s_andn2_b64 s[94:95], s[94:95], exec
	s_and_b64 vcc, s[30:31], exec
	s_or_b64 s[94:95], s[94:95], vcc
	s_andn2_b64 exec, exec, s[92:93]
	s_cbranch_execz .LBB12_190
.LBB12_186:                             ;   Parent Loop BB12_47 Depth=1
                                        ;     Parent Loop BB12_57 Depth=2
                                        ; =>    This Inner Loop Header: Depth=3
	s_add_i32 s47, s47, 1
	s_cmpk_lg_i32 s47, 0x2710
	s_cselect_b64 s[34:35], -1, 0
	s_and_b64 vcc, exec, s[34:35]
	s_cbranch_vccz .LBB12_188
; %bb.187:                              ;   in Loop: Header=BB12_186 Depth=3
	s_mov_b64 vcc, -1
	s_or_b64 s[30:31], s[30:31], exec
	s_and_saveexec_b64 s[36:37], s[34:35]
	s_cbranch_execz .LBB12_185
	s_branch .LBB12_189
.LBB12_188:                             ;   in Loop: Header=BB12_186 Depth=3
	s_trap 2
	ds_read_b64 v[0:1], v0
	s_andn2_b64 s[34:35], s[34:35], exec
	s_mov_b32 s47, 0
	s_waitcnt vmcnt(0) lgkmcnt(0)
	flat_load_dword v0, v[0:1] glc
	s_waitcnt vmcnt(0) lgkmcnt(0)
	buffer_wbinvl1_vol
	v_cmp_eq_u32_e32 vcc, 0, v0
	s_and_b64 vcc, vcc, exec
	s_or_b64 s[34:35], s[34:35], vcc
	s_mov_b64 vcc, -1
	s_or_b64 s[30:31], s[30:31], exec
	s_and_saveexec_b64 s[36:37], s[34:35]
	s_cbranch_execz .LBB12_185
.LBB12_189:                             ;   in Loop: Header=BB12_186 Depth=3
	s_sleep 1
	s_trap 2
	ds_read_b64 v[0:1], v0
	s_waitcnt lgkmcnt(0)
	buffer_load_dword v2, off, s[0:3], s33 offset:160 ; 4-byte Folded Reload
	buffer_load_dword v3, off, s[0:3], s33 offset:164 ; 4-byte Folded Reload
	s_andn2_b64 s[30:31], s[30:31], exec
	s_waitcnt vmcnt(0)
	v_cmp_ge_u64_e32 vcc, v[0:1], v[2:3]
	s_orn2_b64 vcc, vcc, exec
	s_branch .LBB12_185
.LBB12_190:                             ;   in Loop: Header=BB12_57 Depth=2
	s_or_b64 exec, exec, s[92:93]
	s_and_saveexec_b64 s[92:93], s[94:95]
	s_xor_b64 s[92:93], exec, s[92:93]
	s_cbranch_execz .LBB12_192
; %bb.191:                              ;   in Loop: Header=BB12_57 Depth=2
	v_mov_b32_e32 v0, 1
	ds_write_b32 v0, v0
	s_trap 2
.LBB12_192:                             ;   in Loop: Header=BB12_57 Depth=2
	s_or_b64 exec, exec, s[90:91]
	;;#ASMSTART
	s_wakeup
	;;#ASMEND
.LBB12_193:                             ;   in Loop: Header=BB12_57 Depth=2
	s_or_b64 exec, exec, s[88:89]
.LBB12_194:                             ;   in Loop: Header=BB12_57 Depth=2
	s_andn2_saveexec_b64 s[78:79], s[78:79]
	s_cbranch_execz .LBB12_196
; %bb.195:                              ;   in Loop: Header=BB12_57 Depth=2
	s_waitcnt vmcnt(0) lgkmcnt(0)
	buffer_wbinvl1_vol
	s_barrier
.LBB12_196:                             ;   in Loop: Header=BB12_57 Depth=2
	s_or_b64 exec, exec, s[78:79]
.LBB12_197:                             ;   in Loop: Header=BB12_57 Depth=2
	s_or_b64 exec, exec, s[44:45]
	buffer_load_dword v0, off, s[0:3], s33 offset:156 ; 4-byte Folded Reload
	s_waitcnt vmcnt(0)
	v_and_b32_e32 v0, 16, v0
	s_and_saveexec_b64 s[44:45], s[24:25]
	s_xor_b64 s[44:45], exec, s[44:45]
	s_cbranch_execz .LBB12_202
; %bb.198:                              ;   in Loop: Header=BB12_57 Depth=2
	buffer_load_dword v1, off, s[0:3], s33 offset:156 ; 4-byte Folded Reload
	s_waitcnt vmcnt(0)
	v_and_b32_e32 v0, 16, v1
	v_and_b32_e32 v1, 16, v1
	v_cmp_ne_u32_e32 vcc, 0, v1
	s_and_b64 s[78:79], vcc, s[26:27]
	s_and_saveexec_b64 s[26:27], s[78:79]
	s_cbranch_execz .LBB12_200
; %bb.199:                              ;   in Loop: Header=BB12_57 Depth=2
	v_mov_b32_e32 v0, 1
	s_waitcnt lgkmcnt(0)
	buffer_wbinvl1_vol
.LBB12_200:                             ;   in Loop: Header=BB12_57 Depth=2
	s_or_b64 exec, exec, s[26:27]
	s_andn2_saveexec_b64 s[26:27], s[44:45]
	s_cbranch_execnz .LBB12_203
.LBB12_201:                             ;   in Loop: Header=BB12_57 Depth=2
	s_or_b64 exec, exec, s[26:27]
	v_cmp_ne_u32_e32 vcc, 0, v0
	s_and_saveexec_b64 s[26:27], vcc
	s_cbranch_execz .LBB12_56
	s_branch .LBB12_221
.LBB12_202:                             ;   in Loop: Header=BB12_57 Depth=2
	s_andn2_saveexec_b64 s[26:27], s[44:45]
	s_cbranch_execz .LBB12_201
.LBB12_203:                             ;   in Loop: Header=BB12_57 Depth=2
	s_and_saveexec_b64 s[44:45], s[58:59]
	s_xor_b64 s[44:45], exec, s[44:45]
	s_cbranch_execz .LBB12_218
; %bb.204:                              ;   in Loop: Header=BB12_57 Depth=2
	s_and_saveexec_b64 s[78:79], s[16:17]
	s_cbranch_execz .LBB12_217
; %bb.205:                              ;   in Loop: Header=BB12_57 Depth=2
	s_mov_b64 s[90:91], exec
	v_mbcnt_lo_u32_b32 v1, s90, 0
	v_mbcnt_hi_u32_b32 v1, s91, v1
	v_cmp_eq_u32_e32 vcc, 0, v1
	;;#ASMSTART
	s_waitcnt lgkmcnt(0) vmcnt(0)
	;;#ASMEND
	s_and_saveexec_b64 s[88:89], vcc
	s_cbranch_execz .LBB12_207
; %bb.206:                              ;   in Loop: Header=BB12_57 Depth=2
	buffer_load_dword v2, off, s[0:3], s33 offset:128 ; 4-byte Folded Reload
	buffer_load_dword v3, off, s[0:3], s33 offset:132 ; 4-byte Folded Reload
	s_bcnt1_i32_b64 s47, s[90:91]
	v_mov_b32_e32 v1, s47
	s_waitcnt vmcnt(0) lgkmcnt(0)
	ds_add_u64 v0, v[1:2]
	s_trap 2
.LBB12_207:                             ;   in Loop: Header=BB12_57 Depth=2
	s_or_b64 exec, exec, s[88:89]
	s_trap 2
	ds_read_b64 v[1:2], v0
	s_waitcnt lgkmcnt(0)
	buffer_load_dword v3, off, s[0:3], s33 offset:152 ; 4-byte Folded Reload
	buffer_load_dword v4, off, s[0:3], s33 offset:160 ; 4-byte Folded Reload
	;; [unrolled: 1-line block ×3, first 2 shown]
	s_waitcnt vmcnt(1)
	v_add_co_u32_e32 v4, vcc, v4, v3
	s_waitcnt vmcnt(0)
	v_addc_co_u32_e32 v5, vcc, 0, v5, vcc
	buffer_store_dword v4, off, s[0:3], s33 offset:160 ; 4-byte Folded Spill
	s_nop 0
	buffer_store_dword v5, off, s[0:3], s33 offset:164 ; 4-byte Folded Spill
	v_cmp_lt_u64_e32 vcc, v[1:2], v[4:5]
	s_and_saveexec_b64 s[88:89], vcc
	s_cbranch_execz .LBB12_216
; %bb.208:                              ;   in Loop: Header=BB12_57 Depth=2
	s_mov_b32 s47, 0
	s_mov_b64 s[90:91], 0
                                        ; implicit-def: $sgpr92_sgpr93
                                        ; implicit-def: $sgpr94_sgpr95
	s_branch .LBB12_210
.LBB12_209:                             ;   in Loop: Header=BB12_210 Depth=3
	s_or_b64 exec, exec, s[34:35]
	s_and_b64 vcc, exec, vcc
	s_or_b64 s[90:91], vcc, s[90:91]
	s_andn2_b64 s[92:93], s[92:93], exec
	s_and_b64 vcc, s[94:95], exec
	s_or_b64 s[92:93], s[92:93], vcc
	s_andn2_b64 exec, exec, s[90:91]
	s_cbranch_execz .LBB12_214
.LBB12_210:                             ;   Parent Loop BB12_47 Depth=1
                                        ;     Parent Loop BB12_57 Depth=2
                                        ; =>    This Inner Loop Header: Depth=3
	s_add_i32 s47, s47, 1
	s_cmpk_lg_i32 s47, 0x2710
	s_cselect_b64 s[30:31], -1, 0
	s_and_b64 vcc, exec, s[30:31]
	s_cbranch_vccz .LBB12_212
; %bb.211:                              ;   in Loop: Header=BB12_210 Depth=3
	s_mov_b64 vcc, -1
	s_or_b64 s[94:95], s[94:95], exec
	s_and_saveexec_b64 s[34:35], s[30:31]
	s_cbranch_execz .LBB12_209
	s_branch .LBB12_213
.LBB12_212:                             ;   in Loop: Header=BB12_210 Depth=3
	s_trap 2
	ds_read_b64 v[1:2], v0
	s_andn2_b64 s[30:31], s[30:31], exec
	s_mov_b32 s47, 0
	s_waitcnt vmcnt(0) lgkmcnt(0)
	flat_load_dword v1, v[1:2] glc
	s_waitcnt vmcnt(0) lgkmcnt(0)
	buffer_wbinvl1_vol
	v_cmp_eq_u32_e32 vcc, 0, v1
	s_and_b64 vcc, vcc, exec
	s_or_b64 s[30:31], s[30:31], vcc
	s_mov_b64 vcc, -1
	s_or_b64 s[94:95], s[94:95], exec
	s_and_saveexec_b64 s[34:35], s[30:31]
	s_cbranch_execz .LBB12_209
.LBB12_213:                             ;   in Loop: Header=BB12_210 Depth=3
	s_sleep 1
	s_trap 2
	ds_read_b64 v[1:2], v0
	s_waitcnt lgkmcnt(0)
	buffer_load_dword v3, off, s[0:3], s33 offset:160 ; 4-byte Folded Reload
	buffer_load_dword v4, off, s[0:3], s33 offset:164 ; 4-byte Folded Reload
	s_andn2_b64 s[94:95], s[94:95], exec
	s_waitcnt vmcnt(0)
	v_cmp_ge_u64_e32 vcc, v[1:2], v[3:4]
	s_orn2_b64 vcc, vcc, exec
	s_branch .LBB12_209
.LBB12_214:                             ;   in Loop: Header=BB12_57 Depth=2
	s_or_b64 exec, exec, s[90:91]
	s_and_saveexec_b64 s[90:91], s[92:93]
	s_xor_b64 s[90:91], exec, s[90:91]
	s_cbranch_execz .LBB12_216
; %bb.215:                              ;   in Loop: Header=BB12_57 Depth=2
	v_mov_b32_e32 v1, 1
	ds_write_b32 v0, v1
	s_trap 2
.LBB12_216:                             ;   in Loop: Header=BB12_57 Depth=2
	s_or_b64 exec, exec, s[88:89]
	;;#ASMSTART
	s_wakeup
	;;#ASMEND
.LBB12_217:                             ;   in Loop: Header=BB12_57 Depth=2
	s_or_b64 exec, exec, s[78:79]
.LBB12_218:                             ;   in Loop: Header=BB12_57 Depth=2
	s_andn2_saveexec_b64 s[44:45], s[44:45]
	s_cbranch_execz .LBB12_220
; %bb.219:                              ;   in Loop: Header=BB12_57 Depth=2
	;;#ASMSTART
	s_waitcnt lgkmcnt(0) vmcnt(0)
	;;#ASMEND
	s_waitcnt vmcnt(0) lgkmcnt(0)
	s_barrier
.LBB12_220:                             ;   in Loop: Header=BB12_57 Depth=2
	s_or_b64 exec, exec, s[44:45]
	s_or_b64 exec, exec, s[26:27]
	v_cmp_ne_u32_e32 vcc, 0, v0
	s_and_saveexec_b64 s[26:27], vcc
	s_cbranch_execz .LBB12_56
.LBB12_221:                             ;   in Loop: Header=BB12_57 Depth=2
	s_and_saveexec_b64 s[44:45], s[14:15]
	s_cbranch_execz .LBB12_55
; %bb.222:                              ;   in Loop: Header=BB12_57 Depth=2
	buffer_load_dword v0, off, s[0:3], s33 offset:428 ; 4-byte Folded Reload
	buffer_load_dword v1, off, s[0:3], s33 offset:432 ; 4-byte Folded Reload
	v_mov_b32_e32 v2, 1
	s_waitcnt vmcnt(0)
	flat_store_dword v[0:1], v2
	s_branch .LBB12_55
.LBB12_223:                             ;   in Loop: Header=BB12_47 Depth=1
	s_or_b64 exec, exec, s[40:41]
.LBB12_224:                             ;   in Loop: Header=BB12_47 Depth=1
	s_or_b64 exec, exec, s[28:29]
	v_cmp_gt_i32_e32 vcc, 2, v2
	s_and_saveexec_b64 s[28:29], vcc
	s_cbranch_execz .LBB12_296
; %bb.225:                              ;   in Loop: Header=BB12_47 Depth=1
	v_cmp_eq_u32_e64 s[42:43], 0, v2
	s_mov_b64 s[40:41], 0
	s_branch .LBB12_228
.LBB12_226:                             ;   in Loop: Header=BB12_228 Depth=2
	s_or_b64 exec, exec, s[42:43]
	buffer_load_dword v2, off, s[0:3], s33 offset:256 ; 4-byte Folded Reload
	buffer_load_dword v3, off, s[0:3], s33 offset:260 ; 4-byte Folded Reload
	;; [unrolled: 1-line block ×4, first 2 shown]
	s_waitcnt vmcnt(0)
	v_add_co_u32_e32 v2, vcc, 2, v2
	v_addc_co_u32_e32 v3, vcc, 0, v3, vcc
	buffer_store_dword v2, off, s[0:3], s33 offset:256 ; 4-byte Folded Spill
	s_nop 0
	buffer_store_dword v3, off, s[0:3], s33 offset:260 ; 4-byte Folded Spill
	flat_store_dwordx2 v[0:1], v[2:3]
.LBB12_227:                             ;   in Loop: Header=BB12_228 Depth=2
	s_or_b64 exec, exec, s[26:27]
	v_add_u32_e32 v54, v52, v54
	s_mov_b64 s[42:43], 0
	s_andn2_b64 exec, exec, s[40:41]
	s_cbranch_execz .LBB12_295
.LBB12_228:                             ;   Parent Loop BB12_47 Depth=1
                                        ; =>  This Loop Header: Depth=2
                                        ;       Child Loop BB12_234 Depth 3
                                        ;       Child Loop BB12_258 Depth 3
	;; [unrolled: 1-line block ×3, first 2 shown]
	v_sub_u32_e32 v0, v51, v54
	v_min_i32_e32 v52, v52, v0
	buffer_load_dword v0, off, s[0:3], s33 offset:156 ; 4-byte Folded Reload
	s_waitcnt vmcnt(0)
	v_and_b32_e32 v0, 8, v0
	v_cmp_ne_u32_e32 vcc, 0, v0
	s_and_saveexec_b64 s[44:45], vcc
	s_cbranch_execz .LBB12_250
; %bb.229:                              ;   in Loop: Header=BB12_228 Depth=2
	buffer_load_dword v0, off, s[0:3], s33 offset:136 ; 4-byte Folded Reload
	buffer_load_dword v1, off, s[0:3], s33 offset:140 ; 4-byte Folded Reload
	;; [unrolled: 1-line block ×4, first 2 shown]
	s_waitcnt vmcnt(0)
	v_add_co_u32_e32 v0, vcc, 8, v0
	v_addc_co_u32_e32 v1, vcc, 0, v1, vcc
	v_add_co_u32_e32 v2, vcc, 2, v2
	v_addc_co_u32_e32 v3, vcc, 0, v3, vcc
	v_cmp_lt_u64_e32 vcc, v[0:1], v[2:3]
	s_and_saveexec_b64 s[78:79], vcc
	s_cbranch_execz .LBB12_241
; %bb.230:                              ;   in Loop: Header=BB12_228 Depth=2
	buffer_load_dword v0, off, s[0:3], s33 offset:156 ; 4-byte Folded Reload
	s_mov_b32 s9, 0
	s_mov_b64 s[88:89], 0
                                        ; implicit-def: $sgpr90_sgpr91
                                        ; implicit-def: $sgpr92_sgpr93
                                        ; implicit-def: $sgpr94_sgpr95
	s_waitcnt vmcnt(0)
	v_and_b32_e32 v0, 64, v0
	v_cmp_eq_u32_e32 vcc, 0, v0
	s_branch .LBB12_234
.LBB12_231:                             ;   in Loop: Header=BB12_234 Depth=3
	buffer_load_dword v4, off, s[0:3], s33 offset:136 ; 4-byte Folded Reload
	buffer_load_dword v5, off, s[0:3], s33 offset:140 ; 4-byte Folded Reload
	s_or_b64 s[36:37], s[36:37], exec
	s_waitcnt vmcnt(1)
	v_add_co_u32_e64 v4, s[26:27], 8, v4
	s_waitcnt vmcnt(0)
	v_addc_co_u32_e64 v5, s[26:27], 0, v5, s[26:27]
	v_cmp_ge_u64_e64 s[26:27], v[4:5], v[2:3]
	s_orn2_b64 s[34:35], s[26:27], exec
.LBB12_232:                             ;   in Loop: Header=BB12_234 Depth=3
	s_or_b64 exec, exec, s[48:49]
	s_andn2_b64 s[26:27], s[94:95], exec
	s_and_b64 s[94:95], s[36:37], exec
	s_or_b64 s[94:95], s[26:27], s[94:95]
	s_andn2_b64 s[26:27], s[92:93], exec
	s_and_b64 s[92:93], s[34:35], exec
	s_or_b64 s[92:93], s[26:27], s[92:93]
.LBB12_233:                             ;   in Loop: Header=BB12_234 Depth=3
	s_or_b64 exec, exec, s[30:31]
	s_and_b64 s[26:27], exec, s[92:93]
	s_or_b64 s[88:89], s[26:27], s[88:89]
	s_andn2_b64 s[26:27], s[90:91], exec
	s_and_b64 s[90:91], s[94:95], exec
	s_or_b64 s[90:91], s[26:27], s[90:91]
	s_andn2_b64 exec, exec, s[88:89]
	s_cbranch_execz .LBB12_238
.LBB12_234:                             ;   Parent Loop BB12_47 Depth=1
                                        ;     Parent Loop BB12_228 Depth=2
                                        ; =>    This Inner Loop Header: Depth=3
	s_sleep 1
	buffer_load_dword v0, off, s[0:3], s33 offset:144 ; 4-byte Folded Reload
	buffer_load_dword v1, off, s[0:3], s33 offset:148 ; 4-byte Folded Reload
	s_or_b64 s[94:95], s[94:95], exec
	s_or_b64 s[92:93], s[92:93], exec
	s_waitcnt vmcnt(0)
	flat_load_dwordx2 v[0:1], v[0:1] glc
	s_waitcnt vmcnt(0) lgkmcnt(0)
	buffer_store_dword v0, off, s[0:3], s33 offset:136 ; 4-byte Folded Spill
	s_nop 0
	buffer_store_dword v1, off, s[0:3], s33 offset:140 ; 4-byte Folded Spill
                                        ; implicit-def: $vgpr0
	s_and_saveexec_b64 s[30:31], vcc
	s_cbranch_execz .LBB12_233
; %bb.235:                              ;   in Loop: Header=BB12_234 Depth=3
	s_cmpk_lt_i32 s9, 0x270f
	s_cselect_b64 s[38:39], -1, 0
	s_cmpk_gt_i32 s9, 0x270e
	s_mov_b64 s[34:35], -1
	s_cbranch_scc0 .LBB12_237
; %bb.236:                              ;   in Loop: Header=BB12_234 Depth=3
	s_trap 2
	ds_read_b64 v[0:1], v0
	s_andn2_b64 s[38:39], s[38:39], exec
	s_mov_b32 s9, 0
	s_mov_b64 s[36:37], 0
	s_waitcnt vmcnt(0) lgkmcnt(0)
	flat_load_dword v0, v[0:1] glc
	s_waitcnt vmcnt(0) lgkmcnt(0)
	buffer_wbinvl1_vol
	v_cmp_eq_u32_e64 s[26:27], 0, v0
	s_and_b64 s[26:27], s[26:27], exec
	s_or_b64 s[38:39], s[38:39], s[26:27]
	s_and_saveexec_b64 s[48:49], s[38:39]
	s_cbranch_execz .LBB12_232
	s_branch .LBB12_231
.LBB12_237:                             ;   in Loop: Header=BB12_234 Depth=3
	s_add_i32 s9, s9, 1
	s_mov_b64 s[36:37], -1
                                        ; implicit-def: $vgpr0
	s_and_saveexec_b64 s[48:49], s[38:39]
	s_cbranch_execz .LBB12_232
	s_branch .LBB12_231
.LBB12_238:                             ;   in Loop: Header=BB12_228 Depth=2
	s_or_b64 exec, exec, s[88:89]
	s_xor_b64 s[26:27], s[90:91], -1
	s_and_saveexec_b64 s[88:89], s[26:27]
	s_xor_b64 s[26:27], exec, s[88:89]
	s_cbranch_execz .LBB12_240
; %bb.239:                              ;   in Loop: Header=BB12_228 Depth=2
	ds_write_b32 v0, v0
	s_trap 2
	buffer_load_dword v0, off, s[0:3], s33 offset:156 ; 4-byte Folded Reload
	s_waitcnt vmcnt(0)
	v_or_b32_e32 v0, 64, v0
	buffer_store_dword v0, off, s[0:3], s33 offset:156 ; 4-byte Folded Spill
.LBB12_240:                             ;   in Loop: Header=BB12_228 Depth=2
	s_or_b64 exec, exec, s[26:27]
.LBB12_241:                             ;   in Loop: Header=BB12_228 Depth=2
	s_or_b64 exec, exec, s[78:79]
	;;#ASMSTART
	s_wakeup
	;;#ASMEND
	buffer_load_dword v0, off, s[0:3], s33 offset:156 ; 4-byte Folded Reload
	s_mov_b64 s[26:27], -1
	s_waitcnt vmcnt(0)
	v_and_b32_e32 v0, 0x100, v0
	v_cmp_ne_u32_e32 vcc, 0, v0
	buffer_load_dword v0, off, s[0:3], s33 offset:256 ; 4-byte Folded Reload
	buffer_load_dword v1, off, s[0:3], s33 offset:260 ; 4-byte Folded Reload
	s_waitcnt vmcnt(0)
	v_and_b32_e32 v6, 7, v0
                                        ; implicit-def: $vgpr0_vgpr1
	s_and_saveexec_b64 s[78:79], vcc
	s_cbranch_execz .LBB12_245
; %bb.242:                              ;   in Loop: Header=BB12_228 Depth=2
	buffer_load_dword v7, off, s[0:3], s33 offset:412 ; 4-byte Folded Reload
	buffer_load_dword v8, off, s[0:3], s33 offset:416 ; 4-byte Folded Reload
	;; [unrolled: 1-line block ×4, first 2 shown]
	v_ashrrev_i32_e32 v53, 31, v52
	v_lshlrev_b64 v[0:1], 1, v[52:53]
	s_waitcnt vmcnt(0)
	v_mad_u64_u32 v[4:5], s[26:27], v6, 24, v[7:8]
	flat_store_dwordx2 v[4:5], v[0:1] offset:8
	flat_load_dword v0, v[4:5]
	s_waitcnt vmcnt(0) lgkmcnt(0)
	v_cmp_ne_u32_e32 vcc, 1, v0
	v_cmp_eq_u32_e64 s[26:27], 1, v0
                                        ; implicit-def: $vgpr0_vgpr1
	s_and_saveexec_b64 s[88:89], s[26:27]
	s_cbranch_execz .LBB12_244
; %bb.243:                              ;   in Loop: Header=BB12_228 Depth=2
	flat_load_dword v0, v[4:5] offset:4 glc
	s_waitcnt vmcnt(0) lgkmcnt(0)
	v_ashrrev_i32_e32 v1, 31, v0
	v_lshrrev_b64 v[0:1], 1, v[0:1]
.LBB12_244:                             ;   in Loop: Header=BB12_228 Depth=2
	s_or_b64 exec, exec, s[88:89]
	s_orn2_b64 s[26:27], vcc, exec
.LBB12_245:                             ;   in Loop: Header=BB12_228 Depth=2
	s_or_b64 exec, exec, s[78:79]
	s_and_saveexec_b64 s[78:79], s[26:27]
	s_cbranch_execz .LBB12_247
; %bb.246:                              ;   in Loop: Header=BB12_228 Depth=2
	buffer_load_dword v0, off, s[0:3], s33 offset:436 ; 4-byte Folded Reload
	s_waitcnt vmcnt(0)
	v_mad_i64_i32 v[0:1], s[26:27], v6, v0, 0
.LBB12_247:                             ;   in Loop: Header=BB12_228 Depth=2
	s_or_b64 exec, exec, s[78:79]
	buffer_load_dword v4, off, s[0:3], s33 offset:404 ; 4-byte Folded Reload
	buffer_load_dword v5, off, s[0:3], s33 offset:408 ; 4-byte Folded Reload
	v_lshlrev_b64 v[0:1], 1, v[0:1]
	s_waitcnt vmcnt(0)
	v_add_co_u32_e32 v0, vcc, v4, v0
	v_addc_co_u32_e32 v1, vcc, v5, v1, vcc
	ds_write_b64 v0, v[0:1] offset:784
	buffer_load_dword v0, off, s[0:3], s33 offset:156 ; 4-byte Folded Reload
	s_waitcnt vmcnt(0)
	v_and_b32_e32 v0, 0x2000, v0
	v_cmp_ne_u32_e32 vcc, 0, v0
	s_and_saveexec_b64 s[26:27], vcc
	s_cbranch_execz .LBB12_249
; %bb.248:                              ;   in Loop: Header=BB12_228 Depth=2
	ds_read_b64 v[0:1], v0 offset:872
	s_waitcnt lgkmcnt(0)
	v_add_co_u32_e32 v0, vcc, 1, v0
	v_addc_co_u32_e32 v1, vcc, 0, v1, vcc
	ds_write_b64 v0, v[0:1] offset:872
.LBB12_249:                             ;   in Loop: Header=BB12_228 Depth=2
	s_or_b64 exec, exec, s[26:27]
	buffer_store_dword v2, off, s[0:3], s33 offset:256 ; 4-byte Folded Spill
	s_nop 0
	buffer_store_dword v3, off, s[0:3], s33 offset:260 ; 4-byte Folded Spill
.LBB12_250:                             ;   in Loop: Header=BB12_228 Depth=2
	s_or_b64 exec, exec, s[44:45]
	s_xor_b64 s[26:27], s[42:43], -1
	s_and_b64 s[26:27], exec, s[26:27]
	s_or_b64 s[40:41], s[26:27], s[40:41]
	s_and_saveexec_b64 s[26:27], s[10:11]
	s_cbranch_execz .LBB12_269
; %bb.251:                              ;   in Loop: Header=BB12_228 Depth=2
	s_and_saveexec_b64 s[42:43], s[58:59]
	s_xor_b64 s[42:43], exec, s[42:43]
	s_cbranch_execz .LBB12_266
; %bb.252:                              ;   in Loop: Header=BB12_228 Depth=2
	s_and_saveexec_b64 s[44:45], s[16:17]
	s_cbranch_execz .LBB12_265
; %bb.253:                              ;   in Loop: Header=BB12_228 Depth=2
	s_mov_b64 s[88:89], exec
	v_mbcnt_lo_u32_b32 v0, s88, 0
	v_mbcnt_hi_u32_b32 v0, s89, v0
	v_cmp_eq_u32_e32 vcc, 0, v0
	s_waitcnt vmcnt(0) lgkmcnt(0)
	buffer_wbinvl1_vol
	s_and_saveexec_b64 s[78:79], vcc
	s_cbranch_execz .LBB12_255
; %bb.254:                              ;   in Loop: Header=BB12_228 Depth=2
	buffer_load_dword v1, off, s[0:3], s33 offset:128 ; 4-byte Folded Reload
	buffer_load_dword v2, off, s[0:3], s33 offset:132 ; 4-byte Folded Reload
	s_bcnt1_i32_b64 s9, s[88:89]
	v_mov_b32_e32 v0, s9
	s_waitcnt vmcnt(1)
	ds_add_u64 v0, v[0:1]
	s_trap 2
.LBB12_255:                             ;   in Loop: Header=BB12_228 Depth=2
	s_or_b64 exec, exec, s[78:79]
	s_trap 2
	ds_read_b64 v[0:1], v0
	s_waitcnt lgkmcnt(0)
	buffer_load_dword v2, off, s[0:3], s33 offset:152 ; 4-byte Folded Reload
	buffer_load_dword v3, off, s[0:3], s33 offset:160 ; 4-byte Folded Reload
	;; [unrolled: 1-line block ×3, first 2 shown]
	s_waitcnt vmcnt(1)
	v_add_co_u32_e32 v3, vcc, v3, v2
	s_waitcnt vmcnt(0)
	v_addc_co_u32_e32 v4, vcc, 0, v4, vcc
	buffer_store_dword v3, off, s[0:3], s33 offset:160 ; 4-byte Folded Spill
	s_nop 0
	buffer_store_dword v4, off, s[0:3], s33 offset:164 ; 4-byte Folded Spill
	v_cmp_lt_u64_e32 vcc, v[0:1], v[3:4]
	s_and_saveexec_b64 s[78:79], vcc
	s_cbranch_execz .LBB12_264
; %bb.256:                              ;   in Loop: Header=BB12_228 Depth=2
	s_mov_b32 s9, 0
	s_mov_b64 s[88:89], 0
                                        ; implicit-def: $sgpr90_sgpr91
                                        ; implicit-def: $sgpr92_sgpr93
	s_branch .LBB12_258
.LBB12_257:                             ;   in Loop: Header=BB12_258 Depth=3
	s_or_b64 exec, exec, s[30:31]
	s_and_b64 s[94:95], exec, vcc
	s_or_b64 s[88:89], s[94:95], s[88:89]
	s_andn2_b64 s[90:91], s[90:91], exec
	s_and_b64 s[94:95], s[92:93], exec
	s_or_b64 s[90:91], s[90:91], s[94:95]
	s_andn2_b64 exec, exec, s[88:89]
	s_cbranch_execz .LBB12_262
.LBB12_258:                             ;   Parent Loop BB12_47 Depth=1
                                        ;     Parent Loop BB12_228 Depth=2
                                        ; =>    This Inner Loop Header: Depth=3
	s_add_i32 s9, s9, 1
	s_cmpk_lg_i32 s9, 0x2710
	s_cselect_b64 s[94:95], -1, 0
	s_and_b64 vcc, exec, s[94:95]
	s_cbranch_vccz .LBB12_260
; %bb.259:                              ;   in Loop: Header=BB12_258 Depth=3
	s_mov_b64 vcc, -1
	s_or_b64 s[92:93], s[92:93], exec
	s_and_saveexec_b64 s[30:31], s[94:95]
	s_cbranch_execz .LBB12_257
	s_branch .LBB12_261
.LBB12_260:                             ;   in Loop: Header=BB12_258 Depth=3
	s_trap 2
	ds_read_b64 v[0:1], v0
	s_andn2_b64 s[94:95], s[94:95], exec
	s_mov_b32 s9, 0
	s_waitcnt vmcnt(0) lgkmcnt(0)
	flat_load_dword v0, v[0:1] glc
	s_waitcnt vmcnt(0) lgkmcnt(0)
	buffer_wbinvl1_vol
	v_cmp_eq_u32_e32 vcc, 0, v0
	s_and_b64 vcc, vcc, exec
	s_or_b64 s[94:95], s[94:95], vcc
	s_mov_b64 vcc, -1
	s_or_b64 s[92:93], s[92:93], exec
	s_and_saveexec_b64 s[30:31], s[94:95]
	s_cbranch_execz .LBB12_257
.LBB12_261:                             ;   in Loop: Header=BB12_258 Depth=3
	s_sleep 1
	s_trap 2
	ds_read_b64 v[0:1], v0
	s_waitcnt lgkmcnt(0)
	buffer_load_dword v2, off, s[0:3], s33 offset:160 ; 4-byte Folded Reload
	buffer_load_dword v3, off, s[0:3], s33 offset:164 ; 4-byte Folded Reload
	s_andn2_b64 s[92:93], s[92:93], exec
	s_waitcnt vmcnt(0)
	v_cmp_ge_u64_e32 vcc, v[0:1], v[2:3]
	s_orn2_b64 vcc, vcc, exec
	s_branch .LBB12_257
.LBB12_262:                             ;   in Loop: Header=BB12_228 Depth=2
	s_or_b64 exec, exec, s[88:89]
	s_and_saveexec_b64 s[88:89], s[90:91]
	s_xor_b64 s[88:89], exec, s[88:89]
	s_cbranch_execz .LBB12_264
; %bb.263:                              ;   in Loop: Header=BB12_228 Depth=2
	v_mov_b32_e32 v0, 1
	ds_write_b32 v0, v0
	s_trap 2
.LBB12_264:                             ;   in Loop: Header=BB12_228 Depth=2
	s_or_b64 exec, exec, s[78:79]
	;;#ASMSTART
	s_wakeup
	;;#ASMEND
.LBB12_265:                             ;   in Loop: Header=BB12_228 Depth=2
	s_or_b64 exec, exec, s[44:45]
.LBB12_266:                             ;   in Loop: Header=BB12_228 Depth=2
	s_andn2_saveexec_b64 s[42:43], s[42:43]
	s_cbranch_execz .LBB12_268
; %bb.267:                              ;   in Loop: Header=BB12_228 Depth=2
	s_waitcnt vmcnt(0) lgkmcnt(0)
	buffer_wbinvl1_vol
	s_barrier
.LBB12_268:                             ;   in Loop: Header=BB12_228 Depth=2
	s_or_b64 exec, exec, s[42:43]
.LBB12_269:                             ;   in Loop: Header=BB12_228 Depth=2
	s_or_b64 exec, exec, s[26:27]
	buffer_load_dword v0, off, s[0:3], s33 offset:156 ; 4-byte Folded Reload
	s_waitcnt vmcnt(0)
	v_and_b32_e32 v0, 16, v0
	s_and_saveexec_b64 s[26:27], s[24:25]
	s_xor_b64 s[26:27], exec, s[26:27]
	s_cbranch_execz .LBB12_274
; %bb.270:                              ;   in Loop: Header=BB12_228 Depth=2
	s_trap 2
	buffer_load_dword v1, off, s[0:3], s33 offset:156 ; 4-byte Folded Reload
	ds_read_b32 v0, v0
	v_cmp_lt_i32_e32 vcc, 0, v52
	s_waitcnt lgkmcnt(0)
	v_readfirstlane_b32 s9, v0
	s_cmp_eq_u32 s9, 0
	s_cselect_b64 s[42:43], -1, 0
	s_and_b64 s[42:43], vcc, s[42:43]
	s_waitcnt vmcnt(0)
	v_and_b32_e32 v0, 16, v1
	v_and_b32_e32 v1, 16, v1
	v_cmp_ne_u32_e32 vcc, 0, v1
	s_and_b64 s[44:45], vcc, s[42:43]
	s_and_saveexec_b64 s[42:43], s[44:45]
	s_cbranch_execz .LBB12_272
; %bb.271:                              ;   in Loop: Header=BB12_228 Depth=2
	v_mov_b32_e32 v0, 1
	buffer_wbinvl1_vol
.LBB12_272:                             ;   in Loop: Header=BB12_228 Depth=2
	s_or_b64 exec, exec, s[42:43]
	s_andn2_saveexec_b64 s[26:27], s[26:27]
	s_cbranch_execnz .LBB12_275
.LBB12_273:                             ;   in Loop: Header=BB12_228 Depth=2
	s_or_b64 exec, exec, s[26:27]
	v_cmp_ne_u32_e32 vcc, 0, v0
	s_and_saveexec_b64 s[26:27], vcc
	s_cbranch_execz .LBB12_227
	s_branch .LBB12_293
.LBB12_274:                             ;   in Loop: Header=BB12_228 Depth=2
	s_andn2_saveexec_b64 s[26:27], s[26:27]
	s_cbranch_execz .LBB12_273
.LBB12_275:                             ;   in Loop: Header=BB12_228 Depth=2
	s_and_saveexec_b64 s[42:43], s[58:59]
	s_xor_b64 s[42:43], exec, s[42:43]
	s_cbranch_execz .LBB12_290
; %bb.276:                              ;   in Loop: Header=BB12_228 Depth=2
	s_and_saveexec_b64 s[44:45], s[16:17]
	s_cbranch_execz .LBB12_289
; %bb.277:                              ;   in Loop: Header=BB12_228 Depth=2
	s_mov_b64 s[88:89], exec
	v_mbcnt_lo_u32_b32 v1, s88, 0
	v_mbcnt_hi_u32_b32 v1, s89, v1
	v_cmp_eq_u32_e32 vcc, 0, v1
	;;#ASMSTART
	s_waitcnt lgkmcnt(0) vmcnt(0)
	;;#ASMEND
	s_and_saveexec_b64 s[78:79], vcc
	s_cbranch_execz .LBB12_279
; %bb.278:                              ;   in Loop: Header=BB12_228 Depth=2
	buffer_load_dword v2, off, s[0:3], s33 offset:128 ; 4-byte Folded Reload
	buffer_load_dword v3, off, s[0:3], s33 offset:132 ; 4-byte Folded Reload
	s_bcnt1_i32_b64 s9, s[88:89]
	v_mov_b32_e32 v1, s9
	s_waitcnt vmcnt(0) lgkmcnt(0)
	ds_add_u64 v0, v[1:2]
	s_trap 2
.LBB12_279:                             ;   in Loop: Header=BB12_228 Depth=2
	s_or_b64 exec, exec, s[78:79]
	s_trap 2
	ds_read_b64 v[1:2], v0
	s_waitcnt lgkmcnt(0)
	buffer_load_dword v3, off, s[0:3], s33 offset:152 ; 4-byte Folded Reload
	buffer_load_dword v4, off, s[0:3], s33 offset:160 ; 4-byte Folded Reload
	buffer_load_dword v5, off, s[0:3], s33 offset:164 ; 4-byte Folded Reload
	s_waitcnt vmcnt(1)
	v_add_co_u32_e32 v4, vcc, v4, v3
	s_waitcnt vmcnt(0)
	v_addc_co_u32_e32 v5, vcc, 0, v5, vcc
	buffer_store_dword v4, off, s[0:3], s33 offset:160 ; 4-byte Folded Spill
	s_nop 0
	buffer_store_dword v5, off, s[0:3], s33 offset:164 ; 4-byte Folded Spill
	v_cmp_lt_u64_e32 vcc, v[1:2], v[4:5]
	s_and_saveexec_b64 s[78:79], vcc
	s_cbranch_execz .LBB12_288
; %bb.280:                              ;   in Loop: Header=BB12_228 Depth=2
	s_mov_b32 s9, 0
	s_mov_b64 s[88:89], 0
                                        ; implicit-def: $sgpr90_sgpr91
                                        ; implicit-def: $sgpr92_sgpr93
	s_branch .LBB12_282
.LBB12_281:                             ;   in Loop: Header=BB12_282 Depth=3
	s_or_b64 exec, exec, s[30:31]
	s_and_b64 s[94:95], exec, vcc
	s_or_b64 s[88:89], s[94:95], s[88:89]
	s_andn2_b64 s[90:91], s[90:91], exec
	s_and_b64 s[94:95], s[92:93], exec
	s_or_b64 s[90:91], s[90:91], s[94:95]
	s_andn2_b64 exec, exec, s[88:89]
	s_cbranch_execz .LBB12_286
.LBB12_282:                             ;   Parent Loop BB12_47 Depth=1
                                        ;     Parent Loop BB12_228 Depth=2
                                        ; =>    This Inner Loop Header: Depth=3
	s_add_i32 s9, s9, 1
	s_cmpk_lg_i32 s9, 0x2710
	s_cselect_b64 s[94:95], -1, 0
	s_and_b64 vcc, exec, s[94:95]
	s_cbranch_vccz .LBB12_284
; %bb.283:                              ;   in Loop: Header=BB12_282 Depth=3
	s_mov_b64 vcc, -1
	s_or_b64 s[92:93], s[92:93], exec
	s_and_saveexec_b64 s[30:31], s[94:95]
	s_cbranch_execz .LBB12_281
	s_branch .LBB12_285
.LBB12_284:                             ;   in Loop: Header=BB12_282 Depth=3
	s_trap 2
	ds_read_b64 v[1:2], v0
	s_andn2_b64 s[94:95], s[94:95], exec
	s_mov_b32 s9, 0
	s_waitcnt vmcnt(0) lgkmcnt(0)
	flat_load_dword v1, v[1:2] glc
	s_waitcnt vmcnt(0) lgkmcnt(0)
	buffer_wbinvl1_vol
	v_cmp_eq_u32_e32 vcc, 0, v1
	s_and_b64 vcc, vcc, exec
	s_or_b64 s[94:95], s[94:95], vcc
	s_mov_b64 vcc, -1
	s_or_b64 s[92:93], s[92:93], exec
	s_and_saveexec_b64 s[30:31], s[94:95]
	s_cbranch_execz .LBB12_281
.LBB12_285:                             ;   in Loop: Header=BB12_282 Depth=3
	s_sleep 1
	s_trap 2
	ds_read_b64 v[1:2], v0
	s_waitcnt lgkmcnt(0)
	buffer_load_dword v3, off, s[0:3], s33 offset:160 ; 4-byte Folded Reload
	buffer_load_dword v4, off, s[0:3], s33 offset:164 ; 4-byte Folded Reload
	s_andn2_b64 s[92:93], s[92:93], exec
	s_waitcnt vmcnt(0)
	v_cmp_ge_u64_e32 vcc, v[1:2], v[3:4]
	s_orn2_b64 vcc, vcc, exec
	s_branch .LBB12_281
.LBB12_286:                             ;   in Loop: Header=BB12_228 Depth=2
	s_or_b64 exec, exec, s[88:89]
	s_and_saveexec_b64 s[88:89], s[90:91]
	s_xor_b64 s[88:89], exec, s[88:89]
	s_cbranch_execz .LBB12_288
; %bb.287:                              ;   in Loop: Header=BB12_228 Depth=2
	v_mov_b32_e32 v1, 1
	ds_write_b32 v0, v1
	s_trap 2
.LBB12_288:                             ;   in Loop: Header=BB12_228 Depth=2
	s_or_b64 exec, exec, s[78:79]
	;;#ASMSTART
	s_wakeup
	;;#ASMEND
.LBB12_289:                             ;   in Loop: Header=BB12_228 Depth=2
	s_or_b64 exec, exec, s[44:45]
.LBB12_290:                             ;   in Loop: Header=BB12_228 Depth=2
	s_andn2_saveexec_b64 s[42:43], s[42:43]
	s_cbranch_execz .LBB12_292
; %bb.291:                              ;   in Loop: Header=BB12_228 Depth=2
	;;#ASMSTART
	s_waitcnt lgkmcnt(0) vmcnt(0)
	;;#ASMEND
	s_waitcnt vmcnt(0) lgkmcnt(0)
	s_barrier
.LBB12_292:                             ;   in Loop: Header=BB12_228 Depth=2
	s_or_b64 exec, exec, s[42:43]
	s_or_b64 exec, exec, s[26:27]
	v_cmp_ne_u32_e32 vcc, 0, v0
	s_and_saveexec_b64 s[26:27], vcc
	s_cbranch_execz .LBB12_227
.LBB12_293:                             ;   in Loop: Header=BB12_228 Depth=2
	s_and_saveexec_b64 s[42:43], s[14:15]
	s_cbranch_execz .LBB12_226
; %bb.294:                              ;   in Loop: Header=BB12_228 Depth=2
	buffer_load_dword v0, off, s[0:3], s33 offset:428 ; 4-byte Folded Reload
	buffer_load_dword v1, off, s[0:3], s33 offset:432 ; 4-byte Folded Reload
	v_mov_b32_e32 v2, 1
	s_waitcnt vmcnt(0)
	flat_store_dword v[0:1], v2
	s_branch .LBB12_226
.LBB12_295:                             ;   in Loop: Header=BB12_47 Depth=1
	s_or_b64 exec, exec, s[40:41]
.LBB12_296:                             ;   in Loop: Header=BB12_47 Depth=1
	s_or_b64 exec, exec, s[28:29]
	v_cndmask_b32_e64 v0, 0, 1, s[62:63]
	v_cmp_ne_u32_e64 s[26:27], 1, v0
	s_andn2_b64 vcc, exec, s[62:63]
	s_cbranch_vccnz .LBB12_1242
; %bb.297:                              ;   in Loop: Header=BB12_47 Depth=1
	s_mov_b32 s47, 2
	s_branch .LBB12_300
.LBB12_298:                             ;   in Loop: Header=BB12_300 Depth=2
	s_or_b64 exec, exec, s[42:43]
.LBB12_299:                             ;   in Loop: Header=BB12_300 Depth=2
	s_or_b64 exec, exec, s[40:41]
	s_add_i32 s47, s47, 1
	s_cmp_eq_u32 s47, s52
	s_cbranch_scc1 .LBB12_1242
.LBB12_300:                             ;   Parent Loop BB12_47 Depth=1
                                        ; =>  This Loop Header: Depth=2
                                        ;       Child Loop BB12_303 Depth 3
                                        ;         Child Loop BB12_311 Depth 4
                                        ;         Child Loop BB12_339 Depth 4
	;; [unrolled: 1-line block ×5, first 2 shown]
                                        ;           Child Loop BB12_786 Depth 5
                                        ;           Child Loop BB12_823 Depth 5
                                        ;         Child Loop BB12_900 Depth 4
                                        ;         Child Loop BB12_1103 Depth 4
                                        ;           Child Loop BB12_1104 Depth 5
                                        ;           Child Loop BB12_1113 Depth 5
                                        ;         Child Loop BB12_1132 Depth 4
                                        ;         Child Loop BB12_1151 Depth 4
                                        ;       Child Loop BB12_1170 Depth 3
                                        ;         Child Loop BB12_1176 Depth 4
                                        ;         Child Loop BB12_1204 Depth 4
	;; [unrolled: 1-line block ×3, first 2 shown]
	buffer_load_dword v4, off, s[0:3], s33 offset:564 ; 4-byte Folded Reload
	buffer_load_dword v5, off, s[0:3], s33 offset:568 ; 4-byte Folded Reload
	s_sub_i32 s9, s67, s47
	s_cmp_ge_i32 s9, s52
	s_cselect_b32 s28, s52, 0
	s_sub_i32 s9, s9, s28
	s_ashr_i32 s40, s9, 31
	v_mov_b32_e32 v54, 0
	s_waitcnt vmcnt(0)
	v_mad_u64_u32 v[0:1], s[28:29], v4, s9, 0
	v_mul_lo_u32 v2, v5, s9
	v_mul_lo_u32 v3, v4, s40
	v_add3_u32 v1, v1, v3, v2
	buffer_load_dword v2, off, s[0:3], s33 offset:556 ; 4-byte Folded Reload
	buffer_load_dword v3, off, s[0:3], s33 offset:560 ; 4-byte Folded Reload
	s_waitcnt vmcnt(0)
	v_sub_co_u32_e32 v2, vcc, v2, v0
	v_subb_co_u32_e32 v3, vcc, v3, v1, vcc
	v_cmp_lt_i64_e32 vcc, v[4:5], v[2:3]
	v_cndmask_b32_e32 v2, v2, v4, vcc
	v_max_i32_e32 v48, 0, v2
	v_add_u32_e32 v3, 31, v48
	v_lshrrev_b32_e32 v3, 1, v3
	v_and_b32_e32 v3, 0x3ffffff0, v3
	v_cmp_lt_i32_e32 vcc, 0, v2
	v_max_i32_e32 v51, s70, v3
	s_and_b64 s[28:29], s[74:75], vcc
	v_mov_b32_e32 v2, 0
	s_and_saveexec_b64 s[44:45], s[28:29]
	s_cbranch_execz .LBB12_1167
; %bb.301:                              ;   in Loop: Header=BB12_300 Depth=2
	s_mov_b32 s77, 1
	s_mov_b64 s[88:89], -1
	v_mov_b32_e32 v54, 0
	v_lshlrev_b64 v[60:61], 1, v[0:1]
	s_mov_b64 s[78:79], 0
	buffer_store_dword v48, off, s[0:3], s33 offset:536 ; 4-byte Folded Spill
	buffer_store_dword v60, off, s[0:3], s33 offset:544 ; 4-byte Folded Spill
	s_nop 0
	buffer_store_dword v61, off, s[0:3], s33 offset:548 ; 4-byte Folded Spill
	s_branch .LBB12_303
.LBB12_302:                             ;   in Loop: Header=BB12_303 Depth=3
	s_or_b64 exec, exec, s[28:29]
	v_add_u32_e32 v54, v51, v54
	v_cmp_ge_i32_e32 vcc, v54, v48
	s_xor_b64 s[28:29], s[88:89], -1
	s_or_b64 s[28:29], s[28:29], vcc
	s_and_b64 s[28:29], exec, s[28:29]
	s_or_b64 s[78:79], s[28:29], s[78:79]
	s_mov_b64 s[88:89], 0
	v_mov_b32_e32 v2, s77
	s_mov_b32 s77, 2
	s_andn2_b64 exec, exec, s[78:79]
	s_cbranch_execz .LBB12_1166
.LBB12_303:                             ;   Parent Loop BB12_47 Depth=1
                                        ;     Parent Loop BB12_300 Depth=2
                                        ; =>    This Loop Header: Depth=3
                                        ;         Child Loop BB12_311 Depth 4
                                        ;         Child Loop BB12_339 Depth 4
	;; [unrolled: 1-line block ×5, first 2 shown]
                                        ;           Child Loop BB12_786 Depth 5
                                        ;           Child Loop BB12_823 Depth 5
                                        ;         Child Loop BB12_900 Depth 4
                                        ;         Child Loop BB12_1103 Depth 4
                                        ;           Child Loop BB12_1104 Depth 5
                                        ;           Child Loop BB12_1113 Depth 5
                                        ;         Child Loop BB12_1132 Depth 4
                                        ;         Child Loop BB12_1151 Depth 4
	s_and_saveexec_b64 s[28:29], s[4:5]
	s_cbranch_execz .LBB12_305
; %bb.304:                              ;   in Loop: Header=BB12_303 Depth=3
	s_trap 2
	ds_read_b64 v[0:1], v0
	buffer_load_dword v2, off, s[0:3], s33 offset:472 ; 4-byte Folded Reload
	buffer_load_dword v3, off, s[0:3], s33 offset:476 ; 4-byte Folded Reload
	v_ashrrev_i32_e32 v55, 31, v54
	s_waitcnt vmcnt(0)
	v_lshlrev_b64 v[2:3], 1, v[2:3]
	s_waitcnt lgkmcnt(0)
	v_add_co_u32_e32 v0, vcc, v0, v2
	v_addc_co_u32_e32 v1, vcc, v1, v3, vcc
	v_add_co_u32_e32 v2, vcc, v0, v60
	v_addc_co_u32_e32 v3, vcc, v1, v61, vcc
	v_lshlrev_b64 v[0:1], 1, v[54:55]
	v_add_co_u32_e32 v0, vcc, v2, v0
	v_addc_co_u32_e32 v1, vcc, v3, v1, vcc
	ds_write_b64 v0, v[0:1]
	buffer_load_dword v0, off, s[0:3], s33 offset:128 ; 4-byte Folded Reload
	buffer_load_dword v1, off, s[0:3], s33 offset:132 ; 4-byte Folded Reload
	s_waitcnt vmcnt(0)
	v_mov_b32_e32 v1, v0
	v_mov_b32_e32 v2, v0
	buffer_store_dword v0, off, s[0:3], s33 offset:128 ; 4-byte Folded Spill
	s_nop 0
	buffer_store_dword v1, off, s[0:3], s33 offset:132 ; 4-byte Folded Spill
	ds_write_b64 v0, v[1:2]
.LBB12_305:                             ;   in Loop: Header=BB12_303 Depth=3
	s_or_b64 exec, exec, s[28:29]
	v_sub_u32_e32 v0, v48, v54
	v_min_i32_e32 v51, v51, v0
	buffer_load_dword v0, off, s[0:3], s33 offset:156 ; 4-byte Folded Reload
	s_waitcnt vmcnt(0)
	v_and_b32_e32 v0, 12, v0
	v_cmp_ne_u32_e32 vcc, 0, v0
	s_and_saveexec_b64 s[40:41], vcc
	s_cbranch_execz .LBB12_331
; %bb.306:                              ;   in Loop: Header=BB12_303 Depth=3
	buffer_load_dword v0, off, s[0:3], s33 offset:156 ; 4-byte Folded Reload
	s_waitcnt vmcnt(0)
	v_and_b32_e32 v8, 8, v0
	buffer_load_dword v0, off, s[0:3], s33 offset:136 ; 4-byte Folded Reload
	buffer_load_dword v1, off, s[0:3], s33 offset:140 ; 4-byte Folded Reload
	s_waitcnt vmcnt(0)
	v_add_co_u32_e32 v2, vcc, v0, v8
	v_addc_co_u32_e32 v3, vcc, 0, v1, vcc
	buffer_load_dword v0, off, s[0:3], s33 offset:256 ; 4-byte Folded Reload
	buffer_load_dword v1, off, s[0:3], s33 offset:260 ; 4-byte Folded Reload
	s_waitcnt vmcnt(0)
	v_add_co_u32_e32 v0, vcc, 2, v0
	v_addc_co_u32_e32 v1, vcc, 0, v1, vcc
	v_cmp_lt_u64_e32 vcc, v[2:3], v[0:1]
	s_and_saveexec_b64 s[42:43], vcc
	s_cbranch_execz .LBB12_318
; %bb.307:                              ;   in Loop: Header=BB12_303 Depth=3
	buffer_load_dword v2, off, s[0:3], s33 offset:156 ; 4-byte Folded Reload
	s_mov_b32 s9, 0
	s_mov_b64 s[90:91], 0
                                        ; implicit-def: $sgpr92_sgpr93
                                        ; implicit-def: $sgpr94_sgpr95
                                        ; implicit-def: $sgpr30_sgpr31
	s_waitcnt vmcnt(0)
	v_and_b32_e32 v2, 64, v2
	v_cmp_eq_u32_e32 vcc, 0, v2
	s_branch .LBB12_311
.LBB12_308:                             ;   in Loop: Header=BB12_311 Depth=4
	buffer_load_dword v3, off, s[0:3], s33 offset:136 ; 4-byte Folded Reload
	buffer_load_dword v4, off, s[0:3], s33 offset:140 ; 4-byte Folded Reload
	s_or_b64 s[38:39], s[38:39], exec
	s_waitcnt vmcnt(1)
	v_add_co_u32_e64 v3, s[28:29], v3, v8
	s_waitcnt vmcnt(0)
	v_addc_co_u32_e64 v4, s[28:29], 0, v4, s[28:29]
	v_cmp_ge_u64_e64 s[28:29], v[3:4], v[0:1]
	s_orn2_b64 s[36:37], s[28:29], exec
.LBB12_309:                             ;   in Loop: Header=BB12_311 Depth=4
	s_or_b64 exec, exec, s[50:51]
	s_andn2_b64 s[28:29], s[30:31], exec
	s_and_b64 s[30:31], s[38:39], exec
	s_or_b64 s[30:31], s[28:29], s[30:31]
	s_andn2_b64 s[28:29], s[94:95], exec
	s_and_b64 s[94:95], s[36:37], exec
	s_or_b64 s[94:95], s[28:29], s[94:95]
.LBB12_310:                             ;   in Loop: Header=BB12_311 Depth=4
	s_or_b64 exec, exec, s[34:35]
	s_and_b64 s[28:29], exec, s[94:95]
	s_or_b64 s[90:91], s[28:29], s[90:91]
	s_andn2_b64 s[28:29], s[92:93], exec
	s_and_b64 s[92:93], s[30:31], exec
	s_or_b64 s[92:93], s[28:29], s[92:93]
	s_andn2_b64 exec, exec, s[90:91]
	s_cbranch_execz .LBB12_315
.LBB12_311:                             ;   Parent Loop BB12_47 Depth=1
                                        ;     Parent Loop BB12_300 Depth=2
                                        ;       Parent Loop BB12_303 Depth=3
                                        ; =>      This Inner Loop Header: Depth=4
	s_sleep 1
	buffer_load_dword v2, off, s[0:3], s33 offset:144 ; 4-byte Folded Reload
	buffer_load_dword v3, off, s[0:3], s33 offset:148 ; 4-byte Folded Reload
	s_or_b64 s[30:31], s[30:31], exec
	s_or_b64 s[94:95], s[94:95], exec
	s_waitcnt vmcnt(0)
	flat_load_dwordx2 v[2:3], v[2:3] glc
	s_waitcnt vmcnt(0) lgkmcnt(0)
	buffer_store_dword v2, off, s[0:3], s33 offset:136 ; 4-byte Folded Spill
	s_nop 0
	buffer_store_dword v3, off, s[0:3], s33 offset:140 ; 4-byte Folded Spill
                                        ; implicit-def: $vgpr2
	s_and_saveexec_b64 s[34:35], vcc
	s_cbranch_execz .LBB12_310
; %bb.312:                              ;   in Loop: Header=BB12_311 Depth=4
	s_cmpk_lt_i32 s9, 0x270f
	s_cselect_b64 s[48:49], -1, 0
	s_cmpk_gt_i32 s9, 0x270e
	s_mov_b64 s[36:37], -1
	s_cbranch_scc0 .LBB12_314
; %bb.313:                              ;   in Loop: Header=BB12_311 Depth=4
	s_trap 2
	ds_read_b64 v[2:3], v0
	s_andn2_b64 s[48:49], s[48:49], exec
	s_mov_b32 s9, 0
	s_mov_b64 s[38:39], 0
	s_waitcnt vmcnt(0) lgkmcnt(0)
	flat_load_dword v2, v[2:3] glc
	s_waitcnt vmcnt(0) lgkmcnt(0)
	buffer_wbinvl1_vol
	v_cmp_eq_u32_e64 s[28:29], 0, v2
	s_and_b64 s[28:29], s[28:29], exec
	s_or_b64 s[48:49], s[48:49], s[28:29]
	s_and_saveexec_b64 s[50:51], s[48:49]
	s_cbranch_execz .LBB12_309
	s_branch .LBB12_308
.LBB12_314:                             ;   in Loop: Header=BB12_311 Depth=4
	s_add_i32 s9, s9, 1
	s_mov_b64 s[38:39], -1
                                        ; implicit-def: $vgpr2
	s_and_saveexec_b64 s[50:51], s[48:49]
	s_cbranch_execz .LBB12_309
	s_branch .LBB12_308
.LBB12_315:                             ;   in Loop: Header=BB12_303 Depth=3
	s_or_b64 exec, exec, s[90:91]
	s_xor_b64 s[28:29], s[92:93], -1
	s_and_saveexec_b64 s[90:91], s[28:29]
	s_xor_b64 s[28:29], exec, s[90:91]
	s_cbranch_execz .LBB12_317
; %bb.316:                              ;   in Loop: Header=BB12_303 Depth=3
	ds_write_b32 v0, v2
	s_trap 2
	buffer_load_dword v2, off, s[0:3], s33 offset:156 ; 4-byte Folded Reload
	s_waitcnt vmcnt(0)
	v_or_b32_e32 v2, 64, v2
	buffer_store_dword v2, off, s[0:3], s33 offset:156 ; 4-byte Folded Spill
.LBB12_317:                             ;   in Loop: Header=BB12_303 Depth=3
	s_or_b64 exec, exec, s[28:29]
.LBB12_318:                             ;   in Loop: Header=BB12_303 Depth=3
	s_or_b64 exec, exec, s[42:43]
	;;#ASMSTART
	s_wakeup
	;;#ASMEND
	buffer_load_dword v2, off, s[0:3], s33 offset:156 ; 4-byte Folded Reload
	s_waitcnt vmcnt(0)
	v_and_b32_e32 v2, 0x108, v2
	v_cmp_ne_u32_e32 vcc, s97, v2
                                        ; implicit-def: $vgpr2_vgpr3
	s_and_saveexec_b64 s[28:29], vcc
	s_xor_b64 s[28:29], exec, s[28:29]
	s_cbranch_execz .LBB12_320
; %bb.319:                              ;   in Loop: Header=BB12_303 Depth=3
	buffer_load_dword v2, off, s[0:3], s33 offset:256 ; 4-byte Folded Reload
	buffer_load_dword v3, off, s[0:3], s33 offset:260 ; 4-byte Folded Reload
	;; [unrolled: 1-line block ×4, first 2 shown]
                                        ; implicit-def: $vgpr4_vgpr5
                                        ; kill: killed $vgpr4_vgpr5
	s_waitcnt vmcnt(0)
	v_and_b32_e32 v2, 7, v2
.LBB12_320:                             ;   in Loop: Header=BB12_303 Depth=3
	s_andn2_saveexec_b64 s[28:29], s[28:29]
	s_cbranch_execz .LBB12_322
; %bb.321:                              ;   in Loop: Header=BB12_303 Depth=3
	buffer_load_dword v2, off, s[0:3], s33 offset:256 ; 4-byte Folded Reload
	buffer_load_dword v3, off, s[0:3], s33 offset:260 ; 4-byte Folded Reload
	;; [unrolled: 1-line block ×8, first 2 shown]
	v_ashrrev_i32_e32 v52, 31, v51
	s_waitcnt vmcnt(0)
	v_lshlrev_b64 v[6:7], 1, v[51:52]
	v_and_b32_e32 v2, 7, v2
	v_mad_u64_u32 v[4:5], s[42:43], v2, 24, v[3:4]
	v_mov_b32_e32 v3, v9
	flat_store_dwordx2 v[4:5], v[6:7] offset:8
.LBB12_322:                             ;   in Loop: Header=BB12_303 Depth=3
	s_or_b64 exec, exec, s[28:29]
	buffer_load_dword v4, off, s[0:3], s33 offset:156 ; 4-byte Folded Reload
	s_mov_b64 s[28:29], -1
	s_waitcnt vmcnt(0)
	v_and_b32_e32 v4, 0x100, v4
	v_cmp_ne_u32_e32 vcc, 0, v4
                                        ; implicit-def: $vgpr4_vgpr5
	s_and_saveexec_b64 s[42:43], vcc
	s_cbranch_execz .LBB12_326
; %bb.323:                              ;   in Loop: Header=BB12_303 Depth=3
	buffer_load_dword v4, off, s[0:3], s33 offset:412 ; 4-byte Folded Reload
	buffer_load_dword v5, off, s[0:3], s33 offset:416 ; 4-byte Folded Reload
	;; [unrolled: 1-line block ×4, first 2 shown]
	s_waitcnt vmcnt(0)
	v_mad_u64_u32 v[6:7], s[28:29], v2, 24, v[4:5]
	v_mov_b32_e32 v4, v7
	v_mad_u64_u32 v[4:5], s[28:29], v3, 24, v[4:5]
	v_mov_b32_e32 v7, v4
	flat_load_dword v4, v[6:7]
	s_waitcnt vmcnt(0) lgkmcnt(0)
	v_cmp_ne_u32_e32 vcc, 1, v4
	v_cmp_eq_u32_e64 s[28:29], 1, v4
                                        ; implicit-def: $vgpr4_vgpr5
	s_and_saveexec_b64 s[90:91], s[28:29]
	s_cbranch_execz .LBB12_325
; %bb.324:                              ;   in Loop: Header=BB12_303 Depth=3
	flat_load_dword v4, v[6:7] offset:4 glc
	s_waitcnt vmcnt(0) lgkmcnt(0)
	v_ashrrev_i32_e32 v5, 31, v4
	v_lshrrev_b64 v[4:5], 1, v[4:5]
.LBB12_325:                             ;   in Loop: Header=BB12_303 Depth=3
	s_or_b64 exec, exec, s[90:91]
	s_orn2_b64 s[28:29], vcc, exec
.LBB12_326:                             ;   in Loop: Header=BB12_303 Depth=3
	s_or_b64 exec, exec, s[42:43]
	s_and_saveexec_b64 s[42:43], s[28:29]
	s_cbranch_execz .LBB12_328
; %bb.327:                              ;   in Loop: Header=BB12_303 Depth=3
	buffer_load_dword v4, off, s[0:3], s33 offset:436 ; 4-byte Folded Reload
	buffer_load_dword v5, off, s[0:3], s33 offset:440 ; 4-byte Folded Reload
	s_waitcnt vmcnt(0)
	v_mul_lo_u32 v3, v3, v4
	v_mul_lo_u32 v6, v2, v5
	v_mad_u64_u32 v[4:5], s[28:29], v2, v4, 0
	v_add3_u32 v5, v5, v6, v3
.LBB12_328:                             ;   in Loop: Header=BB12_303 Depth=3
	s_or_b64 exec, exec, s[42:43]
	v_cmp_eq_u32_e32 vcc, 0, v8
	v_mov_b32_e32 v2, 0xc8
	v_mov_b32_e32 v3, 0x90
	v_cndmask_b32_e32 v6, v2, v3, vcc
	v_lshlrev_b64 v[2:3], 1, v[4:5]
	buffer_load_dword v4, off, s[0:3], s33 offset:404 ; 4-byte Folded Reload
	buffer_load_dword v5, off, s[0:3], s33 offset:408 ; 4-byte Folded Reload
	s_waitcnt vmcnt(0)
	v_add_co_u32_e32 v2, vcc, v4, v2
	v_addc_co_u32_e32 v3, vcc, v5, v3, vcc
	v_add_u32_e32 v4, v0, v6
	ds_write_b64 v4, v[2:3] offset:584
	buffer_load_dword v2, off, s[0:3], s33 offset:156 ; 4-byte Folded Reload
	s_waitcnt vmcnt(0)
	v_and_b32_e32 v2, 0x2000, v2
	v_cmp_ne_u32_e32 vcc, 0, v2
	s_and_saveexec_b64 s[28:29], vcc
	s_cbranch_execz .LBB12_330
; %bb.329:                              ;   in Loop: Header=BB12_303 Depth=3
	ds_read_b64 v[2:3], v0 offset:872
	s_waitcnt lgkmcnt(0)
	v_add_co_u32_e32 v2, vcc, 1, v2
	v_addc_co_u32_e32 v3, vcc, 0, v3, vcc
	ds_write_b64 v0, v[2:3] offset:872
.LBB12_330:                             ;   in Loop: Header=BB12_303 Depth=3
	s_or_b64 exec, exec, s[28:29]
	buffer_store_dword v0, off, s[0:3], s33 offset:256 ; 4-byte Folded Spill
	s_nop 0
	buffer_store_dword v1, off, s[0:3], s33 offset:260 ; 4-byte Folded Spill
.LBB12_331:                             ;   in Loop: Header=BB12_303 Depth=3
	s_or_b64 exec, exec, s[40:41]
	s_and_saveexec_b64 s[28:29], s[10:11]
	s_cbranch_execz .LBB12_350
; %bb.332:                              ;   in Loop: Header=BB12_303 Depth=3
	s_and_saveexec_b64 s[40:41], s[58:59]
	s_xor_b64 s[40:41], exec, s[40:41]
	s_cbranch_execz .LBB12_347
; %bb.333:                              ;   in Loop: Header=BB12_303 Depth=3
	s_and_saveexec_b64 s[42:43], s[16:17]
	s_cbranch_execz .LBB12_346
; %bb.334:                              ;   in Loop: Header=BB12_303 Depth=3
	s_mov_b64 s[92:93], exec
	v_mbcnt_lo_u32_b32 v0, s92, 0
	v_mbcnt_hi_u32_b32 v0, s93, v0
	v_cmp_eq_u32_e32 vcc, 0, v0
	s_waitcnt vmcnt(0) lgkmcnt(0)
	buffer_wbinvl1_vol
	s_and_saveexec_b64 s[90:91], vcc
	s_cbranch_execz .LBB12_336
; %bb.335:                              ;   in Loop: Header=BB12_303 Depth=3
	buffer_load_dword v1, off, s[0:3], s33 offset:128 ; 4-byte Folded Reload
	buffer_load_dword v2, off, s[0:3], s33 offset:132 ; 4-byte Folded Reload
	s_bcnt1_i32_b64 s9, s[92:93]
	v_mov_b32_e32 v0, s9
	s_waitcnt vmcnt(1)
	ds_add_u64 v0, v[0:1]
	s_trap 2
.LBB12_336:                             ;   in Loop: Header=BB12_303 Depth=3
	s_or_b64 exec, exec, s[90:91]
	s_trap 2
	ds_read_b64 v[0:1], v0
	s_waitcnt lgkmcnt(0)
	buffer_load_dword v2, off, s[0:3], s33 offset:152 ; 4-byte Folded Reload
	buffer_load_dword v3, off, s[0:3], s33 offset:160 ; 4-byte Folded Reload
	;; [unrolled: 1-line block ×3, first 2 shown]
	s_waitcnt vmcnt(1)
	v_add_co_u32_e32 v3, vcc, v3, v2
	s_waitcnt vmcnt(0)
	v_addc_co_u32_e32 v4, vcc, 0, v4, vcc
	buffer_store_dword v3, off, s[0:3], s33 offset:160 ; 4-byte Folded Spill
	s_nop 0
	buffer_store_dword v4, off, s[0:3], s33 offset:164 ; 4-byte Folded Spill
	v_cmp_lt_u64_e32 vcc, v[0:1], v[3:4]
	s_and_saveexec_b64 s[90:91], vcc
	s_cbranch_execz .LBB12_345
; %bb.337:                              ;   in Loop: Header=BB12_303 Depth=3
	s_mov_b32 s9, 0
	s_mov_b64 s[92:93], 0
                                        ; implicit-def: $sgpr94_sgpr95
                                        ; implicit-def: $sgpr30_sgpr31
	s_branch .LBB12_339
.LBB12_338:                             ;   in Loop: Header=BB12_339 Depth=4
	s_or_b64 exec, exec, s[36:37]
	s_and_b64 vcc, exec, vcc
	s_or_b64 s[92:93], vcc, s[92:93]
	s_andn2_b64 s[94:95], s[94:95], exec
	s_and_b64 vcc, s[30:31], exec
	s_or_b64 s[94:95], s[94:95], vcc
	s_andn2_b64 exec, exec, s[92:93]
	s_cbranch_execz .LBB12_343
.LBB12_339:                             ;   Parent Loop BB12_47 Depth=1
                                        ;     Parent Loop BB12_300 Depth=2
                                        ;       Parent Loop BB12_303 Depth=3
                                        ; =>      This Inner Loop Header: Depth=4
	s_add_i32 s9, s9, 1
	s_cmpk_lg_i32 s9, 0x2710
	s_cselect_b64 s[34:35], -1, 0
	s_and_b64 vcc, exec, s[34:35]
	s_cbranch_vccz .LBB12_341
; %bb.340:                              ;   in Loop: Header=BB12_339 Depth=4
	s_mov_b64 vcc, -1
	s_or_b64 s[30:31], s[30:31], exec
	s_and_saveexec_b64 s[36:37], s[34:35]
	s_cbranch_execz .LBB12_338
	s_branch .LBB12_342
.LBB12_341:                             ;   in Loop: Header=BB12_339 Depth=4
	s_trap 2
	ds_read_b64 v[0:1], v0
	s_andn2_b64 s[34:35], s[34:35], exec
	s_mov_b32 s9, 0
	s_waitcnt vmcnt(0) lgkmcnt(0)
	flat_load_dword v0, v[0:1] glc
	s_waitcnt vmcnt(0) lgkmcnt(0)
	buffer_wbinvl1_vol
	v_cmp_eq_u32_e32 vcc, 0, v0
	s_and_b64 vcc, vcc, exec
	s_or_b64 s[34:35], s[34:35], vcc
	s_mov_b64 vcc, -1
	s_or_b64 s[30:31], s[30:31], exec
	s_and_saveexec_b64 s[36:37], s[34:35]
	s_cbranch_execz .LBB12_338
.LBB12_342:                             ;   in Loop: Header=BB12_339 Depth=4
	s_sleep 1
	s_trap 2
	ds_read_b64 v[0:1], v0
	s_waitcnt lgkmcnt(0)
	buffer_load_dword v2, off, s[0:3], s33 offset:160 ; 4-byte Folded Reload
	buffer_load_dword v3, off, s[0:3], s33 offset:164 ; 4-byte Folded Reload
	s_andn2_b64 s[30:31], s[30:31], exec
	s_waitcnt vmcnt(0)
	v_cmp_ge_u64_e32 vcc, v[0:1], v[2:3]
	s_orn2_b64 vcc, vcc, exec
	s_branch .LBB12_338
.LBB12_343:                             ;   in Loop: Header=BB12_303 Depth=3
	s_or_b64 exec, exec, s[92:93]
	s_and_saveexec_b64 s[92:93], s[94:95]
	s_xor_b64 s[92:93], exec, s[92:93]
	s_cbranch_execz .LBB12_345
; %bb.344:                              ;   in Loop: Header=BB12_303 Depth=3
	v_mov_b32_e32 v0, 1
	ds_write_b32 v0, v0
	s_trap 2
.LBB12_345:                             ;   in Loop: Header=BB12_303 Depth=3
	s_or_b64 exec, exec, s[90:91]
	;;#ASMSTART
	s_wakeup
	;;#ASMEND
.LBB12_346:                             ;   in Loop: Header=BB12_303 Depth=3
	s_or_b64 exec, exec, s[42:43]
.LBB12_347:                             ;   in Loop: Header=BB12_303 Depth=3
	s_andn2_saveexec_b64 s[40:41], s[40:41]
	s_cbranch_execz .LBB12_349
; %bb.348:                              ;   in Loop: Header=BB12_303 Depth=3
	s_waitcnt vmcnt(0) lgkmcnt(0)
	buffer_wbinvl1_vol
	s_barrier
.LBB12_349:                             ;   in Loop: Header=BB12_303 Depth=3
	s_or_b64 exec, exec, s[40:41]
.LBB12_350:                             ;   in Loop: Header=BB12_303 Depth=3
	s_or_b64 exec, exec, s[28:29]
	s_trap 2
	buffer_load_dword v1, off, s[0:3], s33 offset:156 ; 4-byte Folded Reload
	ds_read_b32 v0, v0
	s_xor_b64 s[28:29], s[6:7], -1
	s_waitcnt vmcnt(0)
	v_and_b32_e32 v1, 0x4000, v1
	v_cmp_ne_u32_e32 vcc, 0, v1
	s_and_b64 s[40:41], s[28:29], vcc
	s_and_saveexec_b64 s[28:29], s[40:41]
	s_cbranch_execz .LBB12_369
; %bb.351:                              ;   in Loop: Header=BB12_303 Depth=3
	s_and_saveexec_b64 s[40:41], s[58:59]
	s_xor_b64 s[40:41], exec, s[40:41]
	s_cbranch_execz .LBB12_366
; %bb.352:                              ;   in Loop: Header=BB12_303 Depth=3
	s_and_saveexec_b64 s[42:43], s[16:17]
	s_cbranch_execz .LBB12_365
; %bb.353:                              ;   in Loop: Header=BB12_303 Depth=3
	s_mov_b64 s[92:93], exec
	v_mbcnt_lo_u32_b32 v1, s92, 0
	v_mbcnt_hi_u32_b32 v1, s93, v1
	v_cmp_eq_u32_e32 vcc, 0, v1
	s_waitcnt lgkmcnt(0)
	buffer_wbinvl1_vol
	s_and_saveexec_b64 s[90:91], vcc
	s_cbranch_execz .LBB12_355
; %bb.354:                              ;   in Loop: Header=BB12_303 Depth=3
	buffer_load_dword v2, off, s[0:3], s33 offset:128 ; 4-byte Folded Reload
	buffer_load_dword v3, off, s[0:3], s33 offset:132 ; 4-byte Folded Reload
	s_bcnt1_i32_b64 s9, s[92:93]
	v_mov_b32_e32 v1, s9
	s_waitcnt vmcnt(1)
	ds_add_u64 v0, v[1:2]
	s_trap 2
.LBB12_355:                             ;   in Loop: Header=BB12_303 Depth=3
	s_or_b64 exec, exec, s[90:91]
	s_trap 2
	ds_read_b64 v[1:2], v0
	s_waitcnt lgkmcnt(0)
	buffer_load_dword v3, off, s[0:3], s33 offset:152 ; 4-byte Folded Reload
	buffer_load_dword v4, off, s[0:3], s33 offset:160 ; 4-byte Folded Reload
	buffer_load_dword v5, off, s[0:3], s33 offset:164 ; 4-byte Folded Reload
	s_waitcnt vmcnt(1)
	v_add_co_u32_e32 v4, vcc, v4, v3
	s_waitcnt vmcnt(0)
	v_addc_co_u32_e32 v5, vcc, 0, v5, vcc
	buffer_store_dword v4, off, s[0:3], s33 offset:160 ; 4-byte Folded Spill
	s_nop 0
	buffer_store_dword v5, off, s[0:3], s33 offset:164 ; 4-byte Folded Spill
	v_cmp_lt_u64_e32 vcc, v[1:2], v[4:5]
	s_and_saveexec_b64 s[90:91], vcc
	s_cbranch_execz .LBB12_364
; %bb.356:                              ;   in Loop: Header=BB12_303 Depth=3
	s_mov_b32 s9, 0
	s_mov_b64 s[92:93], 0
                                        ; implicit-def: $sgpr94_sgpr95
                                        ; implicit-def: $sgpr30_sgpr31
	s_branch .LBB12_358
.LBB12_357:                             ;   in Loop: Header=BB12_358 Depth=4
	s_or_b64 exec, exec, s[36:37]
	s_and_b64 vcc, exec, vcc
	s_or_b64 s[92:93], vcc, s[92:93]
	s_andn2_b64 s[94:95], s[94:95], exec
	s_and_b64 vcc, s[30:31], exec
	s_or_b64 s[94:95], s[94:95], vcc
	s_andn2_b64 exec, exec, s[92:93]
	s_cbranch_execz .LBB12_362
.LBB12_358:                             ;   Parent Loop BB12_47 Depth=1
                                        ;     Parent Loop BB12_300 Depth=2
                                        ;       Parent Loop BB12_303 Depth=3
                                        ; =>      This Inner Loop Header: Depth=4
	s_add_i32 s9, s9, 1
	s_cmpk_lg_i32 s9, 0x2710
	s_cselect_b64 s[34:35], -1, 0
	s_and_b64 vcc, exec, s[34:35]
	s_cbranch_vccz .LBB12_360
; %bb.359:                              ;   in Loop: Header=BB12_358 Depth=4
	s_mov_b64 vcc, -1
	s_or_b64 s[30:31], s[30:31], exec
	s_and_saveexec_b64 s[36:37], s[34:35]
	s_cbranch_execz .LBB12_357
	s_branch .LBB12_361
.LBB12_360:                             ;   in Loop: Header=BB12_358 Depth=4
	s_trap 2
	ds_read_b64 v[1:2], v0
	s_andn2_b64 s[34:35], s[34:35], exec
	s_mov_b32 s9, 0
	s_waitcnt vmcnt(0) lgkmcnt(0)
	flat_load_dword v1, v[1:2] glc
	s_waitcnt vmcnt(0) lgkmcnt(0)
	buffer_wbinvl1_vol
	v_cmp_eq_u32_e32 vcc, 0, v1
	s_and_b64 vcc, vcc, exec
	s_or_b64 s[34:35], s[34:35], vcc
	s_mov_b64 vcc, -1
	s_or_b64 s[30:31], s[30:31], exec
	s_and_saveexec_b64 s[36:37], s[34:35]
	s_cbranch_execz .LBB12_357
.LBB12_361:                             ;   in Loop: Header=BB12_358 Depth=4
	s_sleep 1
	s_trap 2
	ds_read_b64 v[1:2], v0
	s_waitcnt lgkmcnt(0)
	buffer_load_dword v3, off, s[0:3], s33 offset:160 ; 4-byte Folded Reload
	buffer_load_dword v4, off, s[0:3], s33 offset:164 ; 4-byte Folded Reload
	s_andn2_b64 s[30:31], s[30:31], exec
	s_waitcnt vmcnt(0)
	v_cmp_ge_u64_e32 vcc, v[1:2], v[3:4]
	s_orn2_b64 vcc, vcc, exec
	s_branch .LBB12_357
.LBB12_362:                             ;   in Loop: Header=BB12_303 Depth=3
	s_or_b64 exec, exec, s[92:93]
	s_and_saveexec_b64 s[92:93], s[94:95]
	s_xor_b64 s[92:93], exec, s[92:93]
	s_cbranch_execz .LBB12_364
; %bb.363:                              ;   in Loop: Header=BB12_303 Depth=3
	v_mov_b32_e32 v1, 1
	ds_write_b32 v0, v1
	s_trap 2
.LBB12_364:                             ;   in Loop: Header=BB12_303 Depth=3
	s_or_b64 exec, exec, s[90:91]
	;;#ASMSTART
	s_wakeup
	;;#ASMEND
.LBB12_365:                             ;   in Loop: Header=BB12_303 Depth=3
	s_or_b64 exec, exec, s[42:43]
.LBB12_366:                             ;   in Loop: Header=BB12_303 Depth=3
	s_andn2_saveexec_b64 s[40:41], s[40:41]
	s_cbranch_execz .LBB12_368
; %bb.367:                              ;   in Loop: Header=BB12_303 Depth=3
	s_waitcnt vmcnt(0) lgkmcnt(0)
	buffer_wbinvl1_vol
	s_barrier
.LBB12_368:                             ;   in Loop: Header=BB12_303 Depth=3
	s_or_b64 exec, exec, s[40:41]
.LBB12_369:                             ;   in Loop: Header=BB12_303 Depth=3
	s_or_b64 exec, exec, s[28:29]
	s_trap 2
	s_waitcnt lgkmcnt(0)
	ds_read_b64 v[1:2], v0
	s_waitcnt lgkmcnt(0)
	v_cmp_eq_u64_e32 vcc, 0, v[1:2]
	s_cbranch_vccnz .LBB12_377
; %bb.370:                              ;   in Loop: Header=BB12_303 Depth=3
	s_trap 2
	ds_read_b64 v[28:29], v0
	s_waitcnt lgkmcnt(0)
	v_cmp_eq_u64_e32 vcc, 0, v[28:29]
	s_cbranch_vccnz .LBB12_377
; %bb.371:                              ;   in Loop: Header=BB12_303 Depth=3
	buffer_store_dword v1, off, s[0:3], s33 offset:452 ; 4-byte Folded Spill
	s_nop 0
	buffer_store_dword v2, off, s[0:3], s33 offset:456 ; 4-byte Folded Spill
	s_trap 2
	ds_read_b64 v[1:2], v0
	s_mov_b64 s[40:41], -1
	s_waitcnt lgkmcnt(0)
	v_readfirstlane_b32 s92, v1
	s_and_saveexec_b64 s[28:29], s[22:23]
	s_cbranch_execz .LBB12_373
; %bb.372:                              ;   in Loop: Header=BB12_303 Depth=3
	ds_read_b32 v1, v0 offset:720
	s_waitcnt lgkmcnt(0)
	v_and_b32_e32 v1, 15, v1
	v_cmp_eq_u32_e32 vcc, 0, v1
	s_orn2_b64 s[40:41], vcc, exec
.LBB12_373:                             ;   in Loop: Header=BB12_303 Depth=3
	s_or_b64 exec, exec, s[28:29]
	s_and_saveexec_b64 s[28:29], s[20:21]
	s_cbranch_execz .LBB12_375
; %bb.374:                              ;   in Loop: Header=BB12_303 Depth=3
	ds_read_b32 v1, v0 offset:784
	s_waitcnt lgkmcnt(0)
	v_and_b32_e32 v1, 15, v1
	v_cmp_eq_u32_e32 vcc, 0, v1
	s_and_b64 s[42:43], s[40:41], vcc
	s_andn2_b64 s[40:41], s[40:41], exec
	s_and_b64 s[42:43], s[42:43], exec
	s_or_b64 s[40:41], s[40:41], s[42:43]
.LBB12_375:                             ;   in Loop: Header=BB12_303 Depth=3
	s_or_b64 exec, exec, s[28:29]
	s_xor_b64 s[40:41], s[40:41], -1
	v_cmp_eq_u32_e64 s[28:29], 0, v0
	v_cndmask_b32_e64 v0, 0, 1, s[40:41]
	s_mov_b64 s[42:43], -1
	v_cmp_ne_u32_e32 vcc, 0, v0
	s_cbranch_vccz .LBB12_382
; %bb.376:                              ;   in Loop: Header=BB12_303 Depth=3
	s_and_b32 s9, s92, 1
	s_mov_b64 s[42:43], 0
	s_mov_b64 s[90:91], -1
	s_branch .LBB12_383
.LBB12_377:                             ;   in Loop: Header=BB12_303 Depth=3
	s_mov_b64 s[28:29], 0
	s_and_saveexec_b64 s[40:41], s[10:11]
	s_cbranch_execnz .LBB12_1125
.LBB12_378:                             ;   in Loop: Header=BB12_303 Depth=3
	s_or_b64 exec, exec, s[40:41]
                                        ; implicit-def: $vgpr0
	s_and_saveexec_b64 s[40:41], s[24:25]
	s_xor_b64 s[40:41], exec, s[40:41]
	s_cbranch_execz .LBB12_1143
.LBB12_379:                             ;   in Loop: Header=BB12_303 Depth=3
	buffer_load_dword v1, off, s[0:3], s33 offset:156 ; 4-byte Folded Reload
	s_waitcnt vmcnt(0)
	v_and_b32_e32 v0, 16, v1
	v_and_b32_e32 v1, 16, v1
	v_cmp_ne_u32_e32 vcc, 0, v1
	s_and_b64 s[42:43], vcc, s[28:29]
	s_and_saveexec_b64 s[28:29], s[42:43]
	s_cbranch_execz .LBB12_381
; %bb.380:                              ;   in Loop: Header=BB12_303 Depth=3
	v_mov_b32_e32 v0, 1
	s_waitcnt lgkmcnt(0)
	buffer_wbinvl1_vol
.LBB12_381:                             ;   in Loop: Header=BB12_303 Depth=3
	s_or_b64 exec, exec, s[28:29]
	s_andn2_saveexec_b64 s[28:29], s[40:41]
	s_cbranch_execz .LBB12_1162
	s_branch .LBB12_1144
.LBB12_382:                             ;   in Loop: Header=BB12_303 Depth=3
	s_mov_b64 s[90:91], 0
                                        ; implicit-def: $sgpr9
.LBB12_383:                             ;   in Loop: Header=BB12_303 Depth=3
	v_cndmask_b32_e64 v45, 0, v51, s[28:29]
	v_lshlrev_b32_e32 v30, 1, v45
	s_andn2_b64 vcc, exec, s[42:43]
	v_mov_b32_e32 v6, 0
	s_cbranch_vccnz .LBB12_649
; %bb.384:                              ;   in Loop: Header=BB12_303 Depth=3
	v_ashrrev_i32_e32 v0, 31, v30
	v_lshrrev_b32_e32 v0, 20, v0
	v_add_u32_e32 v0, v30, v0
	v_ashrrev_i32_e32 v1, 12, v0
	buffer_load_dword v0, off, s[0:3], s33 offset:488 ; 4-byte Folded Reload
	s_and_b32 s9, s92, 1
	buffer_store_dword v30, off, s[0:3], s33 offset:468 ; 4-byte Folded Spill
	buffer_store_dword v1, off, s[0:3], s33 offset:516 ; 4-byte Folded Spill
	s_mov_b64 s[28:29], 0
                                        ; implicit-def: $vgpr56_vgpr57
                                        ; implicit-def: $vgpr36_vgpr37
                                        ; implicit-def: $vgpr24_vgpr25
                                        ; implicit-def: $vgpr12_vgpr13
	s_waitcnt vmcnt(2)
	v_sub_u32_e32 v2, v1, v0
	buffer_load_dword v0, off, s[0:3], s33 offset:480 ; 4-byte Folded Reload
	s_waitcnt vmcnt(0)
	v_add_co_u32_e32 v0, vcc, v28, v0
	buffer_store_dword v28, off, s[0:3], s33 offset:460 ; 4-byte Folded Spill
	s_nop 0
	buffer_store_dword v29, off, s[0:3], s33 offset:464 ; 4-byte Folded Spill
	buffer_store_dword v2, off, s[0:3], s33 offset:240 ; 4-byte Folded Spill
	v_addc_co_u32_e32 v1, vcc, 0, v29, vcc
	v_cmp_lt_i32_e32 vcc, 0, v2
                                        ; implicit-def: $vgpr2_vgpr3
	buffer_store_dword v2, off, s[0:3], s33 offset:216 ; 4-byte Folded Spill
	s_nop 0
	buffer_store_dword v3, off, s[0:3], s33 offset:220 ; 4-byte Folded Spill
	buffer_store_dword v4, off, s[0:3], s33 offset:224 ; 4-byte Folded Spill
	buffer_store_dword v5, off, s[0:3], s33 offset:228 ; 4-byte Folded Spill
                                        ; implicit-def: $vgpr2_vgpr3
	buffer_store_dword v2, off, s[0:3], s33 offset:200 ; 4-byte Folded Spill
	s_nop 0
	buffer_store_dword v3, off, s[0:3], s33 offset:204 ; 4-byte Folded Spill
	buffer_store_dword v4, off, s[0:3], s33 offset:208 ; 4-byte Folded Spill
	buffer_store_dword v5, off, s[0:3], s33 offset:212 ; 4-byte Folded Spill
	;; [unrolled: 6-line block ×4, first 2 shown]
	s_and_saveexec_b64 s[40:41], vcc
	s_cbranch_execz .LBB12_651
; %bb.385:                              ;   in Loop: Header=BB12_303 Depth=3
	buffer_store_dword v45, off, s[0:3], s33 offset:508 ; 4-byte Folded Spill
	buffer_store_dword v54, off, s[0:3], s33 offset:500 ; 4-byte Folded Spill
	s_nop 0
	buffer_store_dword v55, off, s[0:3], s33 offset:504 ; 4-byte Folded Spill
	buffer_store_dword v51, off, s[0:3], s33 offset:492 ; 4-byte Folded Spill
	s_nop 0
	buffer_store_dword v52, off, s[0:3], s33 offset:496 ; 4-byte Folded Spill
	s_trap 2
	buffer_load_dword v4, off, s[0:3], s33 offset:480 ; 4-byte Folded Reload
	ds_read_b64 v[2:3], v0
	s_and_b32 s28, 0xffff, s9
	s_cmp_eq_u32 s28, 0
	s_mov_b64 s[94:95], 0
	s_mov_b64 s[42:43], 0
	s_cselect_b64 s[28:29], -1, 0
                                        ; implicit-def: $sgpr92_sgpr93
                                        ; implicit-def: $vgpr56_vgpr57
                                        ; implicit-def: $vgpr36_vgpr37
                                        ; implicit-def: $vgpr24_vgpr25
                                        ; implicit-def: $vgpr12_vgpr13
	s_waitcnt vmcnt(0) lgkmcnt(0)
	v_add_co_u32_e32 v10, vcc, v2, v4
	v_addc_co_u32_e32 v11, vcc, 0, v3, vcc
	buffer_load_dword v2, off, s[0:3], s33 offset:452 ; 4-byte Folded Reload
	buffer_load_dword v3, off, s[0:3], s33 offset:456 ; 4-byte Folded Reload
	s_waitcnt vmcnt(1)
	v_add_co_u32_e32 v60, vcc, v2, v4
	s_waitcnt vmcnt(0)
	v_addc_co_u32_e32 v61, vcc, 0, v3, vcc
                                        ; implicit-def: $vgpr2_vgpr3
	buffer_store_dword v2, off, s[0:3], s33 offset:216 ; 4-byte Folded Spill
	s_nop 0
	buffer_store_dword v3, off, s[0:3], s33 offset:220 ; 4-byte Folded Spill
	buffer_store_dword v4, off, s[0:3], s33 offset:224 ; 4-byte Folded Spill
	buffer_store_dword v5, off, s[0:3], s33 offset:228 ; 4-byte Folded Spill
                                        ; implicit-def: $vgpr2_vgpr3
	buffer_store_dword v2, off, s[0:3], s33 offset:200 ; 4-byte Folded Spill
	s_nop 0
	buffer_store_dword v3, off, s[0:3], s33 offset:204 ; 4-byte Folded Spill
	buffer_store_dword v4, off, s[0:3], s33 offset:208 ; 4-byte Folded Spill
	buffer_store_dword v5, off, s[0:3], s33 offset:212 ; 4-byte Folded Spill
	;; [unrolled: 6-line block ×4, first 2 shown]
	s_branch .LBB12_387
.LBB12_386:                             ;   in Loop: Header=BB12_387 Depth=4
	s_or_b64 exec, exec, s[30:31]
	buffer_load_dword v2, off, s[0:3], s33 offset:240 ; 4-byte Folded Reload
	s_waitcnt vmcnt(0)
	v_cmp_gt_i32_e32 vcc, 1, v2
	s_or_b64 s[42:43], vcc, s[42:43]
	s_andn2_b64 s[92:93], s[92:93], exec
	s_and_b64 vcc, s[94:95], exec
	s_or_b64 s[92:93], s[92:93], vcc
	s_andn2_b64 exec, exec, s[42:43]
	s_cbranch_execz .LBB12_650
.LBB12_387:                             ;   Parent Loop BB12_47 Depth=1
                                        ;     Parent Loop BB12_300 Depth=2
                                        ;       Parent Loop BB12_303 Depth=3
                                        ; =>      This Inner Loop Header: Depth=4
	global_load_dwordx4 v[6:9], v[60:61], off glc slc
	global_load_dwordx4 v[2:5], v[60:61], off offset:1024 glc slc
	global_load_dwordx4 v[40:43], v[60:61], off offset:2048 glc slc
	;; [unrolled: 1-line block ×3, first 2 shown]
	global_load_dwordx4 v[16:19], v[10:11], off glc slc
	global_load_dwordx4 v[28:31], v[10:11], off offset:1024 glc slc
	global_load_dwordx4 v[44:47], v[10:11], off offset:2048 glc slc
	;; [unrolled: 1-line block ×3, first 2 shown]
	s_and_saveexec_b64 s[30:31], s[94:95]
	s_cbranch_execz .LBB12_517
; %bb.388:                              ;   in Loop: Header=BB12_387 Depth=4
	buffer_load_dword v32, off, s[0:3], s33 offset:216 ; 4-byte Folded Reload
	buffer_load_dword v33, off, s[0:3], s33 offset:220 ; 4-byte Folded Reload
	;; [unrolled: 1-line block ×4, first 2 shown]
	v_lshlrev_b32_e32 v20, 16, v56
	v_max_f32_e32 v20, v20, v20
	s_waitcnt vmcnt(3)
	v_lshlrev_b32_e32 v21, 16, v32
	v_max_f32_e32 v21, v21, v21
	v_min_f32_e32 v22, v20, v21
	v_max_f32_e32 v20, v20, v21
	v_cndmask_b32_e64 v20, v20, v22, s[28:29]
	v_and_b32_e32 v21, 0x7f800000, v20
	v_cmp_ne_u32_e32 vcc, s56, v21
                                        ; implicit-def: $vgpr21
                                        ; kill: killed $vgpr21
	s_and_saveexec_b64 s[94:95], vcc
	s_xor_b64 s[94:95], exec, s[94:95]
	s_cbranch_execz .LBB12_390
; %bb.389:                              ;   in Loop: Header=BB12_387 Depth=4
	v_bfe_u32 v21, v20, 16, 1
	v_add3_u32 v20, v20, v21, s57
	buffer_store_dword v20, off, s[0:3], s33 offset:284 ; 4-byte Folded Spill
                                        ; implicit-def: $vgpr20
.LBB12_390:                             ;   in Loop: Header=BB12_387 Depth=4
	s_andn2_saveexec_b64 s[94:95], s[94:95]
	s_cbranch_execz .LBB12_392
; %bb.391:                              ;   in Loop: Header=BB12_387 Depth=4
	buffer_load_dword v22, off, s[0:3], s33 offset:128 ; 4-byte Folded Reload
	buffer_load_dword v23, off, s[0:3], s33 offset:132 ; 4-byte Folded Reload
	v_or_b32_e32 v21, 0x10000, v20
	s_waitcnt vmcnt(1)
	v_cmp_eq_u32_sdwa vcc, v20, v22 src0_sel:WORD_0 src1_sel:DWORD
	v_cndmask_b32_e32 v20, v21, v20, vcc
	buffer_store_dword v20, off, s[0:3], s33 offset:284 ; 4-byte Folded Spill
.LBB12_392:                             ;   in Loop: Header=BB12_387 Depth=4
	s_or_b64 exec, exec, s[94:95]
	buffer_load_dword v32, off, s[0:3], s33 offset:216 ; 4-byte Folded Reload
	buffer_load_dword v33, off, s[0:3], s33 offset:220 ; 4-byte Folded Reload
	;; [unrolled: 1-line block ×4, first 2 shown]
	v_and_b32_e32 v20, 0xffff0000, v56
	v_max_f32_e32 v20, v20, v20
	s_waitcnt vmcnt(3)
	v_and_b32_e32 v21, 0xffff0000, v32
	v_max_f32_e32 v21, v21, v21
	v_min_f32_e32 v22, v20, v21
	v_max_f32_e32 v20, v20, v21
	v_cndmask_b32_e64 v20, v20, v22, s[28:29]
	v_and_b32_e32 v21, 0x7f800000, v20
	v_cmp_ne_u32_e32 vcc, s56, v21
                                        ; implicit-def: $vgpr21
                                        ; kill: killed $vgpr21
	s_and_saveexec_b64 s[94:95], vcc
	s_xor_b64 s[94:95], exec, s[94:95]
	s_cbranch_execz .LBB12_394
; %bb.393:                              ;   in Loop: Header=BB12_387 Depth=4
	v_bfe_u32 v21, v20, 16, 1
	v_add3_u32 v20, v20, v21, s57
	buffer_store_dword v20, off, s[0:3], s33 offset:292 ; 4-byte Folded Spill
                                        ; implicit-def: $vgpr20
.LBB12_394:                             ;   in Loop: Header=BB12_387 Depth=4
	s_andn2_saveexec_b64 s[94:95], s[94:95]
	s_cbranch_execz .LBB12_396
; %bb.395:                              ;   in Loop: Header=BB12_387 Depth=4
	buffer_load_dword v22, off, s[0:3], s33 offset:128 ; 4-byte Folded Reload
	buffer_load_dword v23, off, s[0:3], s33 offset:132 ; 4-byte Folded Reload
	v_or_b32_e32 v21, 0x10000, v20
	s_waitcnt vmcnt(1)
	v_cmp_eq_u32_sdwa vcc, v20, v22 src0_sel:WORD_0 src1_sel:DWORD
	v_cndmask_b32_e32 v20, v21, v20, vcc
	buffer_store_dword v20, off, s[0:3], s33 offset:292 ; 4-byte Folded Spill
.LBB12_396:                             ;   in Loop: Header=BB12_387 Depth=4
	s_or_b64 exec, exec, s[94:95]
	buffer_load_dword v32, off, s[0:3], s33 offset:216 ; 4-byte Folded Reload
	buffer_load_dword v33, off, s[0:3], s33 offset:220 ; 4-byte Folded Reload
	buffer_load_dword v34, off, s[0:3], s33 offset:224 ; 4-byte Folded Reload
	buffer_load_dword v35, off, s[0:3], s33 offset:228 ; 4-byte Folded Reload
	v_lshlrev_b32_e32 v20, 16, v57
	v_max_f32_e32 v20, v20, v20
	s_waitcnt vmcnt(2)
	v_lshlrev_b32_e32 v21, 16, v33
	v_max_f32_e32 v21, v21, v21
	v_min_f32_e32 v22, v20, v21
	v_max_f32_e32 v20, v20, v21
	v_cndmask_b32_e64 v20, v20, v22, s[28:29]
	v_and_b32_e32 v21, 0x7f800000, v20
	v_cmp_ne_u32_e32 vcc, s56, v21
                                        ; implicit-def: $vgpr21
                                        ; kill: killed $vgpr21
	s_and_saveexec_b64 s[94:95], vcc
	s_xor_b64 s[94:95], exec, s[94:95]
	s_cbranch_execz .LBB12_398
; %bb.397:                              ;   in Loop: Header=BB12_387 Depth=4
	v_bfe_u32 v21, v20, 16, 1
	v_add3_u32 v20, v20, v21, s57
	buffer_store_dword v20, off, s[0:3], s33 offset:300 ; 4-byte Folded Spill
                                        ; implicit-def: $vgpr20
.LBB12_398:                             ;   in Loop: Header=BB12_387 Depth=4
	s_andn2_saveexec_b64 s[94:95], s[94:95]
	s_cbranch_execz .LBB12_400
; %bb.399:                              ;   in Loop: Header=BB12_387 Depth=4
	buffer_load_dword v22, off, s[0:3], s33 offset:128 ; 4-byte Folded Reload
	buffer_load_dword v23, off, s[0:3], s33 offset:132 ; 4-byte Folded Reload
	v_or_b32_e32 v21, 0x10000, v20
	s_waitcnt vmcnt(1)
	v_cmp_eq_u32_sdwa vcc, v20, v22 src0_sel:WORD_0 src1_sel:DWORD
	v_cndmask_b32_e32 v20, v21, v20, vcc
	buffer_store_dword v20, off, s[0:3], s33 offset:300 ; 4-byte Folded Spill
.LBB12_400:                             ;   in Loop: Header=BB12_387 Depth=4
	s_or_b64 exec, exec, s[94:95]
	buffer_load_dword v32, off, s[0:3], s33 offset:216 ; 4-byte Folded Reload
	buffer_load_dword v33, off, s[0:3], s33 offset:220 ; 4-byte Folded Reload
	;; [unrolled: 1-line block ×4, first 2 shown]
	v_and_b32_e32 v20, 0xffff0000, v57
	v_max_f32_e32 v20, v20, v20
	s_waitcnt vmcnt(2)
	v_and_b32_e32 v21, 0xffff0000, v33
	v_max_f32_e32 v21, v21, v21
	v_min_f32_e32 v22, v20, v21
	v_max_f32_e32 v20, v20, v21
	v_cndmask_b32_e64 v20, v20, v22, s[28:29]
	v_and_b32_e32 v21, 0x7f800000, v20
	v_cmp_ne_u32_e32 vcc, s56, v21
                                        ; implicit-def: $vgpr21
                                        ; kill: killed $vgpr21
	s_and_saveexec_b64 s[94:95], vcc
	s_xor_b64 s[94:95], exec, s[94:95]
	s_cbranch_execz .LBB12_402
; %bb.401:                              ;   in Loop: Header=BB12_387 Depth=4
	v_bfe_u32 v21, v20, 16, 1
	v_add3_u32 v20, v20, v21, s57
	buffer_store_dword v20, off, s[0:3], s33 offset:308 ; 4-byte Folded Spill
                                        ; implicit-def: $vgpr20
.LBB12_402:                             ;   in Loop: Header=BB12_387 Depth=4
	s_andn2_saveexec_b64 s[94:95], s[94:95]
	s_cbranch_execz .LBB12_404
; %bb.403:                              ;   in Loop: Header=BB12_387 Depth=4
	buffer_load_dword v22, off, s[0:3], s33 offset:128 ; 4-byte Folded Reload
	buffer_load_dword v23, off, s[0:3], s33 offset:132 ; 4-byte Folded Reload
	v_or_b32_e32 v21, 0x10000, v20
	s_waitcnt vmcnt(1)
	v_cmp_eq_u32_sdwa vcc, v20, v22 src0_sel:WORD_0 src1_sel:DWORD
	v_cndmask_b32_e32 v20, v21, v20, vcc
	buffer_store_dword v20, off, s[0:3], s33 offset:308 ; 4-byte Folded Spill
.LBB12_404:                             ;   in Loop: Header=BB12_387 Depth=4
	s_or_b64 exec, exec, s[94:95]
	buffer_load_dword v32, off, s[0:3], s33 offset:216 ; 4-byte Folded Reload
	buffer_load_dword v33, off, s[0:3], s33 offset:220 ; 4-byte Folded Reload
	;; [unrolled: 1-line block ×4, first 2 shown]
	v_lshlrev_b32_e32 v20, 16, v58
	v_max_f32_e32 v20, v20, v20
	s_waitcnt vmcnt(1)
	v_lshlrev_b32_e32 v21, 16, v34
	v_max_f32_e32 v21, v21, v21
	v_min_f32_e32 v22, v20, v21
	v_max_f32_e32 v20, v20, v21
	v_cndmask_b32_e64 v20, v20, v22, s[28:29]
	v_and_b32_e32 v21, 0x7f800000, v20
	v_cmp_ne_u32_e32 vcc, s56, v21
                                        ; implicit-def: $vgpr21
                                        ; kill: killed $vgpr21
	s_and_saveexec_b64 s[94:95], vcc
	s_xor_b64 s[94:95], exec, s[94:95]
	s_cbranch_execz .LBB12_406
; %bb.405:                              ;   in Loop: Header=BB12_387 Depth=4
	v_bfe_u32 v21, v20, 16, 1
	v_add3_u32 v20, v20, v21, s57
	buffer_store_dword v20, off, s[0:3], s33 offset:352 ; 4-byte Folded Spill
                                        ; implicit-def: $vgpr20
.LBB12_406:                             ;   in Loop: Header=BB12_387 Depth=4
	s_andn2_saveexec_b64 s[94:95], s[94:95]
	s_cbranch_execz .LBB12_408
; %bb.407:                              ;   in Loop: Header=BB12_387 Depth=4
	buffer_load_dword v22, off, s[0:3], s33 offset:128 ; 4-byte Folded Reload
	buffer_load_dword v23, off, s[0:3], s33 offset:132 ; 4-byte Folded Reload
	v_or_b32_e32 v21, 0x10000, v20
	s_waitcnt vmcnt(1)
	v_cmp_eq_u32_sdwa vcc, v20, v22 src0_sel:WORD_0 src1_sel:DWORD
	v_cndmask_b32_e32 v20, v21, v20, vcc
	buffer_store_dword v20, off, s[0:3], s33 offset:352 ; 4-byte Folded Spill
.LBB12_408:                             ;   in Loop: Header=BB12_387 Depth=4
	s_or_b64 exec, exec, s[94:95]
	buffer_load_dword v32, off, s[0:3], s33 offset:216 ; 4-byte Folded Reload
	buffer_load_dword v33, off, s[0:3], s33 offset:220 ; 4-byte Folded Reload
	;; [unrolled: 1-line block ×4, first 2 shown]
	v_and_b32_e32 v20, 0xffff0000, v58
	v_max_f32_e32 v20, v20, v20
	s_waitcnt vmcnt(1)
	v_and_b32_e32 v21, 0xffff0000, v34
	v_max_f32_e32 v21, v21, v21
	v_min_f32_e32 v22, v20, v21
	v_max_f32_e32 v20, v20, v21
	v_cndmask_b32_e64 v20, v20, v22, s[28:29]
	v_and_b32_e32 v21, 0x7f800000, v20
	v_cmp_ne_u32_e32 vcc, s56, v21
                                        ; implicit-def: $vgpr21
                                        ; kill: killed $vgpr21
	s_and_saveexec_b64 s[94:95], vcc
	s_xor_b64 s[94:95], exec, s[94:95]
	s_cbranch_execz .LBB12_410
; %bb.409:                              ;   in Loop: Header=BB12_387 Depth=4
	v_bfe_u32 v21, v20, 16, 1
	v_add3_u32 v20, v20, v21, s57
	buffer_store_dword v20, off, s[0:3], s33 offset:360 ; 4-byte Folded Spill
                                        ; implicit-def: $vgpr20
.LBB12_410:                             ;   in Loop: Header=BB12_387 Depth=4
	s_andn2_saveexec_b64 s[94:95], s[94:95]
	s_cbranch_execz .LBB12_412
; %bb.411:                              ;   in Loop: Header=BB12_387 Depth=4
	buffer_load_dword v22, off, s[0:3], s33 offset:128 ; 4-byte Folded Reload
	buffer_load_dword v23, off, s[0:3], s33 offset:132 ; 4-byte Folded Reload
	v_or_b32_e32 v21, 0x10000, v20
	s_waitcnt vmcnt(1)
	v_cmp_eq_u32_sdwa vcc, v20, v22 src0_sel:WORD_0 src1_sel:DWORD
	v_cndmask_b32_e32 v20, v21, v20, vcc
	buffer_store_dword v20, off, s[0:3], s33 offset:360 ; 4-byte Folded Spill
.LBB12_412:                             ;   in Loop: Header=BB12_387 Depth=4
	s_or_b64 exec, exec, s[94:95]
	buffer_load_dword v32, off, s[0:3], s33 offset:216 ; 4-byte Folded Reload
	buffer_load_dword v33, off, s[0:3], s33 offset:220 ; 4-byte Folded Reload
	;; [unrolled: 1-line block ×4, first 2 shown]
	v_lshlrev_b32_e32 v20, 16, v59
	v_max_f32_e32 v20, v20, v20
	s_waitcnt vmcnt(0)
	v_lshlrev_b32_e32 v21, 16, v35
	v_max_f32_e32 v21, v21, v21
	v_min_f32_e32 v22, v20, v21
	v_max_f32_e32 v20, v20, v21
	v_cndmask_b32_e64 v20, v20, v22, s[28:29]
	v_and_b32_e32 v21, 0x7f800000, v20
	v_cmp_ne_u32_e32 vcc, s56, v21
                                        ; implicit-def: $vgpr21
                                        ; kill: killed $vgpr21
	s_and_saveexec_b64 s[94:95], vcc
	s_xor_b64 s[94:95], exec, s[94:95]
	s_cbranch_execz .LBB12_414
; %bb.413:                              ;   in Loop: Header=BB12_387 Depth=4
	v_bfe_u32 v21, v20, 16, 1
	v_add3_u32 v20, v20, v21, s57
	buffer_store_dword v20, off, s[0:3], s33 offset:368 ; 4-byte Folded Spill
                                        ; implicit-def: $vgpr20
.LBB12_414:                             ;   in Loop: Header=BB12_387 Depth=4
	s_andn2_saveexec_b64 s[94:95], s[94:95]
	s_cbranch_execz .LBB12_416
; %bb.415:                              ;   in Loop: Header=BB12_387 Depth=4
	buffer_load_dword v22, off, s[0:3], s33 offset:128 ; 4-byte Folded Reload
	buffer_load_dword v23, off, s[0:3], s33 offset:132 ; 4-byte Folded Reload
	v_or_b32_e32 v21, 0x10000, v20
	s_waitcnt vmcnt(1)
	v_cmp_eq_u32_sdwa vcc, v20, v22 src0_sel:WORD_0 src1_sel:DWORD
	v_cndmask_b32_e32 v20, v21, v20, vcc
	buffer_store_dword v20, off, s[0:3], s33 offset:368 ; 4-byte Folded Spill
.LBB12_416:                             ;   in Loop: Header=BB12_387 Depth=4
	s_or_b64 exec, exec, s[94:95]
	buffer_load_dword v32, off, s[0:3], s33 offset:216 ; 4-byte Folded Reload
	buffer_load_dword v33, off, s[0:3], s33 offset:220 ; 4-byte Folded Reload
	;; [unrolled: 1-line block ×4, first 2 shown]
	v_and_b32_e32 v20, 0xffff0000, v59
	v_max_f32_e32 v20, v20, v20
	s_waitcnt vmcnt(0)
	v_and_b32_e32 v21, 0xffff0000, v35
	v_max_f32_e32 v21, v21, v21
	v_min_f32_e32 v22, v20, v21
	v_max_f32_e32 v20, v20, v21
	v_cndmask_b32_e64 v20, v20, v22, s[28:29]
	v_and_b32_e32 v21, 0x7f800000, v20
	v_cmp_ne_u32_e32 vcc, s56, v21
                                        ; implicit-def: $vgpr21
                                        ; kill: killed $vgpr21
	s_and_saveexec_b64 s[94:95], vcc
	s_xor_b64 s[94:95], exec, s[94:95]
	s_cbranch_execz .LBB12_418
; %bb.417:                              ;   in Loop: Header=BB12_387 Depth=4
	v_bfe_u32 v21, v20, 16, 1
	v_add3_u32 v20, v20, v21, s57
	buffer_store_dword v20, off, s[0:3], s33 offset:376 ; 4-byte Folded Spill
                                        ; implicit-def: $vgpr20
.LBB12_418:                             ;   in Loop: Header=BB12_387 Depth=4
	s_andn2_saveexec_b64 s[94:95], s[94:95]
	s_cbranch_execz .LBB12_420
; %bb.419:                              ;   in Loop: Header=BB12_387 Depth=4
	buffer_load_dword v22, off, s[0:3], s33 offset:128 ; 4-byte Folded Reload
	buffer_load_dword v23, off, s[0:3], s33 offset:132 ; 4-byte Folded Reload
	v_or_b32_e32 v21, 0x10000, v20
	s_waitcnt vmcnt(1)
	v_cmp_eq_u32_sdwa vcc, v20, v22 src0_sel:WORD_0 src1_sel:DWORD
	v_cndmask_b32_e32 v20, v21, v20, vcc
	buffer_store_dword v20, off, s[0:3], s33 offset:376 ; 4-byte Folded Spill
.LBB12_420:                             ;   in Loop: Header=BB12_387 Depth=4
	s_or_b64 exec, exec, s[94:95]
	buffer_load_dword v32, off, s[0:3], s33 offset:200 ; 4-byte Folded Reload
	buffer_load_dword v33, off, s[0:3], s33 offset:204 ; 4-byte Folded Reload
	;; [unrolled: 1-line block ×4, first 2 shown]
	v_lshlrev_b32_e32 v20, 16, v36
	v_max_f32_e32 v20, v20, v20
	s_waitcnt vmcnt(3)
	v_lshlrev_b32_e32 v21, 16, v32
	v_max_f32_e32 v21, v21, v21
	v_min_f32_e32 v22, v20, v21
	v_max_f32_e32 v20, v20, v21
	v_cndmask_b32_e64 v20, v20, v22, s[28:29]
	v_and_b32_e32 v21, 0x7f800000, v20
	v_cmp_ne_u32_e32 vcc, s56, v21
                                        ; implicit-def: $vgpr21
                                        ; kill: killed $vgpr21
	s_and_saveexec_b64 s[94:95], vcc
	s_xor_b64 s[94:95], exec, s[94:95]
	s_cbranch_execz .LBB12_422
; %bb.421:                              ;   in Loop: Header=BB12_387 Depth=4
	v_bfe_u32 v21, v20, 16, 1
	v_add3_u32 v20, v20, v21, s57
	buffer_store_dword v20, off, s[0:3], s33 offset:380 ; 4-byte Folded Spill
                                        ; implicit-def: $vgpr20
.LBB12_422:                             ;   in Loop: Header=BB12_387 Depth=4
	s_andn2_saveexec_b64 s[94:95], s[94:95]
	s_cbranch_execz .LBB12_424
; %bb.423:                              ;   in Loop: Header=BB12_387 Depth=4
	buffer_load_dword v22, off, s[0:3], s33 offset:128 ; 4-byte Folded Reload
	buffer_load_dword v23, off, s[0:3], s33 offset:132 ; 4-byte Folded Reload
	v_or_b32_e32 v21, 0x10000, v20
	s_waitcnt vmcnt(1)
	v_cmp_eq_u32_sdwa vcc, v20, v22 src0_sel:WORD_0 src1_sel:DWORD
	v_cndmask_b32_e32 v20, v21, v20, vcc
	buffer_store_dword v20, off, s[0:3], s33 offset:380 ; 4-byte Folded Spill
.LBB12_424:                             ;   in Loop: Header=BB12_387 Depth=4
	s_or_b64 exec, exec, s[94:95]
	buffer_load_dword v32, off, s[0:3], s33 offset:200 ; 4-byte Folded Reload
	buffer_load_dword v33, off, s[0:3], s33 offset:204 ; 4-byte Folded Reload
	;; [unrolled: 1-line block ×4, first 2 shown]
	v_and_b32_e32 v20, 0xffff0000, v36
	v_max_f32_e32 v20, v20, v20
	s_waitcnt vmcnt(3)
	v_and_b32_e32 v21, 0xffff0000, v32
	v_max_f32_e32 v21, v21, v21
	v_min_f32_e32 v22, v20, v21
	v_max_f32_e32 v20, v20, v21
	v_cndmask_b32_e64 v20, v20, v22, s[28:29]
	v_and_b32_e32 v21, 0x7f800000, v20
	v_cmp_ne_u32_e32 vcc, s56, v21
                                        ; implicit-def: $vgpr21
                                        ; kill: killed $vgpr21
	s_and_saveexec_b64 s[94:95], vcc
	s_xor_b64 s[94:95], exec, s[94:95]
	s_cbranch_execz .LBB12_426
; %bb.425:                              ;   in Loop: Header=BB12_387 Depth=4
	v_bfe_u32 v21, v20, 16, 1
	v_add3_u32 v20, v20, v21, s57
	buffer_store_dword v20, off, s[0:3], s33 offset:384 ; 4-byte Folded Spill
                                        ; implicit-def: $vgpr20
.LBB12_426:                             ;   in Loop: Header=BB12_387 Depth=4
	s_andn2_saveexec_b64 s[94:95], s[94:95]
	s_cbranch_execz .LBB12_428
; %bb.427:                              ;   in Loop: Header=BB12_387 Depth=4
	buffer_load_dword v22, off, s[0:3], s33 offset:128 ; 4-byte Folded Reload
	buffer_load_dword v23, off, s[0:3], s33 offset:132 ; 4-byte Folded Reload
	v_or_b32_e32 v21, 0x10000, v20
	s_waitcnt vmcnt(1)
	v_cmp_eq_u32_sdwa vcc, v20, v22 src0_sel:WORD_0 src1_sel:DWORD
	v_cndmask_b32_e32 v20, v21, v20, vcc
	buffer_store_dword v20, off, s[0:3], s33 offset:384 ; 4-byte Folded Spill
.LBB12_428:                             ;   in Loop: Header=BB12_387 Depth=4
	s_or_b64 exec, exec, s[94:95]
	buffer_load_dword v32, off, s[0:3], s33 offset:200 ; 4-byte Folded Reload
	buffer_load_dword v33, off, s[0:3], s33 offset:204 ; 4-byte Folded Reload
	;; [unrolled: 1-line block ×4, first 2 shown]
	v_lshlrev_b32_e32 v20, 16, v37
	v_max_f32_e32 v20, v20, v20
	s_waitcnt vmcnt(2)
	v_lshlrev_b32_e32 v21, 16, v33
	v_max_f32_e32 v21, v21, v21
	v_min_f32_e32 v22, v20, v21
	v_max_f32_e32 v20, v20, v21
	v_cndmask_b32_e64 v20, v20, v22, s[28:29]
	v_and_b32_e32 v21, 0x7f800000, v20
	v_cmp_ne_u32_e32 vcc, s56, v21
                                        ; implicit-def: $vgpr21
                                        ; kill: killed $vgpr21
	s_and_saveexec_b64 s[94:95], vcc
	s_xor_b64 s[94:95], exec, s[94:95]
	s_cbranch_execz .LBB12_430
; %bb.429:                              ;   in Loop: Header=BB12_387 Depth=4
	v_bfe_u32 v21, v20, 16, 1
	v_add3_u32 v20, v20, v21, s57
	buffer_store_dword v20, off, s[0:3], s33 offset:388 ; 4-byte Folded Spill
                                        ; implicit-def: $vgpr20
.LBB12_430:                             ;   in Loop: Header=BB12_387 Depth=4
	s_andn2_saveexec_b64 s[94:95], s[94:95]
	s_cbranch_execz .LBB12_432
; %bb.431:                              ;   in Loop: Header=BB12_387 Depth=4
	buffer_load_dword v22, off, s[0:3], s33 offset:128 ; 4-byte Folded Reload
	buffer_load_dword v23, off, s[0:3], s33 offset:132 ; 4-byte Folded Reload
	v_or_b32_e32 v21, 0x10000, v20
	s_waitcnt vmcnt(1)
	v_cmp_eq_u32_sdwa vcc, v20, v22 src0_sel:WORD_0 src1_sel:DWORD
	v_cndmask_b32_e32 v20, v21, v20, vcc
	buffer_store_dword v20, off, s[0:3], s33 offset:388 ; 4-byte Folded Spill
.LBB12_432:                             ;   in Loop: Header=BB12_387 Depth=4
	s_or_b64 exec, exec, s[94:95]
	buffer_load_dword v32, off, s[0:3], s33 offset:200 ; 4-byte Folded Reload
	buffer_load_dword v33, off, s[0:3], s33 offset:204 ; 4-byte Folded Reload
	;; [unrolled: 1-line block ×4, first 2 shown]
	v_and_b32_e32 v20, 0xffff0000, v37
	v_max_f32_e32 v20, v20, v20
	s_waitcnt vmcnt(2)
	v_and_b32_e32 v21, 0xffff0000, v33
	v_max_f32_e32 v21, v21, v21
	v_min_f32_e32 v22, v20, v21
	v_max_f32_e32 v20, v20, v21
	v_cndmask_b32_e64 v20, v20, v22, s[28:29]
	v_and_b32_e32 v21, 0x7f800000, v20
	v_cmp_ne_u32_e32 vcc, s56, v21
                                        ; implicit-def: $vgpr21
                                        ; kill: killed $vgpr21
	s_and_saveexec_b64 s[94:95], vcc
	s_xor_b64 s[94:95], exec, s[94:95]
	s_cbranch_execz .LBB12_434
; %bb.433:                              ;   in Loop: Header=BB12_387 Depth=4
	v_bfe_u32 v21, v20, 16, 1
	v_add3_u32 v20, v20, v21, s57
	buffer_store_dword v20, off, s[0:3], s33 offset:392 ; 4-byte Folded Spill
                                        ; implicit-def: $vgpr20
.LBB12_434:                             ;   in Loop: Header=BB12_387 Depth=4
	s_andn2_saveexec_b64 s[94:95], s[94:95]
	s_cbranch_execz .LBB12_436
; %bb.435:                              ;   in Loop: Header=BB12_387 Depth=4
	buffer_load_dword v22, off, s[0:3], s33 offset:128 ; 4-byte Folded Reload
	buffer_load_dword v23, off, s[0:3], s33 offset:132 ; 4-byte Folded Reload
	v_or_b32_e32 v21, 0x10000, v20
	s_waitcnt vmcnt(1)
	v_cmp_eq_u32_sdwa vcc, v20, v22 src0_sel:WORD_0 src1_sel:DWORD
	v_cndmask_b32_e32 v20, v21, v20, vcc
	buffer_store_dword v20, off, s[0:3], s33 offset:392 ; 4-byte Folded Spill
.LBB12_436:                             ;   in Loop: Header=BB12_387 Depth=4
	s_or_b64 exec, exec, s[94:95]
	buffer_load_dword v32, off, s[0:3], s33 offset:200 ; 4-byte Folded Reload
	buffer_load_dword v33, off, s[0:3], s33 offset:204 ; 4-byte Folded Reload
	;; [unrolled: 1-line block ×4, first 2 shown]
	v_lshlrev_b32_e32 v20, 16, v38
	v_max_f32_e32 v20, v20, v20
                                        ; implicit-def: $vgpr57
	s_waitcnt vmcnt(1)
	v_lshlrev_b32_e32 v21, 16, v34
	v_max_f32_e32 v21, v21, v21
	v_min_f32_e32 v22, v20, v21
	v_max_f32_e32 v20, v20, v21
	v_cndmask_b32_e64 v20, v20, v22, s[28:29]
	v_and_b32_e32 v21, 0x7f800000, v20
	v_cmp_ne_u32_e32 vcc, s56, v21
	s_and_saveexec_b64 s[94:95], vcc
	s_xor_b64 s[94:95], exec, s[94:95]
; %bb.437:                              ;   in Loop: Header=BB12_387 Depth=4
	v_bfe_u32 v21, v20, 16, 1
	v_add3_u32 v57, v20, v21, s57
                                        ; implicit-def: $vgpr20
; %bb.438:                              ;   in Loop: Header=BB12_387 Depth=4
	s_andn2_saveexec_b64 s[94:95], s[94:95]
	s_cbranch_execz .LBB12_440
; %bb.439:                              ;   in Loop: Header=BB12_387 Depth=4
	buffer_load_dword v22, off, s[0:3], s33 offset:128 ; 4-byte Folded Reload
	buffer_load_dword v23, off, s[0:3], s33 offset:132 ; 4-byte Folded Reload
	v_or_b32_e32 v21, 0x10000, v20
	s_waitcnt vmcnt(1)
	v_cmp_eq_u32_sdwa vcc, v20, v22 src0_sel:WORD_0 src1_sel:DWORD
	v_cndmask_b32_e32 v57, v21, v20, vcc
.LBB12_440:                             ;   in Loop: Header=BB12_387 Depth=4
	s_or_b64 exec, exec, s[94:95]
	buffer_load_dword v32, off, s[0:3], s33 offset:200 ; 4-byte Folded Reload
	buffer_load_dword v33, off, s[0:3], s33 offset:204 ; 4-byte Folded Reload
	;; [unrolled: 1-line block ×4, first 2 shown]
	v_and_b32_e32 v20, 0xffff0000, v38
	v_max_f32_e32 v20, v20, v20
                                        ; implicit-def: $vgpr38
	s_waitcnt vmcnt(1)
	v_and_b32_e32 v21, 0xffff0000, v34
	v_max_f32_e32 v21, v21, v21
	v_min_f32_e32 v22, v20, v21
	v_max_f32_e32 v20, v20, v21
	v_cndmask_b32_e64 v20, v20, v22, s[28:29]
	v_and_b32_e32 v21, 0x7f800000, v20
	v_cmp_ne_u32_e32 vcc, s56, v21
	s_and_saveexec_b64 s[94:95], vcc
	s_xor_b64 s[94:95], exec, s[94:95]
; %bb.441:                              ;   in Loop: Header=BB12_387 Depth=4
	v_bfe_u32 v21, v20, 16, 1
	v_add3_u32 v38, v20, v21, s57
                                        ; implicit-def: $vgpr20
; %bb.442:                              ;   in Loop: Header=BB12_387 Depth=4
	s_andn2_saveexec_b64 s[94:95], s[94:95]
	s_cbranch_execz .LBB12_444
; %bb.443:                              ;   in Loop: Header=BB12_387 Depth=4
	buffer_load_dword v22, off, s[0:3], s33 offset:128 ; 4-byte Folded Reload
	buffer_load_dword v23, off, s[0:3], s33 offset:132 ; 4-byte Folded Reload
	v_or_b32_e32 v21, 0x10000, v20
	s_waitcnt vmcnt(1)
	v_cmp_eq_u32_sdwa vcc, v20, v22 src0_sel:WORD_0 src1_sel:DWORD
	v_cndmask_b32_e32 v38, v21, v20, vcc
.LBB12_444:                             ;   in Loop: Header=BB12_387 Depth=4
	s_or_b64 exec, exec, s[94:95]
	buffer_load_dword v32, off, s[0:3], s33 offset:200 ; 4-byte Folded Reload
	buffer_load_dword v33, off, s[0:3], s33 offset:204 ; 4-byte Folded Reload
	;; [unrolled: 1-line block ×4, first 2 shown]
	v_lshlrev_b32_e32 v20, 16, v39
	v_max_f32_e32 v20, v20, v20
                                        ; implicit-def: $vgpr56
	s_waitcnt vmcnt(0)
	v_lshlrev_b32_e32 v21, 16, v35
	v_max_f32_e32 v21, v21, v21
	v_min_f32_e32 v22, v20, v21
	v_max_f32_e32 v20, v20, v21
	v_cndmask_b32_e64 v20, v20, v22, s[28:29]
	v_and_b32_e32 v21, 0x7f800000, v20
	v_cmp_ne_u32_e32 vcc, s56, v21
	s_and_saveexec_b64 s[94:95], vcc
	s_xor_b64 s[94:95], exec, s[94:95]
; %bb.445:                              ;   in Loop: Header=BB12_387 Depth=4
	v_bfe_u32 v21, v20, 16, 1
	v_add3_u32 v56, v20, v21, s57
                                        ; implicit-def: $vgpr20
; %bb.446:                              ;   in Loop: Header=BB12_387 Depth=4
	s_andn2_saveexec_b64 s[94:95], s[94:95]
	s_cbranch_execz .LBB12_448
; %bb.447:                              ;   in Loop: Header=BB12_387 Depth=4
	buffer_load_dword v22, off, s[0:3], s33 offset:128 ; 4-byte Folded Reload
	buffer_load_dword v23, off, s[0:3], s33 offset:132 ; 4-byte Folded Reload
	v_or_b32_e32 v21, 0x10000, v20
	s_waitcnt vmcnt(1)
	v_cmp_eq_u32_sdwa vcc, v20, v22 src0_sel:WORD_0 src1_sel:DWORD
	v_cndmask_b32_e32 v56, v21, v20, vcc
.LBB12_448:                             ;   in Loop: Header=BB12_387 Depth=4
	s_or_b64 exec, exec, s[94:95]
	buffer_load_dword v32, off, s[0:3], s33 offset:200 ; 4-byte Folded Reload
	buffer_load_dword v33, off, s[0:3], s33 offset:204 ; 4-byte Folded Reload
	;; [unrolled: 1-line block ×4, first 2 shown]
	v_and_b32_e32 v20, 0xffff0000, v39
	v_max_f32_e32 v20, v20, v20
                                        ; implicit-def: $vgpr39
	s_waitcnt vmcnt(0)
	v_and_b32_e32 v21, 0xffff0000, v35
	v_max_f32_e32 v21, v21, v21
	v_min_f32_e32 v22, v20, v21
	v_max_f32_e32 v20, v20, v21
	v_cndmask_b32_e64 v20, v20, v22, s[28:29]
	v_and_b32_e32 v21, 0x7f800000, v20
	v_cmp_ne_u32_e32 vcc, s56, v21
	s_and_saveexec_b64 s[94:95], vcc
	s_xor_b64 s[94:95], exec, s[94:95]
; %bb.449:                              ;   in Loop: Header=BB12_387 Depth=4
	v_bfe_u32 v21, v20, 16, 1
	v_add3_u32 v39, v20, v21, s57
                                        ; implicit-def: $vgpr20
; %bb.450:                              ;   in Loop: Header=BB12_387 Depth=4
	s_andn2_saveexec_b64 s[94:95], s[94:95]
	s_cbranch_execz .LBB12_452
; %bb.451:                              ;   in Loop: Header=BB12_387 Depth=4
	buffer_load_dword v22, off, s[0:3], s33 offset:128 ; 4-byte Folded Reload
	buffer_load_dword v23, off, s[0:3], s33 offset:132 ; 4-byte Folded Reload
	v_or_b32_e32 v21, 0x10000, v20
	s_waitcnt vmcnt(1)
	v_cmp_eq_u32_sdwa vcc, v20, v22 src0_sel:WORD_0 src1_sel:DWORD
	v_cndmask_b32_e32 v39, v21, v20, vcc
.LBB12_452:                             ;   in Loop: Header=BB12_387 Depth=4
	s_or_b64 exec, exec, s[94:95]
	buffer_load_dword v32, off, s[0:3], s33 offset:184 ; 4-byte Folded Reload
	buffer_load_dword v33, off, s[0:3], s33 offset:188 ; 4-byte Folded Reload
	;; [unrolled: 1-line block ×4, first 2 shown]
	v_lshlrev_b32_e32 v20, 16, v24
	v_max_f32_e32 v20, v20, v20
                                        ; implicit-def: $vgpr23
	s_waitcnt vmcnt(3)
	v_lshlrev_b32_e32 v21, 16, v32
	v_max_f32_e32 v21, v21, v21
	v_min_f32_e32 v22, v20, v21
	v_max_f32_e32 v20, v20, v21
	v_cndmask_b32_e64 v20, v20, v22, s[28:29]
	v_and_b32_e32 v21, 0x7f800000, v20
	v_cmp_ne_u32_e32 vcc, s56, v21
	s_and_saveexec_b64 s[94:95], vcc
	s_xor_b64 s[94:95], exec, s[94:95]
; %bb.453:                              ;   in Loop: Header=BB12_387 Depth=4
	v_bfe_u32 v21, v20, 16, 1
	v_add3_u32 v23, v20, v21, s57
                                        ; implicit-def: $vgpr20
; %bb.454:                              ;   in Loop: Header=BB12_387 Depth=4
	s_andn2_saveexec_b64 s[94:95], s[94:95]
	s_cbranch_execz .LBB12_456
; %bb.455:                              ;   in Loop: Header=BB12_387 Depth=4
	buffer_load_dword v22, off, s[0:3], s33 offset:128 ; 4-byte Folded Reload
	buffer_load_dword v23, off, s[0:3], s33 offset:132 ; 4-byte Folded Reload
	v_or_b32_e32 v21, 0x10000, v20
	s_waitcnt vmcnt(1)
	v_cmp_eq_u32_sdwa vcc, v20, v22 src0_sel:WORD_0 src1_sel:DWORD
	s_waitcnt vmcnt(0)
	v_cndmask_b32_e32 v23, v21, v20, vcc
.LBB12_456:                             ;   in Loop: Header=BB12_387 Depth=4
	s_or_b64 exec, exec, s[94:95]
	buffer_load_dword v32, off, s[0:3], s33 offset:184 ; 4-byte Folded Reload
	buffer_load_dword v33, off, s[0:3], s33 offset:188 ; 4-byte Folded Reload
	;; [unrolled: 1-line block ×4, first 2 shown]
	v_and_b32_e32 v20, 0xffff0000, v24
	v_max_f32_e32 v20, v20, v20
                                        ; implicit-def: $vgpr24
	s_waitcnt vmcnt(3)
	v_and_b32_e32 v21, 0xffff0000, v32
	v_max_f32_e32 v21, v21, v21
	v_min_f32_e32 v22, v20, v21
	v_max_f32_e32 v20, v20, v21
	v_cndmask_b32_e64 v20, v20, v22, s[28:29]
	v_and_b32_e32 v21, 0x7f800000, v20
	v_cmp_ne_u32_e32 vcc, s56, v21
	s_and_saveexec_b64 s[94:95], vcc
	s_xor_b64 s[94:95], exec, s[94:95]
; %bb.457:                              ;   in Loop: Header=BB12_387 Depth=4
	v_bfe_u32 v21, v20, 16, 1
	v_add3_u32 v24, v20, v21, s57
                                        ; implicit-def: $vgpr20
; %bb.458:                              ;   in Loop: Header=BB12_387 Depth=4
	s_andn2_saveexec_b64 s[94:95], s[94:95]
	s_cbranch_execz .LBB12_460
; %bb.459:                              ;   in Loop: Header=BB12_387 Depth=4
	buffer_load_dword v32, off, s[0:3], s33 offset:128 ; 4-byte Folded Reload
	buffer_load_dword v33, off, s[0:3], s33 offset:132 ; 4-byte Folded Reload
	v_or_b32_e32 v21, 0x10000, v20
	s_waitcnt vmcnt(1)
	v_cmp_eq_u32_sdwa vcc, v20, v32 src0_sel:WORD_0 src1_sel:DWORD
	v_cndmask_b32_e32 v24, v21, v20, vcc
.LBB12_460:                             ;   in Loop: Header=BB12_387 Depth=4
	s_or_b64 exec, exec, s[94:95]
	buffer_load_dword v32, off, s[0:3], s33 offset:184 ; 4-byte Folded Reload
	buffer_load_dword v33, off, s[0:3], s33 offset:188 ; 4-byte Folded Reload
	buffer_load_dword v34, off, s[0:3], s33 offset:192 ; 4-byte Folded Reload
	buffer_load_dword v35, off, s[0:3], s33 offset:196 ; 4-byte Folded Reload
	v_lshlrev_b32_e32 v20, 16, v25
	v_max_f32_e32 v20, v20, v20
                                        ; implicit-def: $vgpr58
	s_waitcnt vmcnt(2)
	v_lshlrev_b32_e32 v21, 16, v33
	v_max_f32_e32 v21, v21, v21
	v_min_f32_e32 v22, v20, v21
	v_max_f32_e32 v20, v20, v21
	v_cndmask_b32_e64 v20, v20, v22, s[28:29]
	v_and_b32_e32 v21, 0x7f800000, v20
	v_cmp_ne_u32_e32 vcc, s56, v21
	s_and_saveexec_b64 s[94:95], vcc
	s_xor_b64 s[94:95], exec, s[94:95]
; %bb.461:                              ;   in Loop: Header=BB12_387 Depth=4
	v_bfe_u32 v21, v20, 16, 1
	v_add3_u32 v58, v20, v21, s57
                                        ; implicit-def: $vgpr20
; %bb.462:                              ;   in Loop: Header=BB12_387 Depth=4
	s_andn2_saveexec_b64 s[94:95], s[94:95]
	s_cbranch_execz .LBB12_464
; %bb.463:                              ;   in Loop: Header=BB12_387 Depth=4
	buffer_load_dword v32, off, s[0:3], s33 offset:128 ; 4-byte Folded Reload
	buffer_load_dword v33, off, s[0:3], s33 offset:132 ; 4-byte Folded Reload
	v_or_b32_e32 v21, 0x10000, v20
	s_waitcnt vmcnt(1)
	v_cmp_eq_u32_sdwa vcc, v20, v32 src0_sel:WORD_0 src1_sel:DWORD
	v_cndmask_b32_e32 v58, v21, v20, vcc
.LBB12_464:                             ;   in Loop: Header=BB12_387 Depth=4
	s_or_b64 exec, exec, s[94:95]
	buffer_load_dword v32, off, s[0:3], s33 offset:184 ; 4-byte Folded Reload
	buffer_load_dword v33, off, s[0:3], s33 offset:188 ; 4-byte Folded Reload
	;; [unrolled: 1-line block ×4, first 2 shown]
	v_and_b32_e32 v20, 0xffff0000, v25
	v_max_f32_e32 v20, v20, v20
                                        ; implicit-def: $vgpr25
	s_waitcnt vmcnt(2)
	v_and_b32_e32 v21, 0xffff0000, v33
	v_max_f32_e32 v21, v21, v21
	v_min_f32_e32 v22, v20, v21
	v_max_f32_e32 v20, v20, v21
	v_cndmask_b32_e64 v20, v20, v22, s[28:29]
	v_and_b32_e32 v21, 0x7f800000, v20
	v_cmp_ne_u32_e32 vcc, s56, v21
	s_and_saveexec_b64 s[94:95], vcc
	s_xor_b64 s[94:95], exec, s[94:95]
; %bb.465:                              ;   in Loop: Header=BB12_387 Depth=4
	v_bfe_u32 v21, v20, 16, 1
	v_add3_u32 v25, v20, v21, s57
                                        ; implicit-def: $vgpr20
; %bb.466:                              ;   in Loop: Header=BB12_387 Depth=4
	s_andn2_saveexec_b64 s[94:95], s[94:95]
	s_cbranch_execz .LBB12_468
; %bb.467:                              ;   in Loop: Header=BB12_387 Depth=4
	buffer_load_dword v32, off, s[0:3], s33 offset:128 ; 4-byte Folded Reload
	buffer_load_dword v33, off, s[0:3], s33 offset:132 ; 4-byte Folded Reload
	v_or_b32_e32 v21, 0x10000, v20
	s_waitcnt vmcnt(1)
	v_cmp_eq_u32_sdwa vcc, v20, v32 src0_sel:WORD_0 src1_sel:DWORD
	v_cndmask_b32_e32 v25, v21, v20, vcc
.LBB12_468:                             ;   in Loop: Header=BB12_387 Depth=4
	s_or_b64 exec, exec, s[94:95]
	buffer_load_dword v32, off, s[0:3], s33 offset:184 ; 4-byte Folded Reload
	buffer_load_dword v33, off, s[0:3], s33 offset:188 ; 4-byte Folded Reload
	;; [unrolled: 1-line block ×4, first 2 shown]
	v_lshlrev_b32_e32 v20, 16, v26
	v_max_f32_e32 v20, v20, v20
	s_waitcnt vmcnt(1)
	v_lshlrev_b32_e32 v21, 16, v34
	v_max_f32_e32 v21, v21, v21
	v_min_f32_e32 v22, v20, v21
	v_max_f32_e32 v20, v20, v21
	v_cndmask_b32_e64 v21, v20, v22, s[28:29]
	v_and_b32_e32 v20, 0x7f800000, v21
	v_cmp_ne_u32_e32 vcc, s56, v20
                                        ; implicit-def: $vgpr20
	s_and_saveexec_b64 s[94:95], vcc
	s_xor_b64 s[94:95], exec, s[94:95]
; %bb.469:                              ;   in Loop: Header=BB12_387 Depth=4
	v_bfe_u32 v20, v21, 16, 1
	v_add3_u32 v20, v21, v20, s57
                                        ; implicit-def: $vgpr21
; %bb.470:                              ;   in Loop: Header=BB12_387 Depth=4
	s_andn2_saveexec_b64 s[94:95], s[94:95]
	s_cbranch_execz .LBB12_472
; %bb.471:                              ;   in Loop: Header=BB12_387 Depth=4
	buffer_load_dword v32, off, s[0:3], s33 offset:128 ; 4-byte Folded Reload
	buffer_load_dword v33, off, s[0:3], s33 offset:132 ; 4-byte Folded Reload
	v_or_b32_e32 v20, 0x10000, v21
	s_waitcnt vmcnt(1)
	v_cmp_eq_u32_sdwa vcc, v21, v32 src0_sel:WORD_0 src1_sel:DWORD
	v_cndmask_b32_e32 v20, v20, v21, vcc
.LBB12_472:                             ;   in Loop: Header=BB12_387 Depth=4
	s_or_b64 exec, exec, s[94:95]
	buffer_load_dword v32, off, s[0:3], s33 offset:184 ; 4-byte Folded Reload
	buffer_load_dword v33, off, s[0:3], s33 offset:188 ; 4-byte Folded Reload
	;; [unrolled: 1-line block ×4, first 2 shown]
	v_and_b32_e32 v21, 0xffff0000, v26
	v_max_f32_e32 v21, v21, v21
	s_waitcnt vmcnt(1)
	v_and_b32_e32 v22, 0xffff0000, v34
	v_max_f32_e32 v22, v22, v22
	v_min_f32_e32 v26, v21, v22
	v_max_f32_e32 v21, v21, v22
	v_cndmask_b32_e64 v21, v21, v26, s[28:29]
	v_and_b32_e32 v22, 0x7f800000, v21
	v_cmp_ne_u32_e32 vcc, s56, v22
                                        ; implicit-def: $vgpr26
	s_and_saveexec_b64 s[94:95], vcc
	s_xor_b64 s[94:95], exec, s[94:95]
; %bb.473:                              ;   in Loop: Header=BB12_387 Depth=4
	v_bfe_u32 v22, v21, 16, 1
	v_add3_u32 v26, v21, v22, s57
                                        ; implicit-def: $vgpr21
; %bb.474:                              ;   in Loop: Header=BB12_387 Depth=4
	s_andn2_saveexec_b64 s[94:95], s[94:95]
	s_cbranch_execz .LBB12_476
; %bb.475:                              ;   in Loop: Header=BB12_387 Depth=4
	buffer_load_dword v32, off, s[0:3], s33 offset:128 ; 4-byte Folded Reload
	buffer_load_dword v33, off, s[0:3], s33 offset:132 ; 4-byte Folded Reload
	v_or_b32_e32 v22, 0x10000, v21
	s_waitcnt vmcnt(1)
	v_cmp_eq_u32_sdwa vcc, v21, v32 src0_sel:WORD_0 src1_sel:DWORD
	v_cndmask_b32_e32 v26, v22, v21, vcc
.LBB12_476:                             ;   in Loop: Header=BB12_387 Depth=4
	s_or_b64 exec, exec, s[94:95]
	buffer_load_dword v32, off, s[0:3], s33 offset:184 ; 4-byte Folded Reload
	buffer_load_dword v33, off, s[0:3], s33 offset:188 ; 4-byte Folded Reload
	;; [unrolled: 1-line block ×4, first 2 shown]
	v_lshlrev_b32_e32 v21, 16, v27
	v_max_f32_e32 v21, v21, v21
                                        ; implicit-def: $vgpr59
	s_waitcnt vmcnt(0)
	v_lshlrev_b32_e32 v22, 16, v35
	v_max_f32_e32 v22, v22, v22
	v_min_f32_e32 v32, v21, v22
	v_max_f32_e32 v21, v21, v22
	v_cndmask_b32_e64 v21, v21, v32, s[28:29]
	v_and_b32_e32 v22, 0x7f800000, v21
	v_cmp_ne_u32_e32 vcc, s56, v22
	s_and_saveexec_b64 s[94:95], vcc
	s_xor_b64 s[94:95], exec, s[94:95]
; %bb.477:                              ;   in Loop: Header=BB12_387 Depth=4
	v_bfe_u32 v22, v21, 16, 1
	v_add3_u32 v59, v21, v22, s57
                                        ; implicit-def: $vgpr21
; %bb.478:                              ;   in Loop: Header=BB12_387 Depth=4
	s_andn2_saveexec_b64 s[94:95], s[94:95]
	s_cbranch_execz .LBB12_480
; %bb.479:                              ;   in Loop: Header=BB12_387 Depth=4
	buffer_load_dword v32, off, s[0:3], s33 offset:128 ; 4-byte Folded Reload
	buffer_load_dword v33, off, s[0:3], s33 offset:132 ; 4-byte Folded Reload
	v_or_b32_e32 v22, 0x10000, v21
	s_waitcnt vmcnt(1)
	v_cmp_eq_u32_sdwa vcc, v21, v32 src0_sel:WORD_0 src1_sel:DWORD
	v_cndmask_b32_e32 v59, v22, v21, vcc
.LBB12_480:                             ;   in Loop: Header=BB12_387 Depth=4
	s_or_b64 exec, exec, s[94:95]
	buffer_load_dword v32, off, s[0:3], s33 offset:184 ; 4-byte Folded Reload
	buffer_load_dword v33, off, s[0:3], s33 offset:188 ; 4-byte Folded Reload
	;; [unrolled: 1-line block ×4, first 2 shown]
	v_and_b32_e32 v21, 0xffff0000, v27
	v_max_f32_e32 v21, v21, v21
	s_waitcnt vmcnt(0)
	v_and_b32_e32 v22, 0xffff0000, v35
	v_max_f32_e32 v22, v22, v22
	v_min_f32_e32 v27, v21, v22
	v_max_f32_e32 v21, v21, v22
	v_cndmask_b32_e64 v21, v21, v27, s[28:29]
	v_and_b32_e32 v22, 0x7f800000, v21
	v_cmp_ne_u32_e32 vcc, s56, v22
                                        ; implicit-def: $vgpr27
	s_and_saveexec_b64 s[94:95], vcc
	s_xor_b64 s[94:95], exec, s[94:95]
; %bb.481:                              ;   in Loop: Header=BB12_387 Depth=4
	v_bfe_u32 v22, v21, 16, 1
	v_add3_u32 v27, v21, v22, s57
                                        ; implicit-def: $vgpr21
; %bb.482:                              ;   in Loop: Header=BB12_387 Depth=4
	s_andn2_saveexec_b64 s[94:95], s[94:95]
	s_cbranch_execz .LBB12_484
; %bb.483:                              ;   in Loop: Header=BB12_387 Depth=4
	buffer_load_dword v32, off, s[0:3], s33 offset:128 ; 4-byte Folded Reload
	buffer_load_dword v33, off, s[0:3], s33 offset:132 ; 4-byte Folded Reload
	v_or_b32_e32 v22, 0x10000, v21
	s_waitcnt vmcnt(1)
	v_cmp_eq_u32_sdwa vcc, v21, v32 src0_sel:WORD_0 src1_sel:DWORD
	v_cndmask_b32_e32 v27, v22, v21, vcc
.LBB12_484:                             ;   in Loop: Header=BB12_387 Depth=4
	s_or_b64 exec, exec, s[94:95]
	buffer_load_dword v32, off, s[0:3], s33 offset:168 ; 4-byte Folded Reload
	buffer_load_dword v33, off, s[0:3], s33 offset:172 ; 4-byte Folded Reload
	;; [unrolled: 1-line block ×4, first 2 shown]
	v_lshlrev_b32_e32 v21, 16, v12
	v_max_f32_e32 v21, v21, v21
	s_waitcnt vmcnt(3)
	v_lshlrev_b32_e32 v22, 16, v32
	v_max_f32_e32 v22, v22, v22
	v_min_f32_e32 v32, v21, v22
	v_max_f32_e32 v21, v21, v22
	v_cndmask_b32_e64 v22, v21, v32, s[28:29]
	v_and_b32_e32 v21, 0x7f800000, v22
	v_cmp_ne_u32_e32 vcc, s56, v21
                                        ; implicit-def: $vgpr21
	s_and_saveexec_b64 s[94:95], vcc
	s_xor_b64 s[94:95], exec, s[94:95]
; %bb.485:                              ;   in Loop: Header=BB12_387 Depth=4
	v_bfe_u32 v21, v22, 16, 1
	v_add3_u32 v21, v22, v21, s57
                                        ; implicit-def: $vgpr22
; %bb.486:                              ;   in Loop: Header=BB12_387 Depth=4
	s_andn2_saveexec_b64 s[94:95], s[94:95]
	s_cbranch_execz .LBB12_488
; %bb.487:                              ;   in Loop: Header=BB12_387 Depth=4
	buffer_load_dword v32, off, s[0:3], s33 offset:128 ; 4-byte Folded Reload
	buffer_load_dword v33, off, s[0:3], s33 offset:132 ; 4-byte Folded Reload
	v_or_b32_e32 v21, 0x10000, v22
	s_waitcnt vmcnt(1)
	v_cmp_eq_u32_sdwa vcc, v22, v32 src0_sel:WORD_0 src1_sel:DWORD
	v_cndmask_b32_e32 v21, v21, v22, vcc
.LBB12_488:                             ;   in Loop: Header=BB12_387 Depth=4
	s_or_b64 exec, exec, s[94:95]
	buffer_load_dword v32, off, s[0:3], s33 offset:168 ; 4-byte Folded Reload
	buffer_load_dword v33, off, s[0:3], s33 offset:172 ; 4-byte Folded Reload
	;; [unrolled: 1-line block ×4, first 2 shown]
	v_and_b32_e32 v12, 0xffff0000, v12
	v_max_f32_e32 v12, v12, v12
	s_waitcnt vmcnt(3)
	v_and_b32_e32 v22, 0xffff0000, v32
	v_max_f32_e32 v22, v22, v22
	v_min_f32_e32 v32, v12, v22
	v_max_f32_e32 v12, v12, v22
	v_cndmask_b32_e64 v22, v12, v32, s[28:29]
	v_and_b32_e32 v12, 0x7f800000, v22
	v_cmp_ne_u32_e32 vcc, s56, v12
                                        ; implicit-def: $vgpr12
	s_and_saveexec_b64 s[94:95], vcc
	s_xor_b64 s[94:95], exec, s[94:95]
; %bb.489:                              ;   in Loop: Header=BB12_387 Depth=4
	v_bfe_u32 v12, v22, 16, 1
	v_add3_u32 v12, v22, v12, s57
                                        ; implicit-def: $vgpr22
; %bb.490:                              ;   in Loop: Header=BB12_387 Depth=4
	s_andn2_saveexec_b64 s[94:95], s[94:95]
	s_cbranch_execz .LBB12_492
; %bb.491:                              ;   in Loop: Header=BB12_387 Depth=4
	buffer_load_dword v32, off, s[0:3], s33 offset:128 ; 4-byte Folded Reload
	buffer_load_dword v33, off, s[0:3], s33 offset:132 ; 4-byte Folded Reload
	v_or_b32_e32 v12, 0x10000, v22
	s_waitcnt vmcnt(1)
	v_cmp_eq_u32_sdwa vcc, v22, v32 src0_sel:WORD_0 src1_sel:DWORD
	v_cndmask_b32_e32 v12, v12, v22, vcc
.LBB12_492:                             ;   in Loop: Header=BB12_387 Depth=4
	s_or_b64 exec, exec, s[94:95]
	buffer_load_dword v32, off, s[0:3], s33 offset:168 ; 4-byte Folded Reload
	buffer_load_dword v33, off, s[0:3], s33 offset:172 ; 4-byte Folded Reload
	;; [unrolled: 1-line block ×4, first 2 shown]
	v_lshlrev_b32_e32 v22, 16, v13
	v_max_f32_e32 v22, v22, v22
	s_waitcnt vmcnt(2)
	v_lshlrev_b32_e32 v32, 16, v33
	v_max_f32_e32 v32, v32, v32
	v_min_f32_e32 v33, v22, v32
	v_max_f32_e32 v22, v22, v32
	v_cndmask_b32_e64 v32, v22, v33, s[28:29]
	v_and_b32_e32 v22, 0x7f800000, v32
	v_cmp_ne_u32_e32 vcc, s56, v22
                                        ; implicit-def: $vgpr22
	s_and_saveexec_b64 s[94:95], vcc
	s_xor_b64 s[94:95], exec, s[94:95]
; %bb.493:                              ;   in Loop: Header=BB12_387 Depth=4
	v_bfe_u32 v22, v32, 16, 1
	v_add3_u32 v22, v32, v22, s57
                                        ; implicit-def: $vgpr32
; %bb.494:                              ;   in Loop: Header=BB12_387 Depth=4
	s_andn2_saveexec_b64 s[94:95], s[94:95]
	s_cbranch_execz .LBB12_496
; %bb.495:                              ;   in Loop: Header=BB12_387 Depth=4
	buffer_load_dword v33, off, s[0:3], s33 offset:128 ; 4-byte Folded Reload
	buffer_load_dword v34, off, s[0:3], s33 offset:132 ; 4-byte Folded Reload
	v_or_b32_e32 v22, 0x10000, v32
	s_waitcnt vmcnt(1)
	v_cmp_eq_u32_sdwa vcc, v32, v33 src0_sel:WORD_0 src1_sel:DWORD
	v_cndmask_b32_e32 v22, v22, v32, vcc
.LBB12_496:                             ;   in Loop: Header=BB12_387 Depth=4
	s_or_b64 exec, exec, s[94:95]
	buffer_load_dword v32, off, s[0:3], s33 offset:168 ; 4-byte Folded Reload
	buffer_load_dword v33, off, s[0:3], s33 offset:172 ; 4-byte Folded Reload
	;; [unrolled: 1-line block ×4, first 2 shown]
	v_and_b32_e32 v13, 0xffff0000, v13
	v_max_f32_e32 v13, v13, v13
	s_waitcnt vmcnt(2)
	v_and_b32_e32 v32, 0xffff0000, v33
	v_max_f32_e32 v32, v32, v32
	v_min_f32_e32 v33, v13, v32
	v_max_f32_e32 v13, v13, v32
	v_cndmask_b32_e64 v32, v13, v33, s[28:29]
	v_and_b32_e32 v13, 0x7f800000, v32
	v_cmp_ne_u32_e32 vcc, s56, v13
                                        ; implicit-def: $vgpr13
	s_and_saveexec_b64 s[94:95], vcc
	s_xor_b64 s[94:95], exec, s[94:95]
; %bb.497:                              ;   in Loop: Header=BB12_387 Depth=4
	v_bfe_u32 v13, v32, 16, 1
	v_add3_u32 v13, v32, v13, s57
                                        ; implicit-def: $vgpr32
; %bb.498:                              ;   in Loop: Header=BB12_387 Depth=4
	s_andn2_saveexec_b64 s[94:95], s[94:95]
	s_cbranch_execz .LBB12_500
; %bb.499:                              ;   in Loop: Header=BB12_387 Depth=4
	buffer_load_dword v33, off, s[0:3], s33 offset:128 ; 4-byte Folded Reload
	buffer_load_dword v34, off, s[0:3], s33 offset:132 ; 4-byte Folded Reload
	v_or_b32_e32 v13, 0x10000, v32
	s_waitcnt vmcnt(1)
	v_cmp_eq_u32_sdwa vcc, v32, v33 src0_sel:WORD_0 src1_sel:DWORD
	v_cndmask_b32_e32 v13, v13, v32, vcc
.LBB12_500:                             ;   in Loop: Header=BB12_387 Depth=4
	s_or_b64 exec, exec, s[94:95]
	buffer_load_dword v33, off, s[0:3], s33 offset:168 ; 4-byte Folded Reload
	buffer_load_dword v34, off, s[0:3], s33 offset:172 ; 4-byte Folded Reload
	buffer_load_dword v35, off, s[0:3], s33 offset:176 ; 4-byte Folded Reload
	buffer_load_dword v36, off, s[0:3], s33 offset:180 ; 4-byte Folded Reload
	v_lshlrev_b32_e32 v32, 16, v14
	v_max_f32_e32 v32, v32, v32
	s_waitcnt vmcnt(1)
	v_lshlrev_b32_e32 v33, 16, v35
	v_max_f32_e32 v33, v33, v33
	v_min_f32_e32 v34, v32, v33
	v_max_f32_e32 v32, v32, v33
	v_cndmask_b32_e64 v33, v32, v34, s[28:29]
	v_and_b32_e32 v32, 0x7f800000, v33
	v_cmp_ne_u32_e32 vcc, s56, v32
                                        ; implicit-def: $vgpr32
	s_and_saveexec_b64 s[94:95], vcc
	s_xor_b64 s[94:95], exec, s[94:95]
; %bb.501:                              ;   in Loop: Header=BB12_387 Depth=4
	v_bfe_u32 v32, v33, 16, 1
	v_add3_u32 v32, v33, v32, s57
                                        ; implicit-def: $vgpr33
; %bb.502:                              ;   in Loop: Header=BB12_387 Depth=4
	s_andn2_saveexec_b64 s[94:95], s[94:95]
	s_cbranch_execz .LBB12_504
; %bb.503:                              ;   in Loop: Header=BB12_387 Depth=4
	buffer_load_dword v34, off, s[0:3], s33 offset:128 ; 4-byte Folded Reload
	buffer_load_dword v35, off, s[0:3], s33 offset:132 ; 4-byte Folded Reload
	v_or_b32_e32 v32, 0x10000, v33
	s_waitcnt vmcnt(1)
	v_cmp_eq_u32_sdwa vcc, v33, v34 src0_sel:WORD_0 src1_sel:DWORD
	v_cndmask_b32_e32 v32, v32, v33, vcc
.LBB12_504:                             ;   in Loop: Header=BB12_387 Depth=4
	s_or_b64 exec, exec, s[94:95]
	buffer_load_dword v33, off, s[0:3], s33 offset:168 ; 4-byte Folded Reload
	buffer_load_dword v34, off, s[0:3], s33 offset:172 ; 4-byte Folded Reload
	;; [unrolled: 1-line block ×4, first 2 shown]
	v_and_b32_e32 v14, 0xffff0000, v14
	v_max_f32_e32 v14, v14, v14
	s_waitcnt vmcnt(1)
	v_and_b32_e32 v33, 0xffff0000, v35
	v_max_f32_e32 v33, v33, v33
	v_min_f32_e32 v34, v14, v33
	v_max_f32_e32 v14, v14, v33
	v_cndmask_b32_e64 v33, v14, v34, s[28:29]
	v_and_b32_e32 v14, 0x7f800000, v33
	v_cmp_ne_u32_e32 vcc, s56, v14
                                        ; implicit-def: $vgpr14
	s_and_saveexec_b64 s[94:95], vcc
	s_xor_b64 s[94:95], exec, s[94:95]
; %bb.505:                              ;   in Loop: Header=BB12_387 Depth=4
	v_bfe_u32 v14, v33, 16, 1
	v_add3_u32 v14, v33, v14, s57
                                        ; implicit-def: $vgpr33
; %bb.506:                              ;   in Loop: Header=BB12_387 Depth=4
	s_andn2_saveexec_b64 s[94:95], s[94:95]
	s_cbranch_execz .LBB12_508
; %bb.507:                              ;   in Loop: Header=BB12_387 Depth=4
	buffer_load_dword v34, off, s[0:3], s33 offset:128 ; 4-byte Folded Reload
	buffer_load_dword v35, off, s[0:3], s33 offset:132 ; 4-byte Folded Reload
	v_or_b32_e32 v14, 0x10000, v33
	s_waitcnt vmcnt(1)
	v_cmp_eq_u32_sdwa vcc, v33, v34 src0_sel:WORD_0 src1_sel:DWORD
	v_cndmask_b32_e32 v14, v14, v33, vcc
.LBB12_508:                             ;   in Loop: Header=BB12_387 Depth=4
	s_or_b64 exec, exec, s[94:95]
	buffer_load_dword v34, off, s[0:3], s33 offset:168 ; 4-byte Folded Reload
	buffer_load_dword v35, off, s[0:3], s33 offset:172 ; 4-byte Folded Reload
	;; [unrolled: 1-line block ×4, first 2 shown]
	v_lshlrev_b32_e32 v33, 16, v15
	v_max_f32_e32 v33, v33, v33
	s_waitcnt vmcnt(0)
	v_lshlrev_b32_e32 v34, 16, v37
	v_max_f32_e32 v34, v34, v34
	v_min_f32_e32 v35, v33, v34
	v_max_f32_e32 v33, v33, v34
	v_cndmask_b32_e64 v34, v33, v35, s[28:29]
	v_and_b32_e32 v33, 0x7f800000, v34
	v_cmp_ne_u32_e32 vcc, s56, v33
                                        ; implicit-def: $vgpr33
	s_and_saveexec_b64 s[94:95], vcc
	s_xor_b64 s[94:95], exec, s[94:95]
; %bb.509:                              ;   in Loop: Header=BB12_387 Depth=4
	v_bfe_u32 v33, v34, 16, 1
	v_add3_u32 v33, v34, v33, s57
                                        ; implicit-def: $vgpr34
; %bb.510:                              ;   in Loop: Header=BB12_387 Depth=4
	s_andn2_saveexec_b64 s[94:95], s[94:95]
	s_cbranch_execz .LBB12_512
; %bb.511:                              ;   in Loop: Header=BB12_387 Depth=4
	buffer_load_dword v35, off, s[0:3], s33 offset:128 ; 4-byte Folded Reload
	buffer_load_dword v36, off, s[0:3], s33 offset:132 ; 4-byte Folded Reload
	v_or_b32_e32 v33, 0x10000, v34
	s_waitcnt vmcnt(1)
	v_cmp_eq_u32_sdwa vcc, v34, v35 src0_sel:WORD_0 src1_sel:DWORD
	v_cndmask_b32_e32 v33, v33, v34, vcc
.LBB12_512:                             ;   in Loop: Header=BB12_387 Depth=4
	s_or_b64 exec, exec, s[94:95]
	buffer_load_dword v34, off, s[0:3], s33 offset:168 ; 4-byte Folded Reload
	buffer_load_dword v35, off, s[0:3], s33 offset:172 ; 4-byte Folded Reload
	;; [unrolled: 1-line block ×4, first 2 shown]
	v_and_b32_e32 v15, 0xffff0000, v15
	v_max_f32_e32 v15, v15, v15
	s_waitcnt vmcnt(0)
	v_and_b32_e32 v34, 0xffff0000, v37
	v_max_f32_e32 v34, v34, v34
	v_min_f32_e32 v35, v15, v34
	v_max_f32_e32 v15, v15, v34
	v_cndmask_b32_e64 v34, v15, v35, s[28:29]
	v_and_b32_e32 v15, 0x7f800000, v34
	v_cmp_ne_u32_e32 vcc, s56, v15
                                        ; implicit-def: $vgpr15
	s_and_saveexec_b64 s[94:95], vcc
	s_xor_b64 s[94:95], exec, s[94:95]
; %bb.513:                              ;   in Loop: Header=BB12_387 Depth=4
	v_bfe_u32 v15, v34, 16, 1
	v_add3_u32 v15, v34, v15, s57
                                        ; implicit-def: $vgpr34
; %bb.514:                              ;   in Loop: Header=BB12_387 Depth=4
	s_andn2_saveexec_b64 s[94:95], s[94:95]
	s_cbranch_execz .LBB12_516
; %bb.515:                              ;   in Loop: Header=BB12_387 Depth=4
	buffer_load_dword v35, off, s[0:3], s33 offset:128 ; 4-byte Folded Reload
	buffer_load_dword v36, off, s[0:3], s33 offset:132 ; 4-byte Folded Reload
	v_or_b32_e32 v15, 0x10000, v34
	s_waitcnt vmcnt(1)
	v_cmp_eq_u32_sdwa vcc, v34, v35 src0_sel:WORD_0 src1_sel:DWORD
	v_cndmask_b32_e32 v15, v15, v34, vcc
.LBB12_516:                             ;   in Loop: Header=BB12_387 Depth=4
	s_or_b64 exec, exec, s[94:95]
	v_lshrrev_b32_e32 v20, 16, v20
	v_and_or_b32 v26, v26, s46, v20
	v_lshrrev_b32_e32 v20, 16, v59
	v_lshrrev_b32_e32 v23, 16, v23
	v_and_or_b32 v27, v27, s46, v20
	buffer_load_dword v20, off, s[0:3], s33 offset:388 ; 4-byte Folded Reload
	v_and_or_b32 v24, v24, s46, v23
	buffer_load_dword v23, off, s[0:3], s33 offset:392 ; 4-byte Folded Reload
	v_lshrrev_b32_e32 v34, 16, v58
	v_and_or_b32 v25, v25, s46, v34
	s_waitcnt vmcnt(1)
	v_lshrrev_b32_e32 v20, 16, v20
	s_waitcnt vmcnt(0)
	v_and_or_b32 v37, v23, s46, v20
	buffer_load_dword v20, off, s[0:3], s33 offset:380 ; 4-byte Folded Reload
	buffer_load_dword v23, off, s[0:3], s33 offset:384 ; 4-byte Folded Reload
	s_waitcnt vmcnt(1)
	v_lshrrev_b32_e32 v20, 16, v20
	s_waitcnt vmcnt(0)
	v_and_or_b32 v36, v23, s46, v20
	v_lshrrev_b32_e32 v20, 16, v57
	v_and_or_b32 v38, v38, s46, v20
	v_lshrrev_b32_e32 v20, 16, v56
	v_and_or_b32 v39, v39, s46, v20
	buffer_load_dword v20, off, s[0:3], s33 offset:300 ; 4-byte Folded Reload
	buffer_load_dword v23, off, s[0:3], s33 offset:308 ; 4-byte Folded Reload
	s_waitcnt vmcnt(1)
	v_lshrrev_b32_e32 v20, 16, v20
	s_waitcnt vmcnt(0)
	v_and_or_b32 v57, v23, s46, v20
	buffer_load_dword v20, off, s[0:3], s33 offset:284 ; 4-byte Folded Reload
	buffer_load_dword v23, off, s[0:3], s33 offset:292 ; 4-byte Folded Reload
	s_waitcnt vmcnt(1)
	v_lshrrev_b32_e32 v20, 16, v20
	s_waitcnt vmcnt(0)
	;; [unrolled: 6-line block ×4, first 2 shown]
	v_and_or_b32 v59, v23, s46, v20
	v_lshrrev_b32_e32 v20, 16, v22
	v_and_or_b32 v13, v13, s46, v20
	v_lshrrev_b32_e32 v20, 16, v21
	;; [unrolled: 2-line block ×4, first 2 shown]
	v_and_or_b32 v15, v15, s46, v20
	global_store_dwordx4 v[0:1], v[56:59], off glc slc
	global_store_dwordx4 v[0:1], v[36:39], off offset:1024 glc slc
	global_store_dwordx4 v[0:1], v[24:27], off offset:2048 glc slc
	;; [unrolled: 1-line block ×3, first 2 shown]
	buffer_load_dword v20, off, s[0:3], s33 offset:264 ; 4-byte Folded Reload
	s_waitcnt vmcnt(0)
	v_add_co_u32_e32 v0, vcc, v0, v20
	buffer_load_dword v20, off, s[0:3], s33 offset:268 ; 4-byte Folded Reload
	s_waitcnt vmcnt(0)
	v_addc_co_u32_e32 v1, vcc, v1, v20, vcc
.LBB12_517:                             ;   in Loop: Header=BB12_387 Depth=4
	s_or_b64 exec, exec, s[30:31]
	buffer_load_dword v20, off, s[0:3], s33 offset:264 ; 4-byte Folded Reload
	buffer_load_dword v21, off, s[0:3], s33 offset:268 ; 4-byte Folded Reload
	s_waitcnt vmcnt(1)
	v_add_co_u32_e32 v60, vcc, v60, v20
	s_waitcnt vmcnt(0)
	v_addc_co_u32_e32 v61, vcc, v61, v21, vcc
	v_add_co_u32_e32 v10, vcc, v10, v20
	v_addc_co_u32_e32 v11, vcc, v11, v21, vcc
	buffer_load_dword v20, off, s[0:3], s33 offset:152 ; 4-byte Folded Reload
	buffer_load_dword v21, off, s[0:3], s33 offset:240 ; 4-byte Folded Reload
	s_waitcnt vmcnt(0)
	v_sub_u32_e32 v21, v21, v20
	v_cmp_lt_i32_e64 s[94:95], 0, v21
	buffer_store_dword v21, off, s[0:3], s33 offset:240 ; 4-byte Folded Spill
	s_and_saveexec_b64 s[30:31], s[94:95]
	s_cbranch_execz .LBB12_519
; %bb.518:                              ;   in Loop: Header=BB12_387 Depth=4
	global_load_dwordx4 v[56:59], v[60:61], off glc slc
	global_load_dwordx4 v[36:39], v[60:61], off offset:1024 glc slc
	global_load_dwordx4 v[24:27], v[60:61], off offset:2048 glc slc
	;; [unrolled: 1-line block ×3, first 2 shown]
	global_load_dwordx4 v[20:23], v[10:11], off glc slc
	v_add_co_u32_e32 v60, vcc, s81, v60
	v_addc_co_u32_e32 v61, vcc, 0, v61, vcc
	s_waitcnt vmcnt(0)
	buffer_store_dword v20, off, s[0:3], s33 offset:216 ; 4-byte Folded Spill
	s_nop 0
	buffer_store_dword v21, off, s[0:3], s33 offset:220 ; 4-byte Folded Spill
	buffer_store_dword v22, off, s[0:3], s33 offset:224 ; 4-byte Folded Spill
	buffer_store_dword v23, off, s[0:3], s33 offset:228 ; 4-byte Folded Spill
	global_load_dwordx4 v[20:23], v[10:11], off offset:1024 glc slc
	s_waitcnt vmcnt(0)
	buffer_store_dword v20, off, s[0:3], s33 offset:200 ; 4-byte Folded Spill
	s_nop 0
	buffer_store_dword v21, off, s[0:3], s33 offset:204 ; 4-byte Folded Spill
	buffer_store_dword v22, off, s[0:3], s33 offset:208 ; 4-byte Folded Spill
	buffer_store_dword v23, off, s[0:3], s33 offset:212 ; 4-byte Folded Spill
	global_load_dwordx4 v[20:23], v[10:11], off offset:2048 glc slc
	;; [unrolled: 7-line block ×3, first 2 shown]
	v_add_co_u32_e32 v10, vcc, 0x1000, v10
	v_addc_co_u32_e32 v11, vcc, 0, v11, vcc
	s_waitcnt vmcnt(0)
	buffer_store_dword v20, off, s[0:3], s33 offset:168 ; 4-byte Folded Spill
	s_nop 0
	buffer_store_dword v21, off, s[0:3], s33 offset:172 ; 4-byte Folded Spill
	buffer_store_dword v22, off, s[0:3], s33 offset:176 ; 4-byte Folded Spill
	;; [unrolled: 1-line block ×3, first 2 shown]
.LBB12_519:                             ;   in Loop: Header=BB12_387 Depth=4
	s_or_b64 exec, exec, s[30:31]
	v_lshlrev_b32_e32 v20, 16, v6
	v_lshlrev_b32_e32 v21, 16, v16
	v_max_f32_e32 v21, v21, v21
	v_max_f32_e32 v20, v20, v20
	v_min_f32_e32 v22, v20, v21
	v_max_f32_e32 v20, v20, v21
	v_cndmask_b32_e64 v21, v20, v22, s[28:29]
	v_and_b32_e32 v20, 0x7f800000, v21
	v_cmp_ne_u32_e32 vcc, s56, v20
                                        ; implicit-def: $vgpr20
                                        ; kill: killed $vgpr20
	s_and_saveexec_b64 s[30:31], vcc
	s_xor_b64 vcc, exec, s[30:31]
	s_cbranch_execz .LBB12_521
; %bb.520:                              ;   in Loop: Header=BB12_387 Depth=4
	v_bfe_u32 v20, v21, 16, 1
	v_add3_u32 v20, v21, v20, s57
	buffer_store_dword v20, off, s[0:3], s33 offset:284 ; 4-byte Folded Spill
                                        ; implicit-def: $vgpr21
.LBB12_521:                             ;   in Loop: Header=BB12_387 Depth=4
	s_andn2_saveexec_b64 s[30:31], vcc
	s_cbranch_execz .LBB12_523
; %bb.522:                              ;   in Loop: Header=BB12_387 Depth=4
	buffer_load_dword v22, off, s[0:3], s33 offset:128 ; 4-byte Folded Reload
	buffer_load_dword v23, off, s[0:3], s33 offset:132 ; 4-byte Folded Reload
	v_or_b32_e32 v20, 0x10000, v21
	s_waitcnt vmcnt(1)
	v_cmp_eq_u32_sdwa vcc, v21, v22 src0_sel:WORD_0 src1_sel:DWORD
	v_cndmask_b32_e32 v20, v20, v21, vcc
	buffer_store_dword v20, off, s[0:3], s33 offset:284 ; 4-byte Folded Spill
.LBB12_523:                             ;   in Loop: Header=BB12_387 Depth=4
	s_or_b64 exec, exec, s[30:31]
	v_and_b32_e32 v6, 0xffff0000, v6
	v_and_b32_e32 v16, 0xffff0000, v16
	v_max_f32_e32 v16, v16, v16
	v_max_f32_e32 v6, v6, v6
	v_min_f32_e32 v20, v6, v16
	v_max_f32_e32 v6, v6, v16
	v_cndmask_b32_e64 v16, v6, v20, s[28:29]
	v_and_b32_e32 v6, 0x7f800000, v16
	v_cmp_ne_u32_e32 vcc, s56, v6
                                        ; implicit-def: $vgpr20
	s_and_saveexec_b64 s[30:31], vcc
	s_xor_b64 vcc, exec, s[30:31]
; %bb.524:                              ;   in Loop: Header=BB12_387 Depth=4
	v_bfe_u32 v6, v16, 16, 1
	v_add3_u32 v20, v16, v6, s57
                                        ; implicit-def: $vgpr16
; %bb.525:                              ;   in Loop: Header=BB12_387 Depth=4
	s_andn2_saveexec_b64 s[30:31], vcc
	s_cbranch_execz .LBB12_527
; %bb.526:                              ;   in Loop: Header=BB12_387 Depth=4
	buffer_load_dword v20, off, s[0:3], s33 offset:128 ; 4-byte Folded Reload
	buffer_load_dword v21, off, s[0:3], s33 offset:132 ; 4-byte Folded Reload
	v_or_b32_e32 v6, 0x10000, v16
	s_waitcnt vmcnt(1)
	v_cmp_eq_u32_sdwa vcc, v16, v20 src0_sel:WORD_0 src1_sel:DWORD
	v_cndmask_b32_e32 v20, v6, v16, vcc
.LBB12_527:                             ;   in Loop: Header=BB12_387 Depth=4
	s_or_b64 exec, exec, s[30:31]
	v_lshlrev_b32_e32 v6, 16, v7
	v_lshlrev_b32_e32 v16, 16, v17
	v_max_f32_e32 v16, v16, v16
	v_max_f32_e32 v6, v6, v6
	s_waitcnt vmcnt(0)
	v_min_f32_e32 v21, v6, v16
	v_max_f32_e32 v6, v6, v16
	v_cndmask_b32_e64 v21, v6, v21, s[28:29]
	v_and_b32_e32 v6, 0x7f800000, v21
	v_cmp_ne_u32_e32 vcc, s56, v6
                                        ; implicit-def: $vgpr6
                                        ; kill: killed $vgpr6
	s_and_saveexec_b64 s[30:31], vcc
	s_xor_b64 vcc, exec, s[30:31]
	s_cbranch_execz .LBB12_529
; %bb.528:                              ;   in Loop: Header=BB12_387 Depth=4
	v_bfe_u32 v6, v21, 16, 1
	v_add3_u32 v6, v21, v6, s57
	buffer_store_dword v6, off, s[0:3], s33 offset:292 ; 4-byte Folded Spill
                                        ; implicit-def: $vgpr21
.LBB12_529:                             ;   in Loop: Header=BB12_387 Depth=4
	s_andn2_saveexec_b64 s[30:31], vcc
	s_cbranch_execz .LBB12_531
; %bb.530:                              ;   in Loop: Header=BB12_387 Depth=4
	buffer_load_dword v22, off, s[0:3], s33 offset:128 ; 4-byte Folded Reload
	buffer_load_dword v23, off, s[0:3], s33 offset:132 ; 4-byte Folded Reload
	v_or_b32_e32 v6, 0x10000, v21
	s_waitcnt vmcnt(1)
	v_cmp_eq_u32_sdwa vcc, v21, v22 src0_sel:WORD_0 src1_sel:DWORD
	v_cndmask_b32_e32 v6, v6, v21, vcc
	buffer_store_dword v6, off, s[0:3], s33 offset:292 ; 4-byte Folded Spill
.LBB12_531:                             ;   in Loop: Header=BB12_387 Depth=4
	s_or_b64 exec, exec, s[30:31]
	v_and_b32_e32 v6, 0xffff0000, v7
	v_and_b32_e32 v7, 0xffff0000, v17
	v_max_f32_e32 v7, v7, v7
	v_max_f32_e32 v6, v6, v6
	v_min_f32_e32 v16, v6, v7
	v_max_f32_e32 v6, v6, v7
	v_cndmask_b32_e64 v17, v6, v16, s[28:29]
	v_and_b32_e32 v6, 0x7f800000, v17
	v_cmp_ne_u32_e32 vcc, s56, v6
                                        ; implicit-def: $vgpr16
	s_and_saveexec_b64 s[30:31], vcc
	s_xor_b64 vcc, exec, s[30:31]
; %bb.532:                              ;   in Loop: Header=BB12_387 Depth=4
	v_bfe_u32 v6, v17, 16, 1
	v_add3_u32 v16, v17, v6, s57
                                        ; implicit-def: $vgpr17
; %bb.533:                              ;   in Loop: Header=BB12_387 Depth=4
	s_andn2_saveexec_b64 s[30:31], vcc
	s_cbranch_execz .LBB12_535
; %bb.534:                              ;   in Loop: Header=BB12_387 Depth=4
	buffer_load_dword v21, off, s[0:3], s33 offset:128 ; 4-byte Folded Reload
	buffer_load_dword v22, off, s[0:3], s33 offset:132 ; 4-byte Folded Reload
	v_or_b32_e32 v6, 0x10000, v17
	s_waitcnt vmcnt(1)
	v_cmp_eq_u32_sdwa vcc, v17, v21 src0_sel:WORD_0 src1_sel:DWORD
	v_cndmask_b32_e32 v16, v6, v17, vcc
.LBB12_535:                             ;   in Loop: Header=BB12_387 Depth=4
	s_or_b64 exec, exec, s[30:31]
	v_lshlrev_b32_e32 v6, 16, v8
	v_lshlrev_b32_e32 v7, 16, v18
	v_max_f32_e32 v7, v7, v7
	v_max_f32_e32 v6, v6, v6
	v_min_f32_e32 v17, v6, v7
	v_max_f32_e32 v6, v6, v7
	v_cndmask_b32_e64 v21, v6, v17, s[28:29]
	v_and_b32_e32 v6, 0x7f800000, v21
	v_cmp_ne_u32_e32 vcc, s56, v6
                                        ; implicit-def: $vgpr6
                                        ; kill: killed $vgpr6
	s_and_saveexec_b64 s[30:31], vcc
	s_xor_b64 vcc, exec, s[30:31]
	s_cbranch_execz .LBB12_537
; %bb.536:                              ;   in Loop: Header=BB12_387 Depth=4
	v_bfe_u32 v6, v21, 16, 1
	v_add3_u32 v6, v21, v6, s57
	buffer_store_dword v6, off, s[0:3], s33 offset:300 ; 4-byte Folded Spill
                                        ; implicit-def: $vgpr21
.LBB12_537:                             ;   in Loop: Header=BB12_387 Depth=4
	s_andn2_saveexec_b64 s[30:31], vcc
	s_cbranch_execz .LBB12_539
; %bb.538:                              ;   in Loop: Header=BB12_387 Depth=4
	buffer_load_dword v22, off, s[0:3], s33 offset:128 ; 4-byte Folded Reload
	buffer_load_dword v23, off, s[0:3], s33 offset:132 ; 4-byte Folded Reload
	v_or_b32_e32 v6, 0x10000, v21
	s_waitcnt vmcnt(1)
	v_cmp_eq_u32_sdwa vcc, v21, v22 src0_sel:WORD_0 src1_sel:DWORD
	v_cndmask_b32_e32 v6, v6, v21, vcc
	buffer_store_dword v6, off, s[0:3], s33 offset:300 ; 4-byte Folded Spill
.LBB12_539:                             ;   in Loop: Header=BB12_387 Depth=4
	s_or_b64 exec, exec, s[30:31]
	v_and_b32_e32 v6, 0xffff0000, v8
	v_and_b32_e32 v7, 0xffff0000, v18
	v_max_f32_e32 v7, v7, v7
	v_max_f32_e32 v6, v6, v6
	v_min_f32_e32 v8, v6, v7
	v_max_f32_e32 v6, v6, v7
	v_cndmask_b32_e64 v18, v6, v8, s[28:29]
	v_and_b32_e32 v6, 0x7f800000, v18
	v_cmp_ne_u32_e32 vcc, s56, v6
                                        ; implicit-def: $vgpr17
	s_and_saveexec_b64 s[30:31], vcc
	s_xor_b64 vcc, exec, s[30:31]
; %bb.540:                              ;   in Loop: Header=BB12_387 Depth=4
	v_bfe_u32 v6, v18, 16, 1
	v_add3_u32 v17, v18, v6, s57
                                        ; implicit-def: $vgpr18
; %bb.541:                              ;   in Loop: Header=BB12_387 Depth=4
	s_andn2_saveexec_b64 s[30:31], vcc
	s_cbranch_execz .LBB12_543
; %bb.542:                              ;   in Loop: Header=BB12_387 Depth=4
	buffer_load_dword v7, off, s[0:3], s33 offset:128 ; 4-byte Folded Reload
	buffer_load_dword v8, off, s[0:3], s33 offset:132 ; 4-byte Folded Reload
	v_or_b32_e32 v6, 0x10000, v18
	s_waitcnt vmcnt(1)
	v_cmp_eq_u32_sdwa vcc, v18, v7 src0_sel:WORD_0 src1_sel:DWORD
	v_cndmask_b32_e32 v17, v6, v18, vcc
.LBB12_543:                             ;   in Loop: Header=BB12_387 Depth=4
	s_or_b64 exec, exec, s[30:31]
	v_lshlrev_b32_e32 v6, 16, v9
	v_lshlrev_b32_e32 v7, 16, v19
	v_max_f32_e32 v7, v7, v7
	v_max_f32_e32 v6, v6, v6
	s_waitcnt vmcnt(0)
	v_min_f32_e32 v8, v6, v7
	v_max_f32_e32 v6, v6, v7
	v_cndmask_b32_e64 v21, v6, v8, s[28:29]
	v_and_b32_e32 v6, 0x7f800000, v21
	v_cmp_ne_u32_e32 vcc, s56, v6
                                        ; implicit-def: $vgpr6
                                        ; kill: killed $vgpr6
	s_and_saveexec_b64 s[30:31], vcc
	s_xor_b64 vcc, exec, s[30:31]
	s_cbranch_execz .LBB12_545
; %bb.544:                              ;   in Loop: Header=BB12_387 Depth=4
	v_bfe_u32 v6, v21, 16, 1
	v_add3_u32 v6, v21, v6, s57
	buffer_store_dword v6, off, s[0:3], s33 offset:308 ; 4-byte Folded Spill
                                        ; implicit-def: $vgpr21
.LBB12_545:                             ;   in Loop: Header=BB12_387 Depth=4
	s_andn2_saveexec_b64 s[30:31], vcc
	s_cbranch_execz .LBB12_547
; %bb.546:                              ;   in Loop: Header=BB12_387 Depth=4
	buffer_load_dword v7, off, s[0:3], s33 offset:128 ; 4-byte Folded Reload
	buffer_load_dword v8, off, s[0:3], s33 offset:132 ; 4-byte Folded Reload
	v_or_b32_e32 v6, 0x10000, v21
	s_waitcnt vmcnt(1)
	v_cmp_eq_u32_sdwa vcc, v21, v7 src0_sel:WORD_0 src1_sel:DWORD
	v_cndmask_b32_e32 v6, v6, v21, vcc
	buffer_store_dword v6, off, s[0:3], s33 offset:308 ; 4-byte Folded Spill
.LBB12_547:                             ;   in Loop: Header=BB12_387 Depth=4
	s_or_b64 exec, exec, s[30:31]
	v_and_b32_e32 v6, 0xffff0000, v9
	v_and_b32_e32 v7, 0xffff0000, v19
	v_max_f32_e32 v7, v7, v7
	v_max_f32_e32 v6, v6, v6
	s_waitcnt vmcnt(1)
	v_min_f32_e32 v8, v6, v7
	v_max_f32_e32 v6, v6, v7
	v_cndmask_b32_e64 v19, v6, v8, s[28:29]
	v_and_b32_e32 v6, 0x7f800000, v19
	v_cmp_ne_u32_e32 vcc, s56, v6
                                        ; implicit-def: $vgpr18
	s_and_saveexec_b64 s[30:31], vcc
	s_xor_b64 vcc, exec, s[30:31]
; %bb.548:                              ;   in Loop: Header=BB12_387 Depth=4
	v_bfe_u32 v6, v19, 16, 1
	v_add3_u32 v18, v19, v6, s57
                                        ; implicit-def: $vgpr19
; %bb.549:                              ;   in Loop: Header=BB12_387 Depth=4
	s_andn2_saveexec_b64 s[30:31], vcc
	s_cbranch_execz .LBB12_551
; %bb.550:                              ;   in Loop: Header=BB12_387 Depth=4
	buffer_load_dword v7, off, s[0:3], s33 offset:128 ; 4-byte Folded Reload
	buffer_load_dword v8, off, s[0:3], s33 offset:132 ; 4-byte Folded Reload
	v_or_b32_e32 v6, 0x10000, v19
	s_waitcnt vmcnt(1)
	v_cmp_eq_u32_sdwa vcc, v19, v7 src0_sel:WORD_0 src1_sel:DWORD
	v_cndmask_b32_e32 v18, v6, v19, vcc
.LBB12_551:                             ;   in Loop: Header=BB12_387 Depth=4
	s_or_b64 exec, exec, s[30:31]
	v_lshlrev_b32_e32 v6, 16, v2
	v_lshlrev_b32_e32 v7, 16, v28
	v_max_f32_e32 v7, v7, v7
	v_max_f32_e32 v6, v6, v6
	s_waitcnt vmcnt(0)
	v_min_f32_e32 v8, v6, v7
	v_max_f32_e32 v6, v6, v7
	v_cndmask_b32_e64 v21, v6, v8, s[28:29]
	v_and_b32_e32 v6, 0x7f800000, v21
	v_cmp_ne_u32_e32 vcc, s56, v6
                                        ; implicit-def: $vgpr19
	s_and_saveexec_b64 s[30:31], vcc
	s_xor_b64 vcc, exec, s[30:31]
; %bb.552:                              ;   in Loop: Header=BB12_387 Depth=4
	v_bfe_u32 v6, v21, 16, 1
	v_add3_u32 v19, v21, v6, s57
                                        ; implicit-def: $vgpr21
; %bb.553:                              ;   in Loop: Header=BB12_387 Depth=4
	s_andn2_saveexec_b64 s[30:31], vcc
	s_cbranch_execz .LBB12_555
; %bb.554:                              ;   in Loop: Header=BB12_387 Depth=4
	buffer_load_dword v7, off, s[0:3], s33 offset:128 ; 4-byte Folded Reload
	buffer_load_dword v8, off, s[0:3], s33 offset:132 ; 4-byte Folded Reload
	v_or_b32_e32 v6, 0x10000, v21
	s_waitcnt vmcnt(1)
	v_cmp_eq_u32_sdwa vcc, v21, v7 src0_sel:WORD_0 src1_sel:DWORD
	v_cndmask_b32_e32 v19, v6, v21, vcc
.LBB12_555:                             ;   in Loop: Header=BB12_387 Depth=4
	s_or_b64 exec, exec, s[30:31]
	v_and_b32_e32 v2, 0xffff0000, v2
	v_and_b32_e32 v6, 0xffff0000, v28
	v_max_f32_e32 v6, v6, v6
	v_max_f32_e32 v2, v2, v2
	v_min_f32_e32 v7, v2, v6
	v_max_f32_e32 v2, v2, v6
	v_cndmask_b32_e64 v21, v2, v7, s[28:29]
	v_and_b32_e32 v2, 0x7f800000, v21
	v_cmp_ne_u32_e32 vcc, s56, v2
                                        ; implicit-def: $vgpr2
	s_and_saveexec_b64 s[30:31], vcc
	s_xor_b64 vcc, exec, s[30:31]
; %bb.556:                              ;   in Loop: Header=BB12_387 Depth=4
	v_bfe_u32 v2, v21, 16, 1
	v_add3_u32 v2, v21, v2, s57
                                        ; implicit-def: $vgpr21
; %bb.557:                              ;   in Loop: Header=BB12_387 Depth=4
	s_andn2_saveexec_b64 s[30:31], vcc
	s_cbranch_execz .LBB12_559
; %bb.558:                              ;   in Loop: Header=BB12_387 Depth=4
	buffer_load_dword v6, off, s[0:3], s33 offset:128 ; 4-byte Folded Reload
	buffer_load_dword v7, off, s[0:3], s33 offset:132 ; 4-byte Folded Reload
	v_or_b32_e32 v2, 0x10000, v21
	s_waitcnt vmcnt(1)
	v_cmp_eq_u32_sdwa vcc, v21, v6 src0_sel:WORD_0 src1_sel:DWORD
	v_cndmask_b32_e32 v2, v2, v21, vcc
.LBB12_559:                             ;   in Loop: Header=BB12_387 Depth=4
	s_or_b64 exec, exec, s[30:31]
	v_lshlrev_b32_e32 v6, 16, v3
	s_waitcnt vmcnt(0)
	v_lshlrev_b32_e32 v7, 16, v29
	v_max_f32_e32 v7, v7, v7
	v_max_f32_e32 v6, v6, v6
	v_min_f32_e32 v8, v6, v7
	v_max_f32_e32 v6, v6, v7
	v_cndmask_b32_e64 v22, v6, v8, s[28:29]
	v_and_b32_e32 v6, 0x7f800000, v22
	v_cmp_ne_u32_e32 vcc, s56, v6
                                        ; implicit-def: $vgpr21
	s_and_saveexec_b64 s[30:31], vcc
	s_xor_b64 vcc, exec, s[30:31]
; %bb.560:                              ;   in Loop: Header=BB12_387 Depth=4
	v_bfe_u32 v6, v22, 16, 1
	v_add3_u32 v21, v22, v6, s57
                                        ; implicit-def: $vgpr22
; %bb.561:                              ;   in Loop: Header=BB12_387 Depth=4
	s_andn2_saveexec_b64 s[30:31], vcc
	s_cbranch_execz .LBB12_563
; %bb.562:                              ;   in Loop: Header=BB12_387 Depth=4
	buffer_load_dword v7, off, s[0:3], s33 offset:128 ; 4-byte Folded Reload
	buffer_load_dword v8, off, s[0:3], s33 offset:132 ; 4-byte Folded Reload
	v_or_b32_e32 v6, 0x10000, v22
	s_waitcnt vmcnt(1)
	v_cmp_eq_u32_sdwa vcc, v22, v7 src0_sel:WORD_0 src1_sel:DWORD
	v_cndmask_b32_e32 v21, v6, v22, vcc
.LBB12_563:                             ;   in Loop: Header=BB12_387 Depth=4
	s_or_b64 exec, exec, s[30:31]
	v_and_b32_e32 v3, 0xffff0000, v3
	v_and_b32_e32 v6, 0xffff0000, v29
	v_max_f32_e32 v6, v6, v6
	v_max_f32_e32 v3, v3, v3
	v_min_f32_e32 v7, v3, v6
	v_max_f32_e32 v3, v3, v6
	v_cndmask_b32_e64 v22, v3, v7, s[28:29]
	v_and_b32_e32 v3, 0x7f800000, v22
	v_cmp_ne_u32_e32 vcc, s56, v3
                                        ; implicit-def: $vgpr3
	s_and_saveexec_b64 s[30:31], vcc
	s_xor_b64 vcc, exec, s[30:31]
; %bb.564:                              ;   in Loop: Header=BB12_387 Depth=4
	v_bfe_u32 v3, v22, 16, 1
	v_add3_u32 v3, v22, v3, s57
                                        ; implicit-def: $vgpr22
; %bb.565:                              ;   in Loop: Header=BB12_387 Depth=4
	s_andn2_saveexec_b64 s[30:31], vcc
	s_cbranch_execz .LBB12_567
; %bb.566:                              ;   in Loop: Header=BB12_387 Depth=4
	buffer_load_dword v6, off, s[0:3], s33 offset:128 ; 4-byte Folded Reload
	buffer_load_dword v7, off, s[0:3], s33 offset:132 ; 4-byte Folded Reload
	v_or_b32_e32 v3, 0x10000, v22
	s_waitcnt vmcnt(1)
	v_cmp_eq_u32_sdwa vcc, v22, v6 src0_sel:WORD_0 src1_sel:DWORD
	v_cndmask_b32_e32 v3, v3, v22, vcc
.LBB12_567:                             ;   in Loop: Header=BB12_387 Depth=4
	s_or_b64 exec, exec, s[30:31]
	v_lshlrev_b32_e32 v6, 16, v4
	s_waitcnt vmcnt(0)
	v_lshlrev_b32_e32 v7, 16, v30
	v_max_f32_e32 v7, v7, v7
	v_max_f32_e32 v6, v6, v6
	v_min_f32_e32 v8, v6, v7
	v_max_f32_e32 v6, v6, v7
	v_cndmask_b32_e64 v23, v6, v8, s[28:29]
	v_and_b32_e32 v6, 0x7f800000, v23
	v_cmp_ne_u32_e32 vcc, s56, v6
                                        ; implicit-def: $vgpr22
	s_and_saveexec_b64 s[30:31], vcc
	s_xor_b64 vcc, exec, s[30:31]
; %bb.568:                              ;   in Loop: Header=BB12_387 Depth=4
	v_bfe_u32 v6, v23, 16, 1
	v_add3_u32 v22, v23, v6, s57
                                        ; implicit-def: $vgpr23
; %bb.569:                              ;   in Loop: Header=BB12_387 Depth=4
	s_andn2_saveexec_b64 s[30:31], vcc
	s_cbranch_execz .LBB12_571
; %bb.570:                              ;   in Loop: Header=BB12_387 Depth=4
	buffer_load_dword v7, off, s[0:3], s33 offset:128 ; 4-byte Folded Reload
	buffer_load_dword v8, off, s[0:3], s33 offset:132 ; 4-byte Folded Reload
	v_or_b32_e32 v6, 0x10000, v23
	s_waitcnt vmcnt(1)
	v_cmp_eq_u32_sdwa vcc, v23, v7 src0_sel:WORD_0 src1_sel:DWORD
	v_cndmask_b32_e32 v22, v6, v23, vcc
.LBB12_571:                             ;   in Loop: Header=BB12_387 Depth=4
	s_or_b64 exec, exec, s[30:31]
	v_and_b32_e32 v4, 0xffff0000, v4
	v_and_b32_e32 v6, 0xffff0000, v30
	v_max_f32_e32 v6, v6, v6
	v_max_f32_e32 v4, v4, v4
	v_min_f32_e32 v7, v4, v6
	v_max_f32_e32 v4, v4, v6
	v_cndmask_b32_e64 v23, v4, v7, s[28:29]
	v_and_b32_e32 v4, 0x7f800000, v23
	v_cmp_ne_u32_e32 vcc, s56, v4
                                        ; implicit-def: $vgpr4
	s_and_saveexec_b64 s[30:31], vcc
	s_xor_b64 vcc, exec, s[30:31]
; %bb.572:                              ;   in Loop: Header=BB12_387 Depth=4
	v_bfe_u32 v4, v23, 16, 1
	v_add3_u32 v4, v23, v4, s57
                                        ; implicit-def: $vgpr23
; %bb.573:                              ;   in Loop: Header=BB12_387 Depth=4
	s_andn2_saveexec_b64 s[30:31], vcc
	s_cbranch_execz .LBB12_575
; %bb.574:                              ;   in Loop: Header=BB12_387 Depth=4
	buffer_load_dword v6, off, s[0:3], s33 offset:128 ; 4-byte Folded Reload
	buffer_load_dword v7, off, s[0:3], s33 offset:132 ; 4-byte Folded Reload
	v_or_b32_e32 v4, 0x10000, v23
	s_waitcnt vmcnt(1)
	v_cmp_eq_u32_sdwa vcc, v23, v6 src0_sel:WORD_0 src1_sel:DWORD
	v_cndmask_b32_e32 v4, v4, v23, vcc
.LBB12_575:                             ;   in Loop: Header=BB12_387 Depth=4
	s_or_b64 exec, exec, s[30:31]
	v_lshlrev_b32_e32 v6, 16, v5
	s_waitcnt vmcnt(0)
	v_lshlrev_b32_e32 v7, 16, v31
	v_max_f32_e32 v7, v7, v7
	v_max_f32_e32 v6, v6, v6
	v_min_f32_e32 v8, v6, v7
	v_max_f32_e32 v6, v6, v7
	v_cndmask_b32_e64 v28, v6, v8, s[28:29]
	v_and_b32_e32 v6, 0x7f800000, v28
	v_cmp_ne_u32_e32 vcc, s56, v6
                                        ; implicit-def: $vgpr23
	s_and_saveexec_b64 s[30:31], vcc
	s_xor_b64 vcc, exec, s[30:31]
; %bb.576:                              ;   in Loop: Header=BB12_387 Depth=4
	v_bfe_u32 v6, v28, 16, 1
	v_add3_u32 v23, v28, v6, s57
                                        ; implicit-def: $vgpr28
; %bb.577:                              ;   in Loop: Header=BB12_387 Depth=4
	s_andn2_saveexec_b64 s[30:31], vcc
	s_cbranch_execz .LBB12_579
; %bb.578:                              ;   in Loop: Header=BB12_387 Depth=4
	buffer_load_dword v7, off, s[0:3], s33 offset:128 ; 4-byte Folded Reload
	buffer_load_dword v8, off, s[0:3], s33 offset:132 ; 4-byte Folded Reload
	v_or_b32_e32 v6, 0x10000, v28
	s_waitcnt vmcnt(1)
	v_cmp_eq_u32_sdwa vcc, v28, v7 src0_sel:WORD_0 src1_sel:DWORD
	v_cndmask_b32_e32 v23, v6, v28, vcc
.LBB12_579:                             ;   in Loop: Header=BB12_387 Depth=4
	s_or_b64 exec, exec, s[30:31]
	v_and_b32_e32 v5, 0xffff0000, v5
	v_and_b32_e32 v6, 0xffff0000, v31
	v_max_f32_e32 v6, v6, v6
	v_max_f32_e32 v5, v5, v5
	v_min_f32_e32 v7, v5, v6
	v_max_f32_e32 v5, v5, v6
	v_cndmask_b32_e64 v28, v5, v7, s[28:29]
	v_and_b32_e32 v5, 0x7f800000, v28
	v_cmp_ne_u32_e32 vcc, s56, v5
                                        ; implicit-def: $vgpr5
	s_and_saveexec_b64 s[30:31], vcc
	s_xor_b64 vcc, exec, s[30:31]
; %bb.580:                              ;   in Loop: Header=BB12_387 Depth=4
	v_bfe_u32 v5, v28, 16, 1
	v_add3_u32 v5, v28, v5, s57
                                        ; implicit-def: $vgpr28
; %bb.581:                              ;   in Loop: Header=BB12_387 Depth=4
	s_andn2_saveexec_b64 s[30:31], vcc
	s_cbranch_execz .LBB12_583
; %bb.582:                              ;   in Loop: Header=BB12_387 Depth=4
	buffer_load_dword v6, off, s[0:3], s33 offset:128 ; 4-byte Folded Reload
	buffer_load_dword v7, off, s[0:3], s33 offset:132 ; 4-byte Folded Reload
	v_or_b32_e32 v5, 0x10000, v28
	s_waitcnt vmcnt(1)
	v_cmp_eq_u32_sdwa vcc, v28, v6 src0_sel:WORD_0 src1_sel:DWORD
	v_cndmask_b32_e32 v5, v5, v28, vcc
.LBB12_583:                             ;   in Loop: Header=BB12_387 Depth=4
	s_or_b64 exec, exec, s[30:31]
	v_lshlrev_b32_e32 v6, 16, v40
	s_waitcnt vmcnt(0)
	v_lshlrev_b32_e32 v7, 16, v44
	v_max_f32_e32 v7, v7, v7
	v_max_f32_e32 v6, v6, v6
	v_min_f32_e32 v8, v6, v7
	v_max_f32_e32 v6, v6, v7
	v_cndmask_b32_e64 v29, v6, v8, s[28:29]
	v_and_b32_e32 v6, 0x7f800000, v29
	v_cmp_ne_u32_e32 vcc, s56, v6
                                        ; implicit-def: $vgpr28
	s_and_saveexec_b64 s[30:31], vcc
	s_xor_b64 vcc, exec, s[30:31]
; %bb.584:                              ;   in Loop: Header=BB12_387 Depth=4
	v_bfe_u32 v6, v29, 16, 1
	v_add3_u32 v28, v29, v6, s57
                                        ; implicit-def: $vgpr29
; %bb.585:                              ;   in Loop: Header=BB12_387 Depth=4
	s_andn2_saveexec_b64 s[30:31], vcc
	s_cbranch_execz .LBB12_587
; %bb.586:                              ;   in Loop: Header=BB12_387 Depth=4
	buffer_load_dword v7, off, s[0:3], s33 offset:128 ; 4-byte Folded Reload
	buffer_load_dword v8, off, s[0:3], s33 offset:132 ; 4-byte Folded Reload
	v_or_b32_e32 v6, 0x10000, v29
	s_waitcnt vmcnt(1)
	v_cmp_eq_u32_sdwa vcc, v29, v7 src0_sel:WORD_0 src1_sel:DWORD
	v_cndmask_b32_e32 v28, v6, v29, vcc
.LBB12_587:                             ;   in Loop: Header=BB12_387 Depth=4
	s_or_b64 exec, exec, s[30:31]
	v_and_b32_e32 v6, 0xffff0000, v40
	v_and_b32_e32 v7, 0xffff0000, v44
	v_max_f32_e32 v7, v7, v7
	v_max_f32_e32 v6, v6, v6
	s_waitcnt vmcnt(0)
	v_min_f32_e32 v8, v6, v7
	v_max_f32_e32 v6, v6, v7
	v_cndmask_b32_e64 v30, v6, v8, s[28:29]
	v_and_b32_e32 v6, 0x7f800000, v30
	v_cmp_ne_u32_e32 vcc, s56, v6
                                        ; implicit-def: $vgpr29
	s_and_saveexec_b64 s[30:31], vcc
	s_xor_b64 vcc, exec, s[30:31]
; %bb.588:                              ;   in Loop: Header=BB12_387 Depth=4
	v_bfe_u32 v6, v30, 16, 1
	v_add3_u32 v29, v30, v6, s57
                                        ; implicit-def: $vgpr30
; %bb.589:                              ;   in Loop: Header=BB12_387 Depth=4
	s_andn2_saveexec_b64 s[30:31], vcc
	s_cbranch_execz .LBB12_591
; %bb.590:                              ;   in Loop: Header=BB12_387 Depth=4
	buffer_load_dword v7, off, s[0:3], s33 offset:128 ; 4-byte Folded Reload
	buffer_load_dword v8, off, s[0:3], s33 offset:132 ; 4-byte Folded Reload
	v_or_b32_e32 v6, 0x10000, v30
	s_waitcnt vmcnt(1)
	v_cmp_eq_u32_sdwa vcc, v30, v7 src0_sel:WORD_0 src1_sel:DWORD
	v_cndmask_b32_e32 v29, v6, v30, vcc
.LBB12_591:                             ;   in Loop: Header=BB12_387 Depth=4
	s_or_b64 exec, exec, s[30:31]
	v_lshlrev_b32_e32 v6, 16, v41
	v_lshlrev_b32_e32 v7, 16, v45
	v_max_f32_e32 v7, v7, v7
	v_max_f32_e32 v6, v6, v6
	s_waitcnt vmcnt(0)
	v_min_f32_e32 v8, v6, v7
	v_max_f32_e32 v6, v6, v7
	v_cndmask_b32_e64 v31, v6, v8, s[28:29]
	v_and_b32_e32 v6, 0x7f800000, v31
	v_cmp_ne_u32_e32 vcc, s56, v6
                                        ; implicit-def: $vgpr30
	s_and_saveexec_b64 s[30:31], vcc
	s_xor_b64 vcc, exec, s[30:31]
; %bb.592:                              ;   in Loop: Header=BB12_387 Depth=4
	v_bfe_u32 v6, v31, 16, 1
	v_add3_u32 v30, v31, v6, s57
                                        ; implicit-def: $vgpr31
; %bb.593:                              ;   in Loop: Header=BB12_387 Depth=4
	s_andn2_saveexec_b64 s[30:31], vcc
	s_cbranch_execz .LBB12_595
; %bb.594:                              ;   in Loop: Header=BB12_387 Depth=4
	buffer_load_dword v7, off, s[0:3], s33 offset:128 ; 4-byte Folded Reload
	buffer_load_dword v8, off, s[0:3], s33 offset:132 ; 4-byte Folded Reload
	v_or_b32_e32 v6, 0x10000, v31
	s_waitcnt vmcnt(1)
	v_cmp_eq_u32_sdwa vcc, v31, v7 src0_sel:WORD_0 src1_sel:DWORD
	v_cndmask_b32_e32 v30, v6, v31, vcc
.LBB12_595:                             ;   in Loop: Header=BB12_387 Depth=4
	s_or_b64 exec, exec, s[30:31]
	v_and_b32_e32 v6, 0xffff0000, v41
	v_and_b32_e32 v7, 0xffff0000, v45
	v_max_f32_e32 v7, v7, v7
	v_max_f32_e32 v6, v6, v6
	s_waitcnt vmcnt(0)
	v_min_f32_e32 v8, v6, v7
	v_max_f32_e32 v6, v6, v7
	v_cndmask_b32_e64 v32, v6, v8, s[28:29]
	v_and_b32_e32 v6, 0x7f800000, v32
	v_cmp_ne_u32_e32 vcc, s56, v6
                                        ; implicit-def: $vgpr31
	s_and_saveexec_b64 s[30:31], vcc
	s_xor_b64 vcc, exec, s[30:31]
; %bb.596:                              ;   in Loop: Header=BB12_387 Depth=4
	v_bfe_u32 v6, v32, 16, 1
	v_add3_u32 v31, v32, v6, s57
                                        ; implicit-def: $vgpr32
; %bb.597:                              ;   in Loop: Header=BB12_387 Depth=4
	s_andn2_saveexec_b64 s[30:31], vcc
	s_cbranch_execz .LBB12_599
; %bb.598:                              ;   in Loop: Header=BB12_387 Depth=4
	buffer_load_dword v7, off, s[0:3], s33 offset:128 ; 4-byte Folded Reload
	buffer_load_dword v8, off, s[0:3], s33 offset:132 ; 4-byte Folded Reload
	v_or_b32_e32 v6, 0x10000, v32
	s_waitcnt vmcnt(1)
	v_cmp_eq_u32_sdwa vcc, v32, v7 src0_sel:WORD_0 src1_sel:DWORD
	v_cndmask_b32_e32 v31, v6, v32, vcc
.LBB12_599:                             ;   in Loop: Header=BB12_387 Depth=4
	s_or_b64 exec, exec, s[30:31]
	v_lshlrev_b32_e32 v6, 16, v42
	v_lshlrev_b32_e32 v7, 16, v46
	v_max_f32_e32 v7, v7, v7
	v_max_f32_e32 v6, v6, v6
	s_waitcnt vmcnt(0)
	v_min_f32_e32 v8, v6, v7
	v_max_f32_e32 v6, v6, v7
	v_cndmask_b32_e64 v32, v6, v8, s[28:29]
	v_and_b32_e32 v6, 0x7f800000, v32
	v_cmp_ne_u32_e32 vcc, s56, v6
                                        ; implicit-def: $vgpr40
	s_and_saveexec_b64 s[30:31], vcc
	s_xor_b64 vcc, exec, s[30:31]
; %bb.600:                              ;   in Loop: Header=BB12_387 Depth=4
	v_bfe_u32 v6, v32, 16, 1
	v_add3_u32 v40, v32, v6, s57
                                        ; implicit-def: $vgpr32
; %bb.601:                              ;   in Loop: Header=BB12_387 Depth=4
	s_andn2_saveexec_b64 s[30:31], vcc
	s_cbranch_execz .LBB12_603
; %bb.602:                              ;   in Loop: Header=BB12_387 Depth=4
	buffer_load_dword v7, off, s[0:3], s33 offset:128 ; 4-byte Folded Reload
	buffer_load_dword v8, off, s[0:3], s33 offset:132 ; 4-byte Folded Reload
	v_or_b32_e32 v6, 0x10000, v32
	s_waitcnt vmcnt(1)
	v_cmp_eq_u32_sdwa vcc, v32, v7 src0_sel:WORD_0 src1_sel:DWORD
	v_cndmask_b32_e32 v40, v6, v32, vcc
.LBB12_603:                             ;   in Loop: Header=BB12_387 Depth=4
	s_or_b64 exec, exec, s[30:31]
	v_and_b32_e32 v6, 0xffff0000, v42
	v_and_b32_e32 v7, 0xffff0000, v46
	v_max_f32_e32 v7, v7, v7
	v_max_f32_e32 v6, v6, v6
	s_waitcnt vmcnt(0)
	v_min_f32_e32 v8, v6, v7
	v_max_f32_e32 v6, v6, v7
	v_cndmask_b32_e64 v32, v6, v8, s[28:29]
	v_and_b32_e32 v6, 0x7f800000, v32
	v_cmp_ne_u32_e32 vcc, s56, v6
                                        ; implicit-def: $vgpr41
	s_and_saveexec_b64 s[30:31], vcc
	s_xor_b64 vcc, exec, s[30:31]
; %bb.604:                              ;   in Loop: Header=BB12_387 Depth=4
	v_bfe_u32 v6, v32, 16, 1
	v_add3_u32 v41, v32, v6, s57
                                        ; implicit-def: $vgpr32
; %bb.605:                              ;   in Loop: Header=BB12_387 Depth=4
	s_andn2_saveexec_b64 s[30:31], vcc
	s_cbranch_execz .LBB12_607
; %bb.606:                              ;   in Loop: Header=BB12_387 Depth=4
	buffer_load_dword v7, off, s[0:3], s33 offset:128 ; 4-byte Folded Reload
	buffer_load_dword v8, off, s[0:3], s33 offset:132 ; 4-byte Folded Reload
	v_or_b32_e32 v6, 0x10000, v32
	s_waitcnt vmcnt(1)
	v_cmp_eq_u32_sdwa vcc, v32, v7 src0_sel:WORD_0 src1_sel:DWORD
	v_cndmask_b32_e32 v41, v6, v32, vcc
.LBB12_607:                             ;   in Loop: Header=BB12_387 Depth=4
	s_or_b64 exec, exec, s[30:31]
	v_lshlrev_b32_e32 v6, 16, v43
	v_lshlrev_b32_e32 v7, 16, v47
	v_max_f32_e32 v7, v7, v7
	v_max_f32_e32 v6, v6, v6
	s_waitcnt vmcnt(0)
	v_min_f32_e32 v8, v6, v7
	v_max_f32_e32 v6, v6, v7
	v_cndmask_b32_e64 v32, v6, v8, s[28:29]
	v_and_b32_e32 v6, 0x7f800000, v32
	v_cmp_ne_u32_e32 vcc, s56, v6
                                        ; implicit-def: $vgpr42
	s_and_saveexec_b64 s[30:31], vcc
	s_xor_b64 vcc, exec, s[30:31]
; %bb.608:                              ;   in Loop: Header=BB12_387 Depth=4
	v_bfe_u32 v6, v32, 16, 1
	v_add3_u32 v42, v32, v6, s57
                                        ; implicit-def: $vgpr32
; %bb.609:                              ;   in Loop: Header=BB12_387 Depth=4
	s_andn2_saveexec_b64 s[30:31], vcc
	s_cbranch_execz .LBB12_611
; %bb.610:                              ;   in Loop: Header=BB12_387 Depth=4
	buffer_load_dword v7, off, s[0:3], s33 offset:128 ; 4-byte Folded Reload
	buffer_load_dword v8, off, s[0:3], s33 offset:132 ; 4-byte Folded Reload
	v_or_b32_e32 v6, 0x10000, v32
	s_waitcnt vmcnt(1)
	v_cmp_eq_u32_sdwa vcc, v32, v7 src0_sel:WORD_0 src1_sel:DWORD
	v_cndmask_b32_e32 v42, v6, v32, vcc
.LBB12_611:                             ;   in Loop: Header=BB12_387 Depth=4
	s_or_b64 exec, exec, s[30:31]
	v_and_b32_e32 v6, 0xffff0000, v43
	v_and_b32_e32 v7, 0xffff0000, v47
	v_max_f32_e32 v7, v7, v7
	v_max_f32_e32 v6, v6, v6
	s_waitcnt vmcnt(0)
	v_min_f32_e32 v8, v6, v7
	v_max_f32_e32 v6, v6, v7
	v_cndmask_b32_e64 v32, v6, v8, s[28:29]
	v_and_b32_e32 v6, 0x7f800000, v32
	v_cmp_ne_u32_e32 vcc, s56, v6
                                        ; implicit-def: $vgpr43
	s_and_saveexec_b64 s[30:31], vcc
	s_xor_b64 vcc, exec, s[30:31]
; %bb.612:                              ;   in Loop: Header=BB12_387 Depth=4
	v_bfe_u32 v6, v32, 16, 1
	v_add3_u32 v43, v32, v6, s57
                                        ; implicit-def: $vgpr32
; %bb.613:                              ;   in Loop: Header=BB12_387 Depth=4
	s_andn2_saveexec_b64 s[30:31], vcc
	s_cbranch_execz .LBB12_615
; %bb.614:                              ;   in Loop: Header=BB12_387 Depth=4
	buffer_load_dword v7, off, s[0:3], s33 offset:128 ; 4-byte Folded Reload
	buffer_load_dword v8, off, s[0:3], s33 offset:132 ; 4-byte Folded Reload
	v_or_b32_e32 v6, 0x10000, v32
	s_waitcnt vmcnt(1)
	v_cmp_eq_u32_sdwa vcc, v32, v7 src0_sel:WORD_0 src1_sel:DWORD
	v_cndmask_b32_e32 v43, v6, v32, vcc
.LBB12_615:                             ;   in Loop: Header=BB12_387 Depth=4
	s_or_b64 exec, exec, s[30:31]
	v_lshlrev_b32_e32 v6, 16, v48
	v_lshlrev_b32_e32 v7, 16, v52
	v_max_f32_e32 v7, v7, v7
	v_max_f32_e32 v6, v6, v6
	s_waitcnt vmcnt(0)
	v_min_f32_e32 v8, v6, v7
	v_max_f32_e32 v6, v6, v7
	v_cndmask_b32_e64 v32, v6, v8, s[28:29]
	v_and_b32_e32 v6, 0x7f800000, v32
	v_cmp_ne_u32_e32 vcc, s56, v6
                                        ; implicit-def: $vgpr44
	s_and_saveexec_b64 s[30:31], vcc
	s_xor_b64 vcc, exec, s[30:31]
; %bb.616:                              ;   in Loop: Header=BB12_387 Depth=4
	v_bfe_u32 v6, v32, 16, 1
	v_add3_u32 v44, v32, v6, s57
                                        ; implicit-def: $vgpr32
; %bb.617:                              ;   in Loop: Header=BB12_387 Depth=4
	s_andn2_saveexec_b64 s[30:31], vcc
	s_cbranch_execz .LBB12_619
; %bb.618:                              ;   in Loop: Header=BB12_387 Depth=4
	buffer_load_dword v7, off, s[0:3], s33 offset:128 ; 4-byte Folded Reload
	buffer_load_dword v8, off, s[0:3], s33 offset:132 ; 4-byte Folded Reload
	v_or_b32_e32 v6, 0x10000, v32
	s_waitcnt vmcnt(1)
	v_cmp_eq_u32_sdwa vcc, v32, v7 src0_sel:WORD_0 src1_sel:DWORD
	v_cndmask_b32_e32 v44, v6, v32, vcc
.LBB12_619:                             ;   in Loop: Header=BB12_387 Depth=4
	s_or_b64 exec, exec, s[30:31]
	v_and_b32_e32 v6, 0xffff0000, v48
	v_and_b32_e32 v7, 0xffff0000, v52
	v_max_f32_e32 v7, v7, v7
	v_max_f32_e32 v6, v6, v6
	s_waitcnt vmcnt(0)
	v_min_f32_e32 v8, v6, v7
	v_max_f32_e32 v6, v6, v7
	v_cndmask_b32_e64 v32, v6, v8, s[28:29]
	v_and_b32_e32 v6, 0x7f800000, v32
	v_cmp_ne_u32_e32 vcc, s56, v6
                                        ; implicit-def: $vgpr48
	s_and_saveexec_b64 s[30:31], vcc
	s_xor_b64 vcc, exec, s[30:31]
; %bb.620:                              ;   in Loop: Header=BB12_387 Depth=4
	v_bfe_u32 v6, v32, 16, 1
	v_add3_u32 v48, v32, v6, s57
                                        ; implicit-def: $vgpr32
; %bb.621:                              ;   in Loop: Header=BB12_387 Depth=4
	s_andn2_saveexec_b64 s[30:31], vcc
	s_cbranch_execz .LBB12_623
; %bb.622:                              ;   in Loop: Header=BB12_387 Depth=4
	buffer_load_dword v7, off, s[0:3], s33 offset:128 ; 4-byte Folded Reload
	buffer_load_dword v8, off, s[0:3], s33 offset:132 ; 4-byte Folded Reload
	v_or_b32_e32 v6, 0x10000, v32
	s_waitcnt vmcnt(1)
	v_cmp_eq_u32_sdwa vcc, v32, v7 src0_sel:WORD_0 src1_sel:DWORD
	v_cndmask_b32_e32 v48, v6, v32, vcc
.LBB12_623:                             ;   in Loop: Header=BB12_387 Depth=4
	s_or_b64 exec, exec, s[30:31]
	v_lshlrev_b32_e32 v6, 16, v49
	v_lshlrev_b32_e32 v7, 16, v53
	v_max_f32_e32 v7, v7, v7
	v_max_f32_e32 v6, v6, v6
	s_waitcnt vmcnt(0)
	v_min_f32_e32 v8, v6, v7
	v_max_f32_e32 v6, v6, v7
	v_cndmask_b32_e64 v32, v6, v8, s[28:29]
	v_and_b32_e32 v6, 0x7f800000, v32
	v_cmp_ne_u32_e32 vcc, s56, v6
                                        ; implicit-def: $vgpr52
	s_and_saveexec_b64 s[30:31], vcc
	s_xor_b64 vcc, exec, s[30:31]
; %bb.624:                              ;   in Loop: Header=BB12_387 Depth=4
	v_bfe_u32 v6, v32, 16, 1
	v_add3_u32 v52, v32, v6, s57
                                        ; implicit-def: $vgpr32
; %bb.625:                              ;   in Loop: Header=BB12_387 Depth=4
	s_andn2_saveexec_b64 s[30:31], vcc
	s_cbranch_execz .LBB12_627
; %bb.626:                              ;   in Loop: Header=BB12_387 Depth=4
	buffer_load_dword v7, off, s[0:3], s33 offset:128 ; 4-byte Folded Reload
	buffer_load_dword v8, off, s[0:3], s33 offset:132 ; 4-byte Folded Reload
	v_or_b32_e32 v6, 0x10000, v32
	s_waitcnt vmcnt(1)
	v_cmp_eq_u32_sdwa vcc, v32, v7 src0_sel:WORD_0 src1_sel:DWORD
	v_cndmask_b32_e32 v52, v6, v32, vcc
.LBB12_627:                             ;   in Loop: Header=BB12_387 Depth=4
	s_or_b64 exec, exec, s[30:31]
	v_and_b32_e32 v6, 0xffff0000, v49
	v_and_b32_e32 v7, 0xffff0000, v53
	v_max_f32_e32 v7, v7, v7
	v_max_f32_e32 v6, v6, v6
	s_waitcnt vmcnt(0)
	v_min_f32_e32 v8, v6, v7
	v_max_f32_e32 v6, v6, v7
	v_cndmask_b32_e64 v32, v6, v8, s[28:29]
	v_and_b32_e32 v6, 0x7f800000, v32
	v_cmp_ne_u32_e32 vcc, s56, v6
                                        ; implicit-def: $vgpr49
	s_and_saveexec_b64 s[30:31], vcc
	s_xor_b64 vcc, exec, s[30:31]
; %bb.628:                              ;   in Loop: Header=BB12_387 Depth=4
	v_bfe_u32 v6, v32, 16, 1
	v_add3_u32 v49, v32, v6, s57
                                        ; implicit-def: $vgpr32
; %bb.629:                              ;   in Loop: Header=BB12_387 Depth=4
	s_andn2_saveexec_b64 s[30:31], vcc
	s_cbranch_execz .LBB12_631
; %bb.630:                              ;   in Loop: Header=BB12_387 Depth=4
	buffer_load_dword v7, off, s[0:3], s33 offset:128 ; 4-byte Folded Reload
	buffer_load_dword v8, off, s[0:3], s33 offset:132 ; 4-byte Folded Reload
	v_or_b32_e32 v6, 0x10000, v32
	s_waitcnt vmcnt(1)
	v_cmp_eq_u32_sdwa vcc, v32, v7 src0_sel:WORD_0 src1_sel:DWORD
	v_cndmask_b32_e32 v49, v6, v32, vcc
.LBB12_631:                             ;   in Loop: Header=BB12_387 Depth=4
	s_or_b64 exec, exec, s[30:31]
	v_lshlrev_b32_e32 v6, 16, v50
	v_lshlrev_b32_e32 v7, 16, v54
	v_max_f32_e32 v7, v7, v7
	v_max_f32_e32 v6, v6, v6
	s_waitcnt vmcnt(0)
	v_min_f32_e32 v8, v6, v7
	v_max_f32_e32 v6, v6, v7
	v_cndmask_b32_e64 v33, v6, v8, s[28:29]
	v_and_b32_e32 v6, 0x7f800000, v33
	v_cmp_ne_u32_e32 vcc, s56, v6
                                        ; implicit-def: $vgpr32
	s_and_saveexec_b64 s[30:31], vcc
	s_xor_b64 vcc, exec, s[30:31]
; %bb.632:                              ;   in Loop: Header=BB12_387 Depth=4
	v_bfe_u32 v6, v33, 16, 1
	v_add3_u32 v32, v33, v6, s57
                                        ; implicit-def: $vgpr33
; %bb.633:                              ;   in Loop: Header=BB12_387 Depth=4
	s_andn2_saveexec_b64 s[30:31], vcc
	s_cbranch_execz .LBB12_635
; %bb.634:                              ;   in Loop: Header=BB12_387 Depth=4
	buffer_load_dword v7, off, s[0:3], s33 offset:128 ; 4-byte Folded Reload
	buffer_load_dword v8, off, s[0:3], s33 offset:132 ; 4-byte Folded Reload
	v_or_b32_e32 v6, 0x10000, v33
	s_waitcnt vmcnt(1)
	v_cmp_eq_u32_sdwa vcc, v33, v7 src0_sel:WORD_0 src1_sel:DWORD
	v_cndmask_b32_e32 v32, v6, v33, vcc
.LBB12_635:                             ;   in Loop: Header=BB12_387 Depth=4
	s_or_b64 exec, exec, s[30:31]
	v_and_b32_e32 v6, 0xffff0000, v50
	v_and_b32_e32 v7, 0xffff0000, v54
	v_max_f32_e32 v7, v7, v7
	v_max_f32_e32 v6, v6, v6
	s_waitcnt vmcnt(0)
	v_min_f32_e32 v8, v6, v7
	v_max_f32_e32 v6, v6, v7
	v_cndmask_b32_e64 v34, v6, v8, s[28:29]
	v_and_b32_e32 v6, 0x7f800000, v34
	v_cmp_ne_u32_e32 vcc, s56, v6
                                        ; implicit-def: $vgpr33
	s_and_saveexec_b64 s[30:31], vcc
	s_xor_b64 vcc, exec, s[30:31]
; %bb.636:                              ;   in Loop: Header=BB12_387 Depth=4
	v_bfe_u32 v6, v34, 16, 1
	v_add3_u32 v33, v34, v6, s57
                                        ; implicit-def: $vgpr34
; %bb.637:                              ;   in Loop: Header=BB12_387 Depth=4
	s_andn2_saveexec_b64 s[30:31], vcc
	s_cbranch_execz .LBB12_639
; %bb.638:                              ;   in Loop: Header=BB12_387 Depth=4
	buffer_load_dword v7, off, s[0:3], s33 offset:128 ; 4-byte Folded Reload
	buffer_load_dword v8, off, s[0:3], s33 offset:132 ; 4-byte Folded Reload
	v_or_b32_e32 v6, 0x10000, v34
	s_waitcnt vmcnt(1)
	v_cmp_eq_u32_sdwa vcc, v34, v7 src0_sel:WORD_0 src1_sel:DWORD
	v_cndmask_b32_e32 v33, v6, v34, vcc
.LBB12_639:                             ;   in Loop: Header=BB12_387 Depth=4
	s_or_b64 exec, exec, s[30:31]
	v_lshlrev_b32_e32 v6, 16, v51
	v_lshlrev_b32_e32 v7, 16, v55
	v_max_f32_e32 v7, v7, v7
	v_max_f32_e32 v6, v6, v6
	s_waitcnt vmcnt(0)
	v_min_f32_e32 v8, v6, v7
	v_max_f32_e32 v6, v6, v7
	v_cndmask_b32_e64 v35, v6, v8, s[28:29]
	v_and_b32_e32 v6, 0x7f800000, v35
	v_cmp_ne_u32_e32 vcc, s56, v6
                                        ; implicit-def: $vgpr34
	s_and_saveexec_b64 s[30:31], vcc
	s_xor_b64 vcc, exec, s[30:31]
; %bb.640:                              ;   in Loop: Header=BB12_387 Depth=4
	v_bfe_u32 v6, v35, 16, 1
	v_add3_u32 v34, v35, v6, s57
                                        ; implicit-def: $vgpr35
; %bb.641:                              ;   in Loop: Header=BB12_387 Depth=4
	s_andn2_saveexec_b64 s[30:31], vcc
	s_cbranch_execz .LBB12_643
; %bb.642:                              ;   in Loop: Header=BB12_387 Depth=4
	buffer_load_dword v7, off, s[0:3], s33 offset:128 ; 4-byte Folded Reload
	buffer_load_dword v8, off, s[0:3], s33 offset:132 ; 4-byte Folded Reload
	v_or_b32_e32 v6, 0x10000, v35
	s_waitcnt vmcnt(1)
	v_cmp_eq_u32_sdwa vcc, v35, v7 src0_sel:WORD_0 src1_sel:DWORD
	v_cndmask_b32_e32 v34, v6, v35, vcc
.LBB12_643:                             ;   in Loop: Header=BB12_387 Depth=4
	s_or_b64 exec, exec, s[30:31]
	v_and_b32_e32 v6, 0xffff0000, v51
	v_and_b32_e32 v7, 0xffff0000, v55
	v_max_f32_e32 v7, v7, v7
	v_max_f32_e32 v6, v6, v6
	s_waitcnt vmcnt(0)
	v_min_f32_e32 v8, v6, v7
	v_max_f32_e32 v6, v6, v7
	v_cndmask_b32_e64 v50, v6, v8, s[28:29]
	v_and_b32_e32 v6, 0x7f800000, v50
	v_cmp_ne_u32_e32 vcc, s56, v6
                                        ; implicit-def: $vgpr35
	s_and_saveexec_b64 s[30:31], vcc
	s_xor_b64 vcc, exec, s[30:31]
; %bb.644:                              ;   in Loop: Header=BB12_387 Depth=4
	v_bfe_u32 v6, v50, 16, 1
	v_add3_u32 v35, v50, v6, s57
                                        ; implicit-def: $vgpr50
; %bb.645:                              ;   in Loop: Header=BB12_387 Depth=4
	s_andn2_saveexec_b64 s[30:31], vcc
	s_cbranch_execz .LBB12_647
; %bb.646:                              ;   in Loop: Header=BB12_387 Depth=4
	buffer_load_dword v7, off, s[0:3], s33 offset:128 ; 4-byte Folded Reload
	buffer_load_dword v8, off, s[0:3], s33 offset:132 ; 4-byte Folded Reload
	v_or_b32_e32 v6, 0x10000, v50
	s_waitcnt vmcnt(1)
	v_cmp_eq_u32_sdwa vcc, v50, v7 src0_sel:WORD_0 src1_sel:DWORD
	v_cndmask_b32_e32 v35, v6, v50, vcc
.LBB12_647:                             ;   in Loop: Header=BB12_387 Depth=4
	s_or_b64 exec, exec, s[30:31]
	v_lshrrev_b32_e32 v19, 16, v19
	v_and_or_b32 v2, v2, s46, v19
	v_lshrrev_b32_e32 v19, 16, v22
	v_and_or_b32 v4, v4, s46, v19
	;; [unrolled: 2-line block ×3, first 2 shown]
	buffer_load_dword v19, off, s[0:3], s33 offset:292 ; 4-byte Folded Reload
	v_lshrrev_b32_e32 v21, 16, v21
	v_and_or_b32 v3, v3, s46, v21
	v_lshrrev_b32_e32 v6, 16, v30
	v_and_or_b32 v7, v31, s46, v6
	v_lshrrev_b32_e32 v6, 16, v28
	s_waitcnt vmcnt(1)
	v_lshrrev_b32_e32 v8, 16, v40
	v_lshrrev_b32_e32 v9, 16, v42
	v_and_or_b32 v6, v29, s46, v6
	v_and_or_b32 v8, v41, s46, v8
	;; [unrolled: 1-line block ×3, first 2 shown]
	s_waitcnt vmcnt(0)
	v_lshrrev_b32_e32 v19, 16, v19
	v_and_or_b32 v21, v16, s46, v19
	buffer_load_dword v16, off, s[0:3], s33 offset:284 ; 4-byte Folded Reload
	v_lshrrev_b32_e32 v19, 16, v34
	v_and_or_b32 v19, v35, s46, v19
	s_waitcnt vmcnt(0)
	v_lshrrev_b32_e32 v16, 16, v16
	v_and_or_b32 v20, v20, s46, v16
	buffer_load_dword v16, off, s[0:3], s33 offset:300 ; 4-byte Folded Reload
	s_waitcnt vmcnt(0)
	v_lshrrev_b32_e32 v16, 16, v16
	v_and_or_b32 v22, v17, s46, v16
	buffer_load_dword v16, off, s[0:3], s33 offset:308 ; 4-byte Folded Reload
	s_waitcnt vmcnt(0)
	v_lshrrev_b32_e32 v16, 16, v16
	v_and_or_b32 v23, v18, s46, v16
	v_lshrrev_b32_e32 v16, 16, v52
	v_and_or_b32 v17, v49, s46, v16
	v_lshrrev_b32_e32 v16, 16, v44
	v_lshrrev_b32_e32 v18, 16, v32
	v_and_or_b32 v16, v48, s46, v16
	v_and_or_b32 v18, v33, s46, v18
	global_store_dwordx4 v[0:1], v[20:23], off glc slc
	global_store_dwordx4 v[0:1], v[2:5], off offset:1024 glc slc
	global_store_dwordx4 v[0:1], v[6:9], off offset:2048 glc slc
	;; [unrolled: 1-line block ×3, first 2 shown]
	v_add_co_u32_e32 v0, vcc, 0x1000, v0
	v_addc_co_u32_e32 v1, vcc, 0, v1, vcc
	s_and_saveexec_b64 s[30:31], s[94:95]
	s_cbranch_execz .LBB12_386
; %bb.648:                              ;   in Loop: Header=BB12_387 Depth=4
	buffer_load_dword v2, off, s[0:3], s33 offset:152 ; 4-byte Folded Reload
	buffer_load_dword v3, off, s[0:3], s33 offset:240 ; 4-byte Folded Reload
	s_waitcnt vmcnt(0)
	v_sub_u32_e32 v3, v3, v2
	buffer_store_dword v3, off, s[0:3], s33 offset:240 ; 4-byte Folded Spill
	buffer_load_dword v2, off, s[0:3], s33 offset:332 ; 4-byte Folded Reload
	s_nop 0
	buffer_load_dword v3, off, s[0:3], s33 offset:336 ; 4-byte Folded Reload
	s_waitcnt vmcnt(1)
	v_add_co_u32_e32 v0, vcc, v0, v2
	s_waitcnt vmcnt(0)
	v_addc_co_u32_e32 v1, vcc, v1, v3, vcc
	v_add_co_u32_e32 v10, vcc, v10, v2
	v_addc_co_u32_e32 v11, vcc, v11, v3, vcc
	v_add_co_u32_e32 v60, vcc, v60, v2
	v_addc_co_u32_e32 v61, vcc, v61, v3, vcc
	s_branch .LBB12_386
.LBB12_649:                             ;   in Loop: Header=BB12_303 Depth=3
	buffer_load_dword v0, off, s[0:3], s33 offset:484 ; 4-byte Folded Reload
	v_mov_b32_e32 v7, v41
	s_and_saveexec_b64 s[42:43], s[90:91]
	s_cbranch_execnz .LBB12_897
	s_branch .LBB12_1124
.LBB12_650:                             ;   in Loop: Header=BB12_303 Depth=3
	s_or_b64 exec, exec, s[42:43]
	buffer_load_dword v41, off, s[0:3], s33 offset:524 ; 4-byte Folded Reload
	buffer_load_dword v44, off, s[0:3], s33 offset:528 ; 4-byte Folded Reload
	;; [unrolled: 1-line block ×11, first 2 shown]
	s_and_b64 s[28:29], s[92:93], exec
.LBB12_651:                             ;   in Loop: Header=BB12_303 Depth=3
	s_or_b64 exec, exec, s[40:41]
	s_and_saveexec_b64 s[40:41], s[28:29]
	s_cbranch_execz .LBB12_781
; %bb.652:                              ;   in Loop: Header=BB12_303 Depth=3
	buffer_load_dword v3, off, s[0:3], s33 offset:216 ; 4-byte Folded Reload
	buffer_load_dword v4, off, s[0:3], s33 offset:220 ; 4-byte Folded Reload
	;; [unrolled: 1-line block ×4, first 2 shown]
	s_and_b32 s28, 0xffff, s9
	v_lshlrev_b32_e32 v2, 16, v56
	s_cmp_eq_u32 s28, 0
	v_max_f32_e32 v2, v2, v2
	s_cselect_b64 vcc, -1, 0
	s_waitcnt vmcnt(3)
	v_lshlrev_b32_e32 v3, 16, v3
	v_max_f32_e32 v3, v3, v3
	s_waitcnt vmcnt(2)
	v_min_f32_e32 v4, v2, v3
	v_max_f32_e32 v2, v2, v3
	v_cndmask_b32_e32 v3, v2, v4, vcc
	v_and_b32_e32 v2, 0x7f800000, v3
	v_cmp_ne_u32_e64 s[28:29], s56, v2
                                        ; implicit-def: $vgpr2
	s_and_saveexec_b64 s[42:43], s[28:29]
	s_xor_b64 s[28:29], exec, s[42:43]
; %bb.653:                              ;   in Loop: Header=BB12_303 Depth=3
	v_bfe_u32 v2, v3, 16, 1
	v_add3_u32 v2, v3, v2, s57
                                        ; implicit-def: $vgpr3
; %bb.654:                              ;   in Loop: Header=BB12_303 Depth=3
	s_andn2_saveexec_b64 s[42:43], s[28:29]
	s_cbranch_execz .LBB12_656
; %bb.655:                              ;   in Loop: Header=BB12_303 Depth=3
	buffer_load_dword v4, off, s[0:3], s33 offset:128 ; 4-byte Folded Reload
	buffer_load_dword v5, off, s[0:3], s33 offset:132 ; 4-byte Folded Reload
	v_or_b32_e32 v2, 0x10000, v3
	s_waitcnt vmcnt(1)
	v_cmp_eq_u32_sdwa s[28:29], v3, v4 src0_sel:WORD_0 src1_sel:DWORD
	v_cndmask_b32_e64 v2, v2, v3, s[28:29]
.LBB12_656:                             ;   in Loop: Header=BB12_303 Depth=3
	s_or_b64 exec, exec, s[42:43]
	buffer_load_dword v4, off, s[0:3], s33 offset:216 ; 4-byte Folded Reload
	buffer_load_dword v5, off, s[0:3], s33 offset:220 ; 4-byte Folded Reload
	;; [unrolled: 1-line block ×4, first 2 shown]
	v_and_b32_e32 v3, 0xffff0000, v56
	v_max_f32_e32 v3, v3, v3
	s_waitcnt vmcnt(3)
	v_and_b32_e32 v4, 0xffff0000, v4
	v_max_f32_e32 v4, v4, v4
	s_waitcnt vmcnt(2)
	v_min_f32_e32 v5, v3, v4
	v_max_f32_e32 v3, v3, v4
	v_cndmask_b32_e32 v4, v3, v5, vcc
	v_and_b32_e32 v3, 0x7f800000, v4
	v_cmp_ne_u32_e64 s[28:29], s56, v3
                                        ; implicit-def: $vgpr3
	s_and_saveexec_b64 s[42:43], s[28:29]
	s_xor_b64 s[28:29], exec, s[42:43]
; %bb.657:                              ;   in Loop: Header=BB12_303 Depth=3
	v_bfe_u32 v3, v4, 16, 1
	v_add3_u32 v3, v4, v3, s57
                                        ; implicit-def: $vgpr4
; %bb.658:                              ;   in Loop: Header=BB12_303 Depth=3
	s_andn2_saveexec_b64 s[42:43], s[28:29]
	s_cbranch_execz .LBB12_660
; %bb.659:                              ;   in Loop: Header=BB12_303 Depth=3
	buffer_load_dword v5, off, s[0:3], s33 offset:128 ; 4-byte Folded Reload
	buffer_load_dword v6, off, s[0:3], s33 offset:132 ; 4-byte Folded Reload
	v_or_b32_e32 v3, 0x10000, v4
	s_waitcnt vmcnt(1)
	v_cmp_eq_u32_sdwa s[28:29], v4, v5 src0_sel:WORD_0 src1_sel:DWORD
	v_cndmask_b32_e64 v3, v3, v4, s[28:29]
.LBB12_660:                             ;   in Loop: Header=BB12_303 Depth=3
	s_or_b64 exec, exec, s[42:43]
	buffer_load_dword v5, off, s[0:3], s33 offset:216 ; 4-byte Folded Reload
	buffer_load_dword v6, off, s[0:3], s33 offset:220 ; 4-byte Folded Reload
	;; [unrolled: 1-line block ×4, first 2 shown]
	v_lshlrev_b32_e32 v4, 16, v57
	v_max_f32_e32 v4, v4, v4
	s_waitcnt vmcnt(2)
	v_lshlrev_b32_e32 v5, 16, v6
	v_max_f32_e32 v5, v5, v5
	v_min_f32_e32 v6, v4, v5
	v_max_f32_e32 v4, v4, v5
	v_cndmask_b32_e32 v5, v4, v6, vcc
	v_and_b32_e32 v4, 0x7f800000, v5
	v_cmp_ne_u32_e64 s[28:29], s56, v4
                                        ; implicit-def: $vgpr4
	s_and_saveexec_b64 s[42:43], s[28:29]
	s_xor_b64 s[28:29], exec, s[42:43]
; %bb.661:                              ;   in Loop: Header=BB12_303 Depth=3
	v_bfe_u32 v4, v5, 16, 1
	v_add3_u32 v4, v5, v4, s57
                                        ; implicit-def: $vgpr5
; %bb.662:                              ;   in Loop: Header=BB12_303 Depth=3
	s_andn2_saveexec_b64 s[42:43], s[28:29]
	s_cbranch_execz .LBB12_664
; %bb.663:                              ;   in Loop: Header=BB12_303 Depth=3
	buffer_load_dword v6, off, s[0:3], s33 offset:128 ; 4-byte Folded Reload
	buffer_load_dword v7, off, s[0:3], s33 offset:132 ; 4-byte Folded Reload
	v_or_b32_e32 v4, 0x10000, v5
	s_waitcnt vmcnt(1)
	v_cmp_eq_u32_sdwa s[28:29], v5, v6 src0_sel:WORD_0 src1_sel:DWORD
	v_cndmask_b32_e64 v4, v4, v5, s[28:29]
.LBB12_664:                             ;   in Loop: Header=BB12_303 Depth=3
	s_or_b64 exec, exec, s[42:43]
	buffer_load_dword v6, off, s[0:3], s33 offset:216 ; 4-byte Folded Reload
	buffer_load_dword v7, off, s[0:3], s33 offset:220 ; 4-byte Folded Reload
	buffer_load_dword v8, off, s[0:3], s33 offset:224 ; 4-byte Folded Reload
	buffer_load_dword v9, off, s[0:3], s33 offset:228 ; 4-byte Folded Reload
	v_and_b32_e32 v5, 0xffff0000, v57
	v_max_f32_e32 v5, v5, v5
	s_waitcnt vmcnt(2)
	v_and_b32_e32 v6, 0xffff0000, v7
	v_max_f32_e32 v6, v6, v6
	v_min_f32_e32 v7, v5, v6
	v_max_f32_e32 v5, v5, v6
	v_cndmask_b32_e32 v6, v5, v7, vcc
	v_and_b32_e32 v5, 0x7f800000, v6
	v_cmp_ne_u32_e64 s[28:29], s56, v5
                                        ; implicit-def: $vgpr5
	s_and_saveexec_b64 s[42:43], s[28:29]
	s_xor_b64 s[28:29], exec, s[42:43]
; %bb.665:                              ;   in Loop: Header=BB12_303 Depth=3
	v_bfe_u32 v5, v6, 16, 1
	v_add3_u32 v5, v6, v5, s57
                                        ; implicit-def: $vgpr6
; %bb.666:                              ;   in Loop: Header=BB12_303 Depth=3
	s_andn2_saveexec_b64 s[42:43], s[28:29]
	s_cbranch_execz .LBB12_668
; %bb.667:                              ;   in Loop: Header=BB12_303 Depth=3
	buffer_load_dword v7, off, s[0:3], s33 offset:128 ; 4-byte Folded Reload
	buffer_load_dword v8, off, s[0:3], s33 offset:132 ; 4-byte Folded Reload
	v_or_b32_e32 v5, 0x10000, v6
	s_waitcnt vmcnt(1)
	v_cmp_eq_u32_sdwa s[28:29], v6, v7 src0_sel:WORD_0 src1_sel:DWORD
	v_cndmask_b32_e64 v5, v5, v6, s[28:29]
.LBB12_668:                             ;   in Loop: Header=BB12_303 Depth=3
	s_or_b64 exec, exec, s[42:43]
	buffer_load_dword v7, off, s[0:3], s33 offset:216 ; 4-byte Folded Reload
	buffer_load_dword v8, off, s[0:3], s33 offset:220 ; 4-byte Folded Reload
	;; [unrolled: 1-line block ×4, first 2 shown]
	v_lshlrev_b32_e32 v6, 16, v58
	v_max_f32_e32 v6, v6, v6
	s_waitcnt vmcnt(1)
	v_lshlrev_b32_e32 v7, 16, v9
	v_max_f32_e32 v7, v7, v7
	v_min_f32_e32 v8, v6, v7
	v_max_f32_e32 v6, v6, v7
	v_cndmask_b32_e32 v7, v6, v8, vcc
	v_and_b32_e32 v6, 0x7f800000, v7
	v_cmp_ne_u32_e64 s[28:29], s56, v6
                                        ; implicit-def: $vgpr6
	s_and_saveexec_b64 s[42:43], s[28:29]
	s_xor_b64 s[28:29], exec, s[42:43]
; %bb.669:                              ;   in Loop: Header=BB12_303 Depth=3
	v_bfe_u32 v6, v7, 16, 1
	v_add3_u32 v6, v7, v6, s57
                                        ; implicit-def: $vgpr7
; %bb.670:                              ;   in Loop: Header=BB12_303 Depth=3
	s_andn2_saveexec_b64 s[42:43], s[28:29]
	s_cbranch_execz .LBB12_672
; %bb.671:                              ;   in Loop: Header=BB12_303 Depth=3
	buffer_load_dword v8, off, s[0:3], s33 offset:128 ; 4-byte Folded Reload
	buffer_load_dword v9, off, s[0:3], s33 offset:132 ; 4-byte Folded Reload
	v_or_b32_e32 v6, 0x10000, v7
	s_waitcnt vmcnt(1)
	v_cmp_eq_u32_sdwa s[28:29], v7, v8 src0_sel:WORD_0 src1_sel:DWORD
	v_cndmask_b32_e64 v6, v6, v7, s[28:29]
.LBB12_672:                             ;   in Loop: Header=BB12_303 Depth=3
	s_or_b64 exec, exec, s[42:43]
	buffer_load_dword v8, off, s[0:3], s33 offset:216 ; 4-byte Folded Reload
	buffer_load_dword v9, off, s[0:3], s33 offset:220 ; 4-byte Folded Reload
	;; [unrolled: 1-line block ×4, first 2 shown]
	v_and_b32_e32 v7, 0xffff0000, v58
	v_max_f32_e32 v7, v7, v7
	s_waitcnt vmcnt(1)
	v_and_b32_e32 v8, 0xffff0000, v10
	v_max_f32_e32 v8, v8, v8
	v_min_f32_e32 v9, v7, v8
	v_max_f32_e32 v7, v7, v8
	v_cndmask_b32_e32 v8, v7, v9, vcc
	v_and_b32_e32 v7, 0x7f800000, v8
	v_cmp_ne_u32_e64 s[28:29], s56, v7
                                        ; implicit-def: $vgpr7
	s_and_saveexec_b64 s[42:43], s[28:29]
	s_xor_b64 s[28:29], exec, s[42:43]
; %bb.673:                              ;   in Loop: Header=BB12_303 Depth=3
	v_bfe_u32 v7, v8, 16, 1
	v_add3_u32 v7, v8, v7, s57
                                        ; implicit-def: $vgpr8
; %bb.674:                              ;   in Loop: Header=BB12_303 Depth=3
	s_andn2_saveexec_b64 s[42:43], s[28:29]
	s_cbranch_execz .LBB12_676
; %bb.675:                              ;   in Loop: Header=BB12_303 Depth=3
	buffer_load_dword v9, off, s[0:3], s33 offset:128 ; 4-byte Folded Reload
	buffer_load_dword v10, off, s[0:3], s33 offset:132 ; 4-byte Folded Reload
	v_or_b32_e32 v7, 0x10000, v8
	s_waitcnt vmcnt(1)
	v_cmp_eq_u32_sdwa s[28:29], v8, v9 src0_sel:WORD_0 src1_sel:DWORD
	v_cndmask_b32_e64 v7, v7, v8, s[28:29]
.LBB12_676:                             ;   in Loop: Header=BB12_303 Depth=3
	s_or_b64 exec, exec, s[42:43]
	buffer_load_dword v16, off, s[0:3], s33 offset:216 ; 4-byte Folded Reload
	buffer_load_dword v17, off, s[0:3], s33 offset:220 ; 4-byte Folded Reload
	;; [unrolled: 1-line block ×4, first 2 shown]
	v_lshlrev_b32_e32 v8, 16, v59
	v_max_f32_e32 v8, v8, v8
	s_waitcnt vmcnt(0)
	v_lshlrev_b32_e32 v9, 16, v19
	v_max_f32_e32 v9, v9, v9
	v_min_f32_e32 v10, v8, v9
	v_max_f32_e32 v8, v8, v9
	v_cndmask_b32_e32 v9, v8, v10, vcc
	v_and_b32_e32 v8, 0x7f800000, v9
	v_cmp_ne_u32_e64 s[28:29], s56, v8
                                        ; implicit-def: $vgpr8
	s_and_saveexec_b64 s[42:43], s[28:29]
	s_xor_b64 s[28:29], exec, s[42:43]
; %bb.677:                              ;   in Loop: Header=BB12_303 Depth=3
	v_bfe_u32 v8, v9, 16, 1
	v_add3_u32 v8, v9, v8, s57
                                        ; implicit-def: $vgpr9
; %bb.678:                              ;   in Loop: Header=BB12_303 Depth=3
	s_andn2_saveexec_b64 s[42:43], s[28:29]
	s_cbranch_execz .LBB12_680
; %bb.679:                              ;   in Loop: Header=BB12_303 Depth=3
	buffer_load_dword v10, off, s[0:3], s33 offset:128 ; 4-byte Folded Reload
	buffer_load_dword v11, off, s[0:3], s33 offset:132 ; 4-byte Folded Reload
	v_or_b32_e32 v8, 0x10000, v9
	s_waitcnt vmcnt(1)
	v_cmp_eq_u32_sdwa s[28:29], v9, v10 src0_sel:WORD_0 src1_sel:DWORD
	v_cndmask_b32_e64 v8, v8, v9, s[28:29]
.LBB12_680:                             ;   in Loop: Header=BB12_303 Depth=3
	s_or_b64 exec, exec, s[42:43]
	buffer_load_dword v16, off, s[0:3], s33 offset:216 ; 4-byte Folded Reload
	buffer_load_dword v17, off, s[0:3], s33 offset:220 ; 4-byte Folded Reload
	;; [unrolled: 1-line block ×4, first 2 shown]
	v_and_b32_e32 v9, 0xffff0000, v59
	v_max_f32_e32 v9, v9, v9
	s_waitcnt vmcnt(0)
	v_and_b32_e32 v10, 0xffff0000, v19
	v_max_f32_e32 v10, v10, v10
	v_min_f32_e32 v11, v9, v10
	v_max_f32_e32 v9, v9, v10
	v_cndmask_b32_e32 v10, v9, v11, vcc
	v_and_b32_e32 v9, 0x7f800000, v10
	v_cmp_ne_u32_e64 s[28:29], s56, v9
                                        ; implicit-def: $vgpr9
	s_and_saveexec_b64 s[42:43], s[28:29]
	s_xor_b64 s[28:29], exec, s[42:43]
; %bb.681:                              ;   in Loop: Header=BB12_303 Depth=3
	v_bfe_u32 v9, v10, 16, 1
	v_add3_u32 v9, v10, v9, s57
                                        ; implicit-def: $vgpr10
; %bb.682:                              ;   in Loop: Header=BB12_303 Depth=3
	s_andn2_saveexec_b64 s[42:43], s[28:29]
	s_cbranch_execz .LBB12_684
; %bb.683:                              ;   in Loop: Header=BB12_303 Depth=3
	buffer_load_dword v16, off, s[0:3], s33 offset:128 ; 4-byte Folded Reload
	buffer_load_dword v17, off, s[0:3], s33 offset:132 ; 4-byte Folded Reload
	v_or_b32_e32 v9, 0x10000, v10
	s_waitcnt vmcnt(1)
	v_cmp_eq_u32_sdwa s[28:29], v10, v16 src0_sel:WORD_0 src1_sel:DWORD
	v_cndmask_b32_e64 v9, v9, v10, s[28:29]
.LBB12_684:                             ;   in Loop: Header=BB12_303 Depth=3
	s_or_b64 exec, exec, s[42:43]
	buffer_load_dword v16, off, s[0:3], s33 offset:200 ; 4-byte Folded Reload
	buffer_load_dword v17, off, s[0:3], s33 offset:204 ; 4-byte Folded Reload
	;; [unrolled: 1-line block ×4, first 2 shown]
	v_lshlrev_b32_e32 v10, 16, v36
	v_max_f32_e32 v10, v10, v10
	s_waitcnt vmcnt(3)
	v_lshlrev_b32_e32 v11, 16, v16
	v_max_f32_e32 v11, v11, v11
	v_min_f32_e32 v16, v10, v11
	v_max_f32_e32 v10, v10, v11
	v_cndmask_b32_e32 v11, v10, v16, vcc
	v_and_b32_e32 v10, 0x7f800000, v11
	v_cmp_ne_u32_e64 s[28:29], s56, v10
                                        ; implicit-def: $vgpr10
	s_and_saveexec_b64 s[42:43], s[28:29]
	s_xor_b64 s[28:29], exec, s[42:43]
; %bb.685:                              ;   in Loop: Header=BB12_303 Depth=3
	v_bfe_u32 v10, v11, 16, 1
	v_add3_u32 v10, v11, v10, s57
                                        ; implicit-def: $vgpr11
; %bb.686:                              ;   in Loop: Header=BB12_303 Depth=3
	s_andn2_saveexec_b64 s[42:43], s[28:29]
	s_cbranch_execz .LBB12_688
; %bb.687:                              ;   in Loop: Header=BB12_303 Depth=3
	buffer_load_dword v16, off, s[0:3], s33 offset:128 ; 4-byte Folded Reload
	buffer_load_dword v17, off, s[0:3], s33 offset:132 ; 4-byte Folded Reload
	v_or_b32_e32 v10, 0x10000, v11
	s_waitcnt vmcnt(1)
	v_cmp_eq_u32_sdwa s[28:29], v11, v16 src0_sel:WORD_0 src1_sel:DWORD
	v_cndmask_b32_e64 v10, v10, v11, s[28:29]
.LBB12_688:                             ;   in Loop: Header=BB12_303 Depth=3
	s_or_b64 exec, exec, s[42:43]
	buffer_load_dword v16, off, s[0:3], s33 offset:200 ; 4-byte Folded Reload
	buffer_load_dword v17, off, s[0:3], s33 offset:204 ; 4-byte Folded Reload
	;; [unrolled: 1-line block ×4, first 2 shown]
	v_and_b32_e32 v11, 0xffff0000, v36
	v_max_f32_e32 v11, v11, v11
	s_waitcnt vmcnt(3)
	v_and_b32_e32 v16, 0xffff0000, v16
	v_max_f32_e32 v16, v16, v16
	s_waitcnt vmcnt(2)
	v_min_f32_e32 v17, v11, v16
	v_max_f32_e32 v11, v11, v16
	v_cndmask_b32_e32 v16, v11, v17, vcc
	v_and_b32_e32 v11, 0x7f800000, v16
	v_cmp_ne_u32_e64 s[28:29], s56, v11
                                        ; implicit-def: $vgpr11
	s_and_saveexec_b64 s[42:43], s[28:29]
	s_xor_b64 s[28:29], exec, s[42:43]
; %bb.689:                              ;   in Loop: Header=BB12_303 Depth=3
	v_bfe_u32 v11, v16, 16, 1
	v_add3_u32 v11, v16, v11, s57
                                        ; implicit-def: $vgpr16
; %bb.690:                              ;   in Loop: Header=BB12_303 Depth=3
	s_andn2_saveexec_b64 s[42:43], s[28:29]
	s_cbranch_execz .LBB12_692
; %bb.691:                              ;   in Loop: Header=BB12_303 Depth=3
	buffer_load_dword v17, off, s[0:3], s33 offset:128 ; 4-byte Folded Reload
	buffer_load_dword v18, off, s[0:3], s33 offset:132 ; 4-byte Folded Reload
	v_or_b32_e32 v11, 0x10000, v16
	s_waitcnt vmcnt(1)
	v_cmp_eq_u32_sdwa s[28:29], v16, v17 src0_sel:WORD_0 src1_sel:DWORD
	v_cndmask_b32_e64 v11, v11, v16, s[28:29]
.LBB12_692:                             ;   in Loop: Header=BB12_303 Depth=3
	s_or_b64 exec, exec, s[42:43]
	buffer_load_dword v17, off, s[0:3], s33 offset:200 ; 4-byte Folded Reload
	buffer_load_dword v18, off, s[0:3], s33 offset:204 ; 4-byte Folded Reload
	;; [unrolled: 1-line block ×4, first 2 shown]
	v_lshlrev_b32_e32 v16, 16, v37
	v_max_f32_e32 v16, v16, v16
	s_waitcnt vmcnt(2)
	v_lshlrev_b32_e32 v17, 16, v18
	v_max_f32_e32 v17, v17, v17
	v_min_f32_e32 v18, v16, v17
	v_max_f32_e32 v16, v16, v17
	v_cndmask_b32_e32 v17, v16, v18, vcc
	v_and_b32_e32 v16, 0x7f800000, v17
	v_cmp_ne_u32_e64 s[28:29], s56, v16
                                        ; implicit-def: $vgpr16
	s_and_saveexec_b64 s[42:43], s[28:29]
	s_xor_b64 s[28:29], exec, s[42:43]
; %bb.693:                              ;   in Loop: Header=BB12_303 Depth=3
	v_bfe_u32 v16, v17, 16, 1
	v_add3_u32 v16, v17, v16, s57
                                        ; implicit-def: $vgpr17
; %bb.694:                              ;   in Loop: Header=BB12_303 Depth=3
	s_andn2_saveexec_b64 s[42:43], s[28:29]
	s_cbranch_execz .LBB12_696
; %bb.695:                              ;   in Loop: Header=BB12_303 Depth=3
	buffer_load_dword v18, off, s[0:3], s33 offset:128 ; 4-byte Folded Reload
	buffer_load_dword v19, off, s[0:3], s33 offset:132 ; 4-byte Folded Reload
	v_or_b32_e32 v16, 0x10000, v17
	s_waitcnt vmcnt(1)
	v_cmp_eq_u32_sdwa s[28:29], v17, v18 src0_sel:WORD_0 src1_sel:DWORD
	v_cndmask_b32_e64 v16, v16, v17, s[28:29]
.LBB12_696:                             ;   in Loop: Header=BB12_303 Depth=3
	s_or_b64 exec, exec, s[42:43]
	buffer_load_dword v18, off, s[0:3], s33 offset:200 ; 4-byte Folded Reload
	buffer_load_dword v19, off, s[0:3], s33 offset:204 ; 4-byte Folded Reload
	;; [unrolled: 1-line block ×4, first 2 shown]
	v_and_b32_e32 v17, 0xffff0000, v37
	v_max_f32_e32 v17, v17, v17
	s_waitcnt vmcnt(2)
	v_and_b32_e32 v18, 0xffff0000, v19
	v_max_f32_e32 v18, v18, v18
	v_min_f32_e32 v19, v17, v18
	v_max_f32_e32 v17, v17, v18
	v_cndmask_b32_e32 v18, v17, v19, vcc
	v_and_b32_e32 v17, 0x7f800000, v18
	v_cmp_ne_u32_e64 s[28:29], s56, v17
                                        ; implicit-def: $vgpr17
	s_and_saveexec_b64 s[42:43], s[28:29]
	s_xor_b64 s[28:29], exec, s[42:43]
; %bb.697:                              ;   in Loop: Header=BB12_303 Depth=3
	v_bfe_u32 v17, v18, 16, 1
	v_add3_u32 v17, v18, v17, s57
                                        ; implicit-def: $vgpr18
; %bb.698:                              ;   in Loop: Header=BB12_303 Depth=3
	s_andn2_saveexec_b64 s[42:43], s[28:29]
	s_cbranch_execz .LBB12_700
; %bb.699:                              ;   in Loop: Header=BB12_303 Depth=3
	buffer_load_dword v19, off, s[0:3], s33 offset:128 ; 4-byte Folded Reload
	buffer_load_dword v20, off, s[0:3], s33 offset:132 ; 4-byte Folded Reload
	v_or_b32_e32 v17, 0x10000, v18
	s_waitcnt vmcnt(1)
	v_cmp_eq_u32_sdwa s[28:29], v18, v19 src0_sel:WORD_0 src1_sel:DWORD
	v_cndmask_b32_e64 v17, v17, v18, s[28:29]
.LBB12_700:                             ;   in Loop: Header=BB12_303 Depth=3
	s_or_b64 exec, exec, s[42:43]
	buffer_load_dword v19, off, s[0:3], s33 offset:200 ; 4-byte Folded Reload
	buffer_load_dword v20, off, s[0:3], s33 offset:204 ; 4-byte Folded Reload
	;; [unrolled: 1-line block ×4, first 2 shown]
	v_lshlrev_b32_e32 v18, 16, v38
	v_max_f32_e32 v18, v18, v18
	s_waitcnt vmcnt(1)
	v_lshlrev_b32_e32 v19, 16, v21
	v_max_f32_e32 v19, v19, v19
	v_min_f32_e32 v20, v18, v19
	v_max_f32_e32 v18, v18, v19
	v_cndmask_b32_e32 v19, v18, v20, vcc
	v_and_b32_e32 v18, 0x7f800000, v19
	v_cmp_ne_u32_e64 s[28:29], s56, v18
                                        ; implicit-def: $vgpr18
	s_and_saveexec_b64 s[42:43], s[28:29]
	s_xor_b64 s[28:29], exec, s[42:43]
; %bb.701:                              ;   in Loop: Header=BB12_303 Depth=3
	v_bfe_u32 v18, v19, 16, 1
	v_add3_u32 v18, v19, v18, s57
                                        ; implicit-def: $vgpr19
; %bb.702:                              ;   in Loop: Header=BB12_303 Depth=3
	s_andn2_saveexec_b64 s[42:43], s[28:29]
	s_cbranch_execz .LBB12_704
; %bb.703:                              ;   in Loop: Header=BB12_303 Depth=3
	buffer_load_dword v20, off, s[0:3], s33 offset:128 ; 4-byte Folded Reload
	buffer_load_dword v21, off, s[0:3], s33 offset:132 ; 4-byte Folded Reload
	v_or_b32_e32 v18, 0x10000, v19
	s_waitcnt vmcnt(1)
	v_cmp_eq_u32_sdwa s[28:29], v19, v20 src0_sel:WORD_0 src1_sel:DWORD
	v_cndmask_b32_e64 v18, v18, v19, s[28:29]
.LBB12_704:                             ;   in Loop: Header=BB12_303 Depth=3
	s_or_b64 exec, exec, s[42:43]
	buffer_load_dword v20, off, s[0:3], s33 offset:200 ; 4-byte Folded Reload
	buffer_load_dword v21, off, s[0:3], s33 offset:204 ; 4-byte Folded Reload
	;; [unrolled: 1-line block ×4, first 2 shown]
	v_and_b32_e32 v19, 0xffff0000, v38
	v_max_f32_e32 v19, v19, v19
	s_waitcnt vmcnt(1)
	v_and_b32_e32 v20, 0xffff0000, v22
	v_max_f32_e32 v20, v20, v20
	v_min_f32_e32 v21, v19, v20
	v_max_f32_e32 v19, v19, v20
	v_cndmask_b32_e32 v20, v19, v21, vcc
	v_and_b32_e32 v19, 0x7f800000, v20
	v_cmp_ne_u32_e64 s[28:29], s56, v19
                                        ; implicit-def: $vgpr19
	s_and_saveexec_b64 s[42:43], s[28:29]
	s_xor_b64 s[28:29], exec, s[42:43]
; %bb.705:                              ;   in Loop: Header=BB12_303 Depth=3
	v_bfe_u32 v19, v20, 16, 1
	v_add3_u32 v19, v20, v19, s57
                                        ; implicit-def: $vgpr20
; %bb.706:                              ;   in Loop: Header=BB12_303 Depth=3
	s_andn2_saveexec_b64 s[42:43], s[28:29]
	s_cbranch_execz .LBB12_708
; %bb.707:                              ;   in Loop: Header=BB12_303 Depth=3
	buffer_load_dword v21, off, s[0:3], s33 offset:128 ; 4-byte Folded Reload
	buffer_load_dword v22, off, s[0:3], s33 offset:132 ; 4-byte Folded Reload
	v_or_b32_e32 v19, 0x10000, v20
	s_waitcnt vmcnt(1)
	v_cmp_eq_u32_sdwa s[28:29], v20, v21 src0_sel:WORD_0 src1_sel:DWORD
	v_cndmask_b32_e64 v19, v19, v20, s[28:29]
.LBB12_708:                             ;   in Loop: Header=BB12_303 Depth=3
	s_or_b64 exec, exec, s[42:43]
	buffer_load_dword v28, off, s[0:3], s33 offset:200 ; 4-byte Folded Reload
	buffer_load_dword v29, off, s[0:3], s33 offset:204 ; 4-byte Folded Reload
	;; [unrolled: 1-line block ×4, first 2 shown]
	v_lshlrev_b32_e32 v20, 16, v39
	v_max_f32_e32 v20, v20, v20
	s_waitcnt vmcnt(0)
	v_lshlrev_b32_e32 v21, 16, v31
	v_max_f32_e32 v21, v21, v21
	v_min_f32_e32 v22, v20, v21
	v_max_f32_e32 v20, v20, v21
	v_cndmask_b32_e32 v21, v20, v22, vcc
	v_and_b32_e32 v20, 0x7f800000, v21
	v_cmp_ne_u32_e64 s[28:29], s56, v20
                                        ; implicit-def: $vgpr20
	s_and_saveexec_b64 s[42:43], s[28:29]
	s_xor_b64 s[28:29], exec, s[42:43]
; %bb.709:                              ;   in Loop: Header=BB12_303 Depth=3
	v_bfe_u32 v20, v21, 16, 1
	v_add3_u32 v20, v21, v20, s57
                                        ; implicit-def: $vgpr21
; %bb.710:                              ;   in Loop: Header=BB12_303 Depth=3
	s_andn2_saveexec_b64 s[42:43], s[28:29]
	s_cbranch_execz .LBB12_712
; %bb.711:                              ;   in Loop: Header=BB12_303 Depth=3
	buffer_load_dword v22, off, s[0:3], s33 offset:128 ; 4-byte Folded Reload
	buffer_load_dword v23, off, s[0:3], s33 offset:132 ; 4-byte Folded Reload
	v_or_b32_e32 v20, 0x10000, v21
	s_waitcnt vmcnt(1)
	v_cmp_eq_u32_sdwa s[28:29], v21, v22 src0_sel:WORD_0 src1_sel:DWORD
	v_cndmask_b32_e64 v20, v20, v21, s[28:29]
.LBB12_712:                             ;   in Loop: Header=BB12_303 Depth=3
	s_or_b64 exec, exec, s[42:43]
	buffer_load_dword v28, off, s[0:3], s33 offset:200 ; 4-byte Folded Reload
	buffer_load_dword v29, off, s[0:3], s33 offset:204 ; 4-byte Folded Reload
	;; [unrolled: 1-line block ×4, first 2 shown]
	v_and_b32_e32 v21, 0xffff0000, v39
	v_max_f32_e32 v21, v21, v21
	s_waitcnt vmcnt(0)
	v_and_b32_e32 v22, 0xffff0000, v31
	v_max_f32_e32 v22, v22, v22
	v_min_f32_e32 v23, v21, v22
	v_max_f32_e32 v21, v21, v22
	v_cndmask_b32_e32 v22, v21, v23, vcc
	v_and_b32_e32 v21, 0x7f800000, v22
	v_cmp_ne_u32_e64 s[28:29], s56, v21
                                        ; implicit-def: $vgpr21
	s_and_saveexec_b64 s[42:43], s[28:29]
	s_xor_b64 s[28:29], exec, s[42:43]
; %bb.713:                              ;   in Loop: Header=BB12_303 Depth=3
	v_bfe_u32 v21, v22, 16, 1
	v_add3_u32 v21, v22, v21, s57
                                        ; implicit-def: $vgpr22
; %bb.714:                              ;   in Loop: Header=BB12_303 Depth=3
	s_andn2_saveexec_b64 s[42:43], s[28:29]
	s_cbranch_execz .LBB12_716
; %bb.715:                              ;   in Loop: Header=BB12_303 Depth=3
	buffer_load_dword v28, off, s[0:3], s33 offset:128 ; 4-byte Folded Reload
	buffer_load_dword v29, off, s[0:3], s33 offset:132 ; 4-byte Folded Reload
	v_or_b32_e32 v21, 0x10000, v22
	s_waitcnt vmcnt(1)
	v_cmp_eq_u32_sdwa s[28:29], v22, v28 src0_sel:WORD_0 src1_sel:DWORD
	v_cndmask_b32_e64 v21, v21, v22, s[28:29]
.LBB12_716:                             ;   in Loop: Header=BB12_303 Depth=3
	s_or_b64 exec, exec, s[42:43]
	buffer_load_dword v28, off, s[0:3], s33 offset:184 ; 4-byte Folded Reload
	buffer_load_dword v29, off, s[0:3], s33 offset:188 ; 4-byte Folded Reload
	;; [unrolled: 1-line block ×4, first 2 shown]
	v_lshlrev_b32_e32 v22, 16, v24
	v_max_f32_e32 v22, v22, v22
	s_waitcnt vmcnt(3)
	v_lshlrev_b32_e32 v23, 16, v28
	v_max_f32_e32 v23, v23, v23
	v_min_f32_e32 v28, v22, v23
	v_max_f32_e32 v22, v22, v23
	v_cndmask_b32_e32 v23, v22, v28, vcc
	v_and_b32_e32 v22, 0x7f800000, v23
	v_cmp_ne_u32_e64 s[28:29], s56, v22
                                        ; implicit-def: $vgpr22
	s_and_saveexec_b64 s[42:43], s[28:29]
	s_xor_b64 s[28:29], exec, s[42:43]
; %bb.717:                              ;   in Loop: Header=BB12_303 Depth=3
	v_bfe_u32 v22, v23, 16, 1
	v_add3_u32 v22, v23, v22, s57
                                        ; implicit-def: $vgpr23
; %bb.718:                              ;   in Loop: Header=BB12_303 Depth=3
	s_andn2_saveexec_b64 s[42:43], s[28:29]
	s_cbranch_execz .LBB12_720
; %bb.719:                              ;   in Loop: Header=BB12_303 Depth=3
	buffer_load_dword v28, off, s[0:3], s33 offset:128 ; 4-byte Folded Reload
	buffer_load_dword v29, off, s[0:3], s33 offset:132 ; 4-byte Folded Reload
	v_or_b32_e32 v22, 0x10000, v23
	s_waitcnt vmcnt(1)
	v_cmp_eq_u32_sdwa s[28:29], v23, v28 src0_sel:WORD_0 src1_sel:DWORD
	v_cndmask_b32_e64 v22, v22, v23, s[28:29]
.LBB12_720:                             ;   in Loop: Header=BB12_303 Depth=3
	s_or_b64 exec, exec, s[42:43]
	buffer_load_dword v28, off, s[0:3], s33 offset:184 ; 4-byte Folded Reload
	buffer_load_dword v29, off, s[0:3], s33 offset:188 ; 4-byte Folded Reload
	;; [unrolled: 1-line block ×4, first 2 shown]
	v_and_b32_e32 v23, 0xffff0000, v24
	v_max_f32_e32 v23, v23, v23
	s_waitcnt vmcnt(3)
	v_and_b32_e32 v24, 0xffff0000, v28
	v_max_f32_e32 v24, v24, v24
	v_min_f32_e32 v28, v23, v24
	v_max_f32_e32 v23, v23, v24
	v_cndmask_b32_e32 v24, v23, v28, vcc
	v_and_b32_e32 v23, 0x7f800000, v24
	v_cmp_ne_u32_e64 s[28:29], s56, v23
                                        ; implicit-def: $vgpr23
	s_and_saveexec_b64 s[42:43], s[28:29]
	s_xor_b64 s[28:29], exec, s[42:43]
; %bb.721:                              ;   in Loop: Header=BB12_303 Depth=3
	v_bfe_u32 v23, v24, 16, 1
	v_add3_u32 v23, v24, v23, s57
                                        ; implicit-def: $vgpr24
; %bb.722:                              ;   in Loop: Header=BB12_303 Depth=3
	s_andn2_saveexec_b64 s[42:43], s[28:29]
	s_cbranch_execz .LBB12_724
; %bb.723:                              ;   in Loop: Header=BB12_303 Depth=3
	buffer_load_dword v28, off, s[0:3], s33 offset:128 ; 4-byte Folded Reload
	buffer_load_dword v29, off, s[0:3], s33 offset:132 ; 4-byte Folded Reload
	v_or_b32_e32 v23, 0x10000, v24
	s_waitcnt vmcnt(1)
	v_cmp_eq_u32_sdwa s[28:29], v24, v28 src0_sel:WORD_0 src1_sel:DWORD
	v_cndmask_b32_e64 v23, v23, v24, s[28:29]
.LBB12_724:                             ;   in Loop: Header=BB12_303 Depth=3
	s_or_b64 exec, exec, s[42:43]
	buffer_load_dword v28, off, s[0:3], s33 offset:184 ; 4-byte Folded Reload
	buffer_load_dword v29, off, s[0:3], s33 offset:188 ; 4-byte Folded Reload
	;; [unrolled: 1-line block ×4, first 2 shown]
	v_lshlrev_b32_e32 v24, 16, v25
	v_max_f32_e32 v24, v24, v24
	s_waitcnt vmcnt(2)
	v_lshlrev_b32_e32 v28, 16, v29
	v_max_f32_e32 v28, v28, v28
	v_min_f32_e32 v29, v24, v28
	v_max_f32_e32 v24, v24, v28
	v_cndmask_b32_e32 v28, v24, v29, vcc
	v_and_b32_e32 v24, 0x7f800000, v28
	v_cmp_ne_u32_e64 s[28:29], s56, v24
                                        ; implicit-def: $vgpr24
	s_and_saveexec_b64 s[42:43], s[28:29]
	s_xor_b64 s[28:29], exec, s[42:43]
; %bb.725:                              ;   in Loop: Header=BB12_303 Depth=3
	v_bfe_u32 v24, v28, 16, 1
	v_add3_u32 v24, v28, v24, s57
                                        ; implicit-def: $vgpr28
; %bb.726:                              ;   in Loop: Header=BB12_303 Depth=3
	s_andn2_saveexec_b64 s[42:43], s[28:29]
	s_cbranch_execz .LBB12_728
; %bb.727:                              ;   in Loop: Header=BB12_303 Depth=3
	buffer_load_dword v29, off, s[0:3], s33 offset:128 ; 4-byte Folded Reload
	buffer_load_dword v30, off, s[0:3], s33 offset:132 ; 4-byte Folded Reload
	v_or_b32_e32 v24, 0x10000, v28
	s_waitcnt vmcnt(1)
	v_cmp_eq_u32_sdwa s[28:29], v28, v29 src0_sel:WORD_0 src1_sel:DWORD
	v_cndmask_b32_e64 v24, v24, v28, s[28:29]
.LBB12_728:                             ;   in Loop: Header=BB12_303 Depth=3
	s_or_b64 exec, exec, s[42:43]
	buffer_load_dword v28, off, s[0:3], s33 offset:184 ; 4-byte Folded Reload
	buffer_load_dword v29, off, s[0:3], s33 offset:188 ; 4-byte Folded Reload
	buffer_load_dword v30, off, s[0:3], s33 offset:192 ; 4-byte Folded Reload
	buffer_load_dword v31, off, s[0:3], s33 offset:196 ; 4-byte Folded Reload
	v_and_b32_e32 v25, 0xffff0000, v25
	v_max_f32_e32 v25, v25, v25
	s_waitcnt vmcnt(2)
	v_and_b32_e32 v28, 0xffff0000, v29
	v_max_f32_e32 v28, v28, v28
	v_min_f32_e32 v29, v25, v28
	v_max_f32_e32 v25, v25, v28
	v_cndmask_b32_e32 v28, v25, v29, vcc
	v_and_b32_e32 v25, 0x7f800000, v28
	v_cmp_ne_u32_e64 s[28:29], s56, v25
                                        ; implicit-def: $vgpr25
	s_and_saveexec_b64 s[42:43], s[28:29]
	s_xor_b64 s[28:29], exec, s[42:43]
; %bb.729:                              ;   in Loop: Header=BB12_303 Depth=3
	v_bfe_u32 v25, v28, 16, 1
	v_add3_u32 v25, v28, v25, s57
                                        ; implicit-def: $vgpr28
; %bb.730:                              ;   in Loop: Header=BB12_303 Depth=3
	s_andn2_saveexec_b64 s[42:43], s[28:29]
	s_cbranch_execz .LBB12_732
; %bb.731:                              ;   in Loop: Header=BB12_303 Depth=3
	buffer_load_dword v29, off, s[0:3], s33 offset:128 ; 4-byte Folded Reload
	buffer_load_dword v30, off, s[0:3], s33 offset:132 ; 4-byte Folded Reload
	v_or_b32_e32 v25, 0x10000, v28
	s_waitcnt vmcnt(1)
	v_cmp_eq_u32_sdwa s[28:29], v28, v29 src0_sel:WORD_0 src1_sel:DWORD
	v_cndmask_b32_e64 v25, v25, v28, s[28:29]
.LBB12_732:                             ;   in Loop: Header=BB12_303 Depth=3
	s_or_b64 exec, exec, s[42:43]
	buffer_load_dword v29, off, s[0:3], s33 offset:184 ; 4-byte Folded Reload
	buffer_load_dword v30, off, s[0:3], s33 offset:188 ; 4-byte Folded Reload
	;; [unrolled: 1-line block ×4, first 2 shown]
	v_lshlrev_b32_e32 v28, 16, v26
	v_max_f32_e32 v28, v28, v28
	s_waitcnt vmcnt(1)
	v_lshlrev_b32_e32 v29, 16, v31
	v_max_f32_e32 v29, v29, v29
	v_min_f32_e32 v30, v28, v29
	v_max_f32_e32 v28, v28, v29
	v_cndmask_b32_e32 v29, v28, v30, vcc
	v_and_b32_e32 v28, 0x7f800000, v29
	v_cmp_ne_u32_e64 s[28:29], s56, v28
                                        ; implicit-def: $vgpr28
	s_and_saveexec_b64 s[42:43], s[28:29]
	s_xor_b64 s[28:29], exec, s[42:43]
; %bb.733:                              ;   in Loop: Header=BB12_303 Depth=3
	v_bfe_u32 v28, v29, 16, 1
	v_add3_u32 v28, v29, v28, s57
                                        ; implicit-def: $vgpr29
; %bb.734:                              ;   in Loop: Header=BB12_303 Depth=3
	s_andn2_saveexec_b64 s[42:43], s[28:29]
	s_cbranch_execz .LBB12_736
; %bb.735:                              ;   in Loop: Header=BB12_303 Depth=3
	buffer_load_dword v30, off, s[0:3], s33 offset:128 ; 4-byte Folded Reload
	buffer_load_dword v31, off, s[0:3], s33 offset:132 ; 4-byte Folded Reload
	v_or_b32_e32 v28, 0x10000, v29
	s_waitcnt vmcnt(1)
	v_cmp_eq_u32_sdwa s[28:29], v29, v30 src0_sel:WORD_0 src1_sel:DWORD
	v_cndmask_b32_e64 v28, v28, v29, s[28:29]
.LBB12_736:                             ;   in Loop: Header=BB12_303 Depth=3
	s_or_b64 exec, exec, s[42:43]
	buffer_load_dword v29, off, s[0:3], s33 offset:184 ; 4-byte Folded Reload
	buffer_load_dword v30, off, s[0:3], s33 offset:188 ; 4-byte Folded Reload
	;; [unrolled: 1-line block ×4, first 2 shown]
	v_and_b32_e32 v26, 0xffff0000, v26
	v_max_f32_e32 v26, v26, v26
	s_waitcnt vmcnt(1)
	v_and_b32_e32 v29, 0xffff0000, v31
	v_max_f32_e32 v29, v29, v29
	v_min_f32_e32 v30, v26, v29
	v_max_f32_e32 v26, v26, v29
	v_cndmask_b32_e32 v29, v26, v30, vcc
	v_and_b32_e32 v26, 0x7f800000, v29
	v_cmp_ne_u32_e64 s[28:29], s56, v26
                                        ; implicit-def: $vgpr26
	s_and_saveexec_b64 s[42:43], s[28:29]
	s_xor_b64 s[28:29], exec, s[42:43]
; %bb.737:                              ;   in Loop: Header=BB12_303 Depth=3
	v_bfe_u32 v26, v29, 16, 1
	v_add3_u32 v26, v29, v26, s57
                                        ; implicit-def: $vgpr29
; %bb.738:                              ;   in Loop: Header=BB12_303 Depth=3
	s_andn2_saveexec_b64 s[42:43], s[28:29]
	s_cbranch_execz .LBB12_740
; %bb.739:                              ;   in Loop: Header=BB12_303 Depth=3
	buffer_load_dword v30, off, s[0:3], s33 offset:128 ; 4-byte Folded Reload
	buffer_load_dword v31, off, s[0:3], s33 offset:132 ; 4-byte Folded Reload
	v_or_b32_e32 v26, 0x10000, v29
	s_waitcnt vmcnt(1)
	v_cmp_eq_u32_sdwa s[28:29], v29, v30 src0_sel:WORD_0 src1_sel:DWORD
	v_cndmask_b32_e64 v26, v26, v29, s[28:29]
.LBB12_740:                             ;   in Loop: Header=BB12_303 Depth=3
	s_or_b64 exec, exec, s[42:43]
	buffer_load_dword v30, off, s[0:3], s33 offset:184 ; 4-byte Folded Reload
	buffer_load_dword v31, off, s[0:3], s33 offset:188 ; 4-byte Folded Reload
	;; [unrolled: 1-line block ×4, first 2 shown]
	v_lshlrev_b32_e32 v29, 16, v27
	v_max_f32_e32 v29, v29, v29
	s_waitcnt vmcnt(0)
	v_lshlrev_b32_e32 v30, 16, v33
	v_max_f32_e32 v30, v30, v30
	v_min_f32_e32 v31, v29, v30
	v_max_f32_e32 v29, v29, v30
	v_cndmask_b32_e32 v30, v29, v31, vcc
	v_and_b32_e32 v29, 0x7f800000, v30
	v_cmp_ne_u32_e64 s[28:29], s56, v29
                                        ; implicit-def: $vgpr29
	s_and_saveexec_b64 s[42:43], s[28:29]
	s_xor_b64 s[28:29], exec, s[42:43]
; %bb.741:                              ;   in Loop: Header=BB12_303 Depth=3
	v_bfe_u32 v29, v30, 16, 1
	v_add3_u32 v29, v30, v29, s57
                                        ; implicit-def: $vgpr30
; %bb.742:                              ;   in Loop: Header=BB12_303 Depth=3
	s_andn2_saveexec_b64 s[42:43], s[28:29]
	s_cbranch_execz .LBB12_744
; %bb.743:                              ;   in Loop: Header=BB12_303 Depth=3
	buffer_load_dword v31, off, s[0:3], s33 offset:128 ; 4-byte Folded Reload
	buffer_load_dword v32, off, s[0:3], s33 offset:132 ; 4-byte Folded Reload
	v_or_b32_e32 v29, 0x10000, v30
	s_waitcnt vmcnt(1)
	v_cmp_eq_u32_sdwa s[28:29], v30, v31 src0_sel:WORD_0 src1_sel:DWORD
	v_cndmask_b32_e64 v29, v29, v30, s[28:29]
.LBB12_744:                             ;   in Loop: Header=BB12_303 Depth=3
	s_or_b64 exec, exec, s[42:43]
	buffer_load_dword v30, off, s[0:3], s33 offset:184 ; 4-byte Folded Reload
	buffer_load_dword v31, off, s[0:3], s33 offset:188 ; 4-byte Folded Reload
	;; [unrolled: 1-line block ×4, first 2 shown]
	v_and_b32_e32 v27, 0xffff0000, v27
	v_max_f32_e32 v27, v27, v27
	s_waitcnt vmcnt(0)
	v_and_b32_e32 v30, 0xffff0000, v33
	v_max_f32_e32 v30, v30, v30
	v_min_f32_e32 v31, v27, v30
	v_max_f32_e32 v27, v27, v30
	v_cndmask_b32_e32 v30, v27, v31, vcc
	v_and_b32_e32 v27, 0x7f800000, v30
	v_cmp_ne_u32_e64 s[28:29], s56, v27
                                        ; implicit-def: $vgpr27
	s_and_saveexec_b64 s[42:43], s[28:29]
	s_xor_b64 s[28:29], exec, s[42:43]
; %bb.745:                              ;   in Loop: Header=BB12_303 Depth=3
	v_bfe_u32 v27, v30, 16, 1
	v_add3_u32 v27, v30, v27, s57
                                        ; implicit-def: $vgpr30
; %bb.746:                              ;   in Loop: Header=BB12_303 Depth=3
	s_andn2_saveexec_b64 s[42:43], s[28:29]
	s_cbranch_execz .LBB12_748
; %bb.747:                              ;   in Loop: Header=BB12_303 Depth=3
	buffer_load_dword v31, off, s[0:3], s33 offset:128 ; 4-byte Folded Reload
	buffer_load_dword v32, off, s[0:3], s33 offset:132 ; 4-byte Folded Reload
	v_or_b32_e32 v27, 0x10000, v30
	s_waitcnt vmcnt(1)
	v_cmp_eq_u32_sdwa s[28:29], v30, v31 src0_sel:WORD_0 src1_sel:DWORD
	v_cndmask_b32_e64 v27, v27, v30, s[28:29]
.LBB12_748:                             ;   in Loop: Header=BB12_303 Depth=3
	s_or_b64 exec, exec, s[42:43]
	buffer_load_dword v31, off, s[0:3], s33 offset:168 ; 4-byte Folded Reload
	buffer_load_dword v32, off, s[0:3], s33 offset:172 ; 4-byte Folded Reload
	;; [unrolled: 1-line block ×4, first 2 shown]
	v_lshlrev_b32_e32 v30, 16, v12
	v_max_f32_e32 v30, v30, v30
	s_waitcnt vmcnt(3)
	v_lshlrev_b32_e32 v31, 16, v31
	v_max_f32_e32 v31, v31, v31
	s_waitcnt vmcnt(2)
	v_min_f32_e32 v32, v30, v31
	v_max_f32_e32 v30, v30, v31
	v_cndmask_b32_e32 v31, v30, v32, vcc
	v_and_b32_e32 v30, 0x7f800000, v31
	v_cmp_ne_u32_e64 s[28:29], s56, v30
                                        ; implicit-def: $vgpr30
	s_and_saveexec_b64 s[42:43], s[28:29]
	s_xor_b64 s[28:29], exec, s[42:43]
; %bb.749:                              ;   in Loop: Header=BB12_303 Depth=3
	v_bfe_u32 v30, v31, 16, 1
	v_add3_u32 v30, v31, v30, s57
                                        ; implicit-def: $vgpr31
; %bb.750:                              ;   in Loop: Header=BB12_303 Depth=3
	s_andn2_saveexec_b64 s[42:43], s[28:29]
	s_cbranch_execz .LBB12_752
; %bb.751:                              ;   in Loop: Header=BB12_303 Depth=3
	buffer_load_dword v32, off, s[0:3], s33 offset:128 ; 4-byte Folded Reload
	buffer_load_dword v33, off, s[0:3], s33 offset:132 ; 4-byte Folded Reload
	v_or_b32_e32 v30, 0x10000, v31
	s_waitcnt vmcnt(1)
	v_cmp_eq_u32_sdwa s[28:29], v31, v32 src0_sel:WORD_0 src1_sel:DWORD
	v_cndmask_b32_e64 v30, v30, v31, s[28:29]
.LBB12_752:                             ;   in Loop: Header=BB12_303 Depth=3
	s_or_b64 exec, exec, s[42:43]
	buffer_load_dword v31, off, s[0:3], s33 offset:168 ; 4-byte Folded Reload
	buffer_load_dword v32, off, s[0:3], s33 offset:172 ; 4-byte Folded Reload
	;; [unrolled: 1-line block ×4, first 2 shown]
	v_and_b32_e32 v12, 0xffff0000, v12
	v_max_f32_e32 v12, v12, v12
	s_waitcnt vmcnt(3)
	v_and_b32_e32 v31, 0xffff0000, v31
	v_max_f32_e32 v31, v31, v31
	s_waitcnt vmcnt(2)
	v_min_f32_e32 v32, v12, v31
	v_max_f32_e32 v12, v12, v31
	v_cndmask_b32_e32 v31, v12, v32, vcc
	v_and_b32_e32 v12, 0x7f800000, v31
	v_cmp_ne_u32_e64 s[28:29], s56, v12
                                        ; implicit-def: $vgpr12
	s_and_saveexec_b64 s[42:43], s[28:29]
	s_xor_b64 s[28:29], exec, s[42:43]
; %bb.753:                              ;   in Loop: Header=BB12_303 Depth=3
	v_bfe_u32 v12, v31, 16, 1
	v_add3_u32 v12, v31, v12, s57
                                        ; implicit-def: $vgpr31
; %bb.754:                              ;   in Loop: Header=BB12_303 Depth=3
	s_andn2_saveexec_b64 s[42:43], s[28:29]
	s_cbranch_execz .LBB12_756
; %bb.755:                              ;   in Loop: Header=BB12_303 Depth=3
	buffer_load_dword v32, off, s[0:3], s33 offset:128 ; 4-byte Folded Reload
	buffer_load_dword v33, off, s[0:3], s33 offset:132 ; 4-byte Folded Reload
	v_or_b32_e32 v12, 0x10000, v31
	s_waitcnt vmcnt(1)
	v_cmp_eq_u32_sdwa s[28:29], v31, v32 src0_sel:WORD_0 src1_sel:DWORD
	v_cndmask_b32_e64 v12, v12, v31, s[28:29]
.LBB12_756:                             ;   in Loop: Header=BB12_303 Depth=3
	s_or_b64 exec, exec, s[42:43]
	buffer_load_dword v32, off, s[0:3], s33 offset:168 ; 4-byte Folded Reload
	buffer_load_dword v33, off, s[0:3], s33 offset:172 ; 4-byte Folded Reload
	;; [unrolled: 1-line block ×4, first 2 shown]
	v_lshlrev_b32_e32 v31, 16, v13
	v_max_f32_e32 v31, v31, v31
	s_waitcnt vmcnt(2)
	v_lshlrev_b32_e32 v32, 16, v33
	v_max_f32_e32 v32, v32, v32
	v_min_f32_e32 v33, v31, v32
	v_max_f32_e32 v31, v31, v32
	v_cndmask_b32_e32 v32, v31, v33, vcc
	v_and_b32_e32 v31, 0x7f800000, v32
	v_cmp_ne_u32_e64 s[28:29], s56, v31
                                        ; implicit-def: $vgpr31
	s_and_saveexec_b64 s[42:43], s[28:29]
	s_xor_b64 s[28:29], exec, s[42:43]
; %bb.757:                              ;   in Loop: Header=BB12_303 Depth=3
	v_bfe_u32 v31, v32, 16, 1
	v_add3_u32 v31, v32, v31, s57
                                        ; implicit-def: $vgpr32
; %bb.758:                              ;   in Loop: Header=BB12_303 Depth=3
	s_andn2_saveexec_b64 s[42:43], s[28:29]
	s_cbranch_execz .LBB12_760
; %bb.759:                              ;   in Loop: Header=BB12_303 Depth=3
	buffer_load_dword v33, off, s[0:3], s33 offset:128 ; 4-byte Folded Reload
	buffer_load_dword v34, off, s[0:3], s33 offset:132 ; 4-byte Folded Reload
	v_or_b32_e32 v31, 0x10000, v32
	s_waitcnt vmcnt(1)
	v_cmp_eq_u32_sdwa s[28:29], v32, v33 src0_sel:WORD_0 src1_sel:DWORD
	v_cndmask_b32_e64 v31, v31, v32, s[28:29]
.LBB12_760:                             ;   in Loop: Header=BB12_303 Depth=3
	s_or_b64 exec, exec, s[42:43]
	buffer_load_dword v32, off, s[0:3], s33 offset:168 ; 4-byte Folded Reload
	buffer_load_dword v33, off, s[0:3], s33 offset:172 ; 4-byte Folded Reload
	;; [unrolled: 1-line block ×4, first 2 shown]
	v_and_b32_e32 v13, 0xffff0000, v13
	v_max_f32_e32 v13, v13, v13
	s_waitcnt vmcnt(2)
	v_and_b32_e32 v32, 0xffff0000, v33
	v_max_f32_e32 v32, v32, v32
	v_min_f32_e32 v33, v13, v32
	v_max_f32_e32 v13, v13, v32
	v_cndmask_b32_e32 v32, v13, v33, vcc
	v_and_b32_e32 v13, 0x7f800000, v32
	v_cmp_ne_u32_e64 s[28:29], s56, v13
                                        ; implicit-def: $vgpr13
	s_and_saveexec_b64 s[42:43], s[28:29]
	s_xor_b64 s[28:29], exec, s[42:43]
; %bb.761:                              ;   in Loop: Header=BB12_303 Depth=3
	v_bfe_u32 v13, v32, 16, 1
	v_add3_u32 v13, v32, v13, s57
                                        ; implicit-def: $vgpr32
; %bb.762:                              ;   in Loop: Header=BB12_303 Depth=3
	s_andn2_saveexec_b64 s[42:43], s[28:29]
	s_cbranch_execz .LBB12_764
; %bb.763:                              ;   in Loop: Header=BB12_303 Depth=3
	buffer_load_dword v33, off, s[0:3], s33 offset:128 ; 4-byte Folded Reload
	buffer_load_dword v34, off, s[0:3], s33 offset:132 ; 4-byte Folded Reload
	v_or_b32_e32 v13, 0x10000, v32
	s_waitcnt vmcnt(1)
	v_cmp_eq_u32_sdwa s[28:29], v32, v33 src0_sel:WORD_0 src1_sel:DWORD
	v_cndmask_b32_e64 v13, v13, v32, s[28:29]
.LBB12_764:                             ;   in Loop: Header=BB12_303 Depth=3
	s_or_b64 exec, exec, s[42:43]
	buffer_load_dword v33, off, s[0:3], s33 offset:168 ; 4-byte Folded Reload
	buffer_load_dword v34, off, s[0:3], s33 offset:172 ; 4-byte Folded Reload
	;; [unrolled: 1-line block ×4, first 2 shown]
	v_lshlrev_b32_e32 v32, 16, v14
	v_max_f32_e32 v32, v32, v32
	s_waitcnt vmcnt(1)
	v_lshlrev_b32_e32 v33, 16, v35
	v_max_f32_e32 v33, v33, v33
	v_min_f32_e32 v34, v32, v33
	v_max_f32_e32 v32, v32, v33
	v_cndmask_b32_e32 v33, v32, v34, vcc
	v_and_b32_e32 v32, 0x7f800000, v33
	v_cmp_ne_u32_e64 s[28:29], s56, v32
                                        ; implicit-def: $vgpr32
	s_and_saveexec_b64 s[42:43], s[28:29]
	s_xor_b64 s[28:29], exec, s[42:43]
; %bb.765:                              ;   in Loop: Header=BB12_303 Depth=3
	v_bfe_u32 v32, v33, 16, 1
	v_add3_u32 v32, v33, v32, s57
                                        ; implicit-def: $vgpr33
; %bb.766:                              ;   in Loop: Header=BB12_303 Depth=3
	s_andn2_saveexec_b64 s[42:43], s[28:29]
	s_cbranch_execz .LBB12_768
; %bb.767:                              ;   in Loop: Header=BB12_303 Depth=3
	buffer_load_dword v34, off, s[0:3], s33 offset:128 ; 4-byte Folded Reload
	buffer_load_dword v35, off, s[0:3], s33 offset:132 ; 4-byte Folded Reload
	v_or_b32_e32 v32, 0x10000, v33
	s_waitcnt vmcnt(1)
	v_cmp_eq_u32_sdwa s[28:29], v33, v34 src0_sel:WORD_0 src1_sel:DWORD
	v_cndmask_b32_e64 v32, v32, v33, s[28:29]
.LBB12_768:                             ;   in Loop: Header=BB12_303 Depth=3
	s_or_b64 exec, exec, s[42:43]
	buffer_load_dword v33, off, s[0:3], s33 offset:168 ; 4-byte Folded Reload
	buffer_load_dword v34, off, s[0:3], s33 offset:172 ; 4-byte Folded Reload
	buffer_load_dword v35, off, s[0:3], s33 offset:176 ; 4-byte Folded Reload
	buffer_load_dword v36, off, s[0:3], s33 offset:180 ; 4-byte Folded Reload
	v_and_b32_e32 v14, 0xffff0000, v14
	v_max_f32_e32 v14, v14, v14
	s_waitcnt vmcnt(1)
	v_and_b32_e32 v33, 0xffff0000, v35
	v_max_f32_e32 v33, v33, v33
	v_min_f32_e32 v34, v14, v33
	v_max_f32_e32 v14, v14, v33
	v_cndmask_b32_e32 v33, v14, v34, vcc
	v_and_b32_e32 v14, 0x7f800000, v33
	v_cmp_ne_u32_e64 s[28:29], s56, v14
                                        ; implicit-def: $vgpr14
	s_and_saveexec_b64 s[42:43], s[28:29]
	s_xor_b64 s[28:29], exec, s[42:43]
; %bb.769:                              ;   in Loop: Header=BB12_303 Depth=3
	v_bfe_u32 v14, v33, 16, 1
	v_add3_u32 v14, v33, v14, s57
                                        ; implicit-def: $vgpr33
; %bb.770:                              ;   in Loop: Header=BB12_303 Depth=3
	s_andn2_saveexec_b64 s[42:43], s[28:29]
	s_cbranch_execz .LBB12_772
; %bb.771:                              ;   in Loop: Header=BB12_303 Depth=3
	buffer_load_dword v34, off, s[0:3], s33 offset:128 ; 4-byte Folded Reload
	buffer_load_dword v35, off, s[0:3], s33 offset:132 ; 4-byte Folded Reload
	v_or_b32_e32 v14, 0x10000, v33
	s_waitcnt vmcnt(1)
	v_cmp_eq_u32_sdwa s[28:29], v33, v34 src0_sel:WORD_0 src1_sel:DWORD
	v_cndmask_b32_e64 v14, v14, v33, s[28:29]
.LBB12_772:                             ;   in Loop: Header=BB12_303 Depth=3
	s_or_b64 exec, exec, s[42:43]
	buffer_load_dword v34, off, s[0:3], s33 offset:168 ; 4-byte Folded Reload
	buffer_load_dword v35, off, s[0:3], s33 offset:172 ; 4-byte Folded Reload
	;; [unrolled: 1-line block ×4, first 2 shown]
	v_lshlrev_b32_e32 v33, 16, v15
	v_max_f32_e32 v33, v33, v33
	s_waitcnt vmcnt(0)
	v_lshlrev_b32_e32 v34, 16, v37
	v_max_f32_e32 v34, v34, v34
	v_min_f32_e32 v35, v33, v34
	v_max_f32_e32 v33, v33, v34
	v_cndmask_b32_e32 v34, v33, v35, vcc
	v_and_b32_e32 v33, 0x7f800000, v34
	v_cmp_ne_u32_e64 s[28:29], s56, v33
                                        ; implicit-def: $vgpr33
	s_and_saveexec_b64 s[42:43], s[28:29]
	s_xor_b64 s[28:29], exec, s[42:43]
; %bb.773:                              ;   in Loop: Header=BB12_303 Depth=3
	v_bfe_u32 v33, v34, 16, 1
	v_add3_u32 v33, v34, v33, s57
                                        ; implicit-def: $vgpr34
; %bb.774:                              ;   in Loop: Header=BB12_303 Depth=3
	s_andn2_saveexec_b64 s[42:43], s[28:29]
	s_cbranch_execz .LBB12_776
; %bb.775:                              ;   in Loop: Header=BB12_303 Depth=3
	buffer_load_dword v35, off, s[0:3], s33 offset:128 ; 4-byte Folded Reload
	buffer_load_dword v36, off, s[0:3], s33 offset:132 ; 4-byte Folded Reload
	v_or_b32_e32 v33, 0x10000, v34
	s_waitcnt vmcnt(1)
	v_cmp_eq_u32_sdwa s[28:29], v34, v35 src0_sel:WORD_0 src1_sel:DWORD
	v_cndmask_b32_e64 v33, v33, v34, s[28:29]
.LBB12_776:                             ;   in Loop: Header=BB12_303 Depth=3
	s_or_b64 exec, exec, s[42:43]
	buffer_load_dword v34, off, s[0:3], s33 offset:168 ; 4-byte Folded Reload
	buffer_load_dword v35, off, s[0:3], s33 offset:172 ; 4-byte Folded Reload
	;; [unrolled: 1-line block ×4, first 2 shown]
	v_and_b32_e32 v15, 0xffff0000, v15
	v_max_f32_e32 v15, v15, v15
	s_waitcnt vmcnt(0)
	v_and_b32_e32 v34, 0xffff0000, v37
	v_max_f32_e32 v34, v34, v34
	v_min_f32_e32 v35, v15, v34
	v_max_f32_e32 v15, v15, v34
	v_cndmask_b32_e32 v34, v15, v35, vcc
	v_and_b32_e32 v15, 0x7f800000, v34
	v_cmp_ne_u32_e32 vcc, s56, v15
                                        ; implicit-def: $vgpr15
	s_and_saveexec_b64 s[28:29], vcc
	s_xor_b64 s[28:29], exec, s[28:29]
; %bb.777:                              ;   in Loop: Header=BB12_303 Depth=3
	v_bfe_u32 v15, v34, 16, 1
	v_add3_u32 v15, v34, v15, s57
                                        ; implicit-def: $vgpr34
; %bb.778:                              ;   in Loop: Header=BB12_303 Depth=3
	s_andn2_saveexec_b64 s[28:29], s[28:29]
	s_cbranch_execz .LBB12_780
; %bb.779:                              ;   in Loop: Header=BB12_303 Depth=3
	buffer_load_dword v35, off, s[0:3], s33 offset:128 ; 4-byte Folded Reload
	buffer_load_dword v36, off, s[0:3], s33 offset:132 ; 4-byte Folded Reload
	v_or_b32_e32 v15, 0x10000, v34
	s_waitcnt vmcnt(1)
	v_cmp_eq_u32_sdwa vcc, v34, v35 src0_sel:WORD_0 src1_sel:DWORD
	v_cndmask_b32_e32 v15, v15, v34, vcc
.LBB12_780:                             ;   in Loop: Header=BB12_303 Depth=3
	s_or_b64 exec, exec, s[28:29]
	v_lshrrev_b32_e32 v2, 16, v2
	v_lshrrev_b32_e32 v4, 16, v4
	v_and_or_b32 v3, v3, s46, v2
	v_lshrrev_b32_e32 v2, 16, v6
	v_and_or_b32 v4, v5, s46, v4
	v_and_or_b32 v5, v7, s46, v2
	v_lshrrev_b32_e32 v2, 16, v8
	v_and_or_b32 v6, v9, s46, v2
	v_lshrrev_b32_e32 v2, 16, v31
	v_lshrrev_b32_e32 v22, 16, v22
	;; [unrolled: 1-line block ×4, first 2 shown]
	v_and_or_b32 v8, v13, s46, v2
	v_lshrrev_b32_e32 v2, 16, v30
	v_lshrrev_b32_e32 v24, 16, v24
	v_and_or_b32 v23, v23, s46, v22
	v_lshrrev_b32_e32 v22, 16, v28
	v_and_or_b32 v17, v17, s46, v16
	v_and_or_b32 v16, v11, s46, v10
	v_lshrrev_b32_e32 v10, 16, v18
	v_and_or_b32 v7, v12, s46, v2
	v_lshrrev_b32_e32 v2, 16, v32
	v_and_or_b32 v24, v25, s46, v24
	v_and_or_b32 v25, v26, s46, v22
	v_lshrrev_b32_e32 v22, 16, v29
	v_and_or_b32 v18, v19, s46, v10
	v_lshrrev_b32_e32 v10, 16, v20
	;; [unrolled: 2-line block ×3, first 2 shown]
	v_and_or_b32 v26, v27, s46, v22
	v_and_or_b32 v19, v21, s46, v10
	;; [unrolled: 1-line block ×3, first 2 shown]
	global_store_dwordx4 v[0:1], v[3:6], off glc slc
	global_store_dwordx4 v[0:1], v[16:19], off offset:1024 glc slc
	global_store_dwordx4 v[0:1], v[23:26], off offset:2048 glc slc
	;; [unrolled: 1-line block ×3, first 2 shown]
.LBB12_781:                             ;   in Loop: Header=BB12_303 Depth=3
	s_or_b64 exec, exec, s[40:41]
	buffer_load_dword v0, off, s[0:3], s33 offset:516 ; 4-byte Folded Reload
	buffer_load_dword v30, off, s[0:3], s33 offset:468 ; 4-byte Folded Reload
                                        ; implicit-def: $vgpr6
                                        ; implicit-def: $vgpr7
	s_waitcnt vmcnt(1)
	v_lshlrev_b32_e32 v2, 12, v0
	s_waitcnt vmcnt(0)
	v_cmp_ne_u32_e32 vcc, v30, v2
                                        ; implicit-def: $vgpr0
	s_mov_b64 s[92:93], exec
	buffer_load_dword v28, off, s[0:3], s33 offset:460 ; 4-byte Folded Reload
	buffer_load_dword v29, off, s[0:3], s33 offset:464 ; 4-byte Folded Reload
	s_and_b64 s[28:29], s[92:93], vcc
	s_mov_b64 exec, s[28:29]
	s_cbranch_execz .LBB12_896
; %bb.782:                              ;   in Loop: Header=BB12_303 Depth=3
	buffer_load_dword v1, off, s[0:3], s33 offset:240 ; 4-byte Folded Reload
	v_sub_u32_e32 v0, v30, v2
	s_mov_b64 s[40:41], 0
	s_waitcnt vmcnt(0)
	v_lshlrev_b32_e32 v1, 6, v1
	v_sub_u32_e32 v1, v41, v1
	v_ashrrev_i32_e32 v3, 31, v1
	v_lshrrev_b32_e32 v3, 26, v3
	v_add_u32_e32 v3, v1, v3
	v_ashrrev_i32_e32 v7, 6, v3
	v_and_b32_e32 v3, 0xffffffc0, v3
	v_sub_u32_e32 v3, v1, v3
	v_lshlrev_b32_e32 v1, 4, v3
	v_lshl_add_u32 v1, v7, 10, v1
	v_add_u32_e32 v10, v1, v2
	v_sub_u32_e32 v6, v0, v1
	v_ashrrev_i32_e32 v1, 31, v0
	v_lshrrev_b32_e32 v1, 22, v1
	v_add_u32_e32 v1, v0, v1
	v_and_b32_e32 v4, 0xfffffc00, v1
	v_sub_u32_e32 v5, v0, v4
	v_ashrrev_i32_e32 v8, 10, v1
	v_cmp_lt_i32_e64 s[28:29], 15, v5
	v_addc_co_u32_e64 v0, vcc, 0, v8, s[28:29]
	v_ashrrev_i32_e32 v11, 31, v10
	v_sub_u32_e32 v8, v0, v7
	v_add_co_u32_e32 v0, vcc, v10, v28
	v_addc_co_u32_e32 v1, vcc, v11, v29, vcc
	v_cmp_lt_i32_e32 vcc, 15, v6
	s_and_saveexec_b64 s[94:95], vcc
	s_cbranch_execz .LBB12_859
; %bb.783:                              ;   in Loop: Header=BB12_303 Depth=3
	s_trap 2
	ds_read_b64 v[12:13], v0
	buffer_load_dword v14, off, s[0:3], s33 offset:452 ; 4-byte Folded Reload
	buffer_load_dword v15, off, s[0:3], s33 offset:456 ; 4-byte Folded Reload
	s_and_b32 s40, 0xffff, s9
	s_cmp_eq_u32 s40, 0
	s_mov_b64 s[36:37], 0
	s_mov_b64 s[30:31], 0
	s_cselect_b64 s[40:41], -1, 0
                                        ; implicit-def: $sgpr34_sgpr35
	s_waitcnt vmcnt(1)
	v_add_co_u32_e32 v7, vcc, v10, v14
	s_waitcnt vmcnt(0)
	v_addc_co_u32_e32 v9, vcc, v11, v15, vcc
	s_waitcnt lgkmcnt(0)
	v_add_co_u32_e32 v10, vcc, v12, v10
	v_addc_co_u32_e32 v11, vcc, v13, v11, vcc
	s_branch .LBB12_785
.LBB12_784:                             ;   in Loop: Header=BB12_785 Depth=4
	s_or_b64 exec, exec, s[42:43]
	v_cmp_gt_i32_e32 vcc, 16, v6
	s_or_b64 s[30:31], vcc, s[30:31]
	s_andn2_b64 s[42:43], s[34:35], exec
	s_and_b64 vcc, s[36:37], exec
	s_or_b64 s[34:35], s[42:43], vcc
	s_andn2_b64 exec, exec, s[30:31]
	s_cbranch_execz .LBB12_858
.LBB12_785:                             ;   Parent Loop BB12_47 Depth=1
                                        ;     Parent Loop BB12_300 Depth=2
                                        ;       Parent Loop BB12_303 Depth=3
                                        ; =>      This Loop Header: Depth=4
                                        ;           Child Loop BB12_786 Depth 5
                                        ;           Child Loop BB12_823 Depth 5
	s_lshr_b32 s50, s33, 6
	s_add_i32 s50, s50, 64
	s_mov_b64 s[38:39], -1
	s_mov_b64 s[48:49], 0
.LBB12_786:                             ;   Parent Loop BB12_47 Depth=1
                                        ;     Parent Loop BB12_300 Depth=2
                                        ;       Parent Loop BB12_303 Depth=3
                                        ;         Parent Loop BB12_785 Depth=4
                                        ; =>        This Inner Loop Header: Depth=5
	s_cmp_eq_u32 s48, 1
	s_cselect_b64 s[42:43], -1, 0
	v_cndmask_b32_e64 v17, v9, v11, s[42:43]
	v_cndmask_b32_e64 v16, v7, v10, s[42:43]
	global_load_dwordx4 v[12:15], v[16:17], off glc slc
	v_mov_b32_e32 v18, s50
	s_cmp_eq_u32 s48, 0
	s_mov_b64 s[48:49], 1
	s_mov_b32 s50, s80
	s_waitcnt vmcnt(0)
	buffer_store_dword v13, v18, s[0:3], 0 offen offset:4
	buffer_store_dword v12, v18, s[0:3], 0 offen
	buffer_store_dword v15, v18, s[0:3], 0 offen offset:12
	buffer_store_dword v14, v18, s[0:3], 0 offen offset:8
	v_add_co_u32_e32 v12, vcc, s55, v16
	v_addc_co_u32_e32 v13, vcc, 0, v17, vcc
	s_cselect_b64 vcc, -1, 0
	v_cndmask_b32_e32 v9, v9, v13, vcc
	v_cndmask_b32_e32 v7, v7, v12, vcc
	v_cndmask_b32_e64 v11, v11, v13, s[42:43]
	v_cndmask_b32_e64 v10, v10, v12, s[42:43]
	s_and_b64 vcc, exec, s[38:39]
	s_mov_b64 s[38:39], 0
	s_cbranch_vccnz .LBB12_786
; %bb.787:                              ;   in Loop: Header=BB12_785 Depth=4
	s_and_saveexec_b64 s[42:43], s[36:37]
	s_cbranch_execz .LBB12_821
; %bb.788:                              ;   in Loop: Header=BB12_785 Depth=4
	buffer_load_dword v15, off, s[0:3], s33 offset:96
	buffer_load_dword v16, off, s[0:3], s33 offset:112
	buffer_load_dword v19, off, s[0:3], s33 offset:100
	buffer_load_dword v17, off, s[0:3], s33 offset:104
	buffer_load_dword v20, off, s[0:3], s33 offset:116
	buffer_load_dword v18, off, s[0:3], s33 offset:120
	buffer_load_dword v13, off, s[0:3], s33 offset:124
	buffer_load_dword v14, off, s[0:3], s33 offset:108
	s_waitcnt vmcnt(7)
	v_lshlrev_b32_e32 v12, 16, v15
	s_waitcnt vmcnt(6)
	v_lshlrev_b32_e32 v21, 16, v16
	v_max_f32_e32 v21, v21, v21
	v_max_f32_e32 v12, v12, v12
	v_min_f32_e32 v22, v12, v21
	v_max_f32_e32 v12, v12, v21
	v_cndmask_b32_e64 v21, v12, v22, s[40:41]
	v_and_b32_e32 v12, 0x7f800000, v21
	v_cmp_ne_u32_e32 vcc, s56, v12
                                        ; implicit-def: $vgpr12
	s_and_saveexec_b64 s[36:37], vcc
	s_xor_b64 vcc, exec, s[36:37]
; %bb.789:                              ;   in Loop: Header=BB12_785 Depth=4
	v_bfe_u32 v12, v21, 16, 1
	v_add3_u32 v12, v21, v12, s57
                                        ; implicit-def: $vgpr21
; %bb.790:                              ;   in Loop: Header=BB12_785 Depth=4
	s_andn2_saveexec_b64 s[36:37], vcc
	s_cbranch_execz .LBB12_792
; %bb.791:                              ;   in Loop: Header=BB12_785 Depth=4
	buffer_load_dword v22, off, s[0:3], s33 offset:128 ; 4-byte Folded Reload
	buffer_load_dword v23, off, s[0:3], s33 offset:132 ; 4-byte Folded Reload
	v_or_b32_e32 v12, 0x10000, v21
	s_waitcnt vmcnt(1)
	v_cmp_eq_u32_sdwa vcc, v21, v22 src0_sel:WORD_0 src1_sel:DWORD
	v_cndmask_b32_e32 v12, v12, v21, vcc
.LBB12_792:                             ;   in Loop: Header=BB12_785 Depth=4
	s_or_b64 exec, exec, s[36:37]
	v_and_b32_e32 v15, 0xffff0000, v15
	v_and_b32_e32 v16, 0xffff0000, v16
	v_max_f32_e32 v16, v16, v16
	v_max_f32_e32 v15, v15, v15
	v_min_f32_e32 v21, v15, v16
	v_max_f32_e32 v15, v15, v16
	v_cndmask_b32_e64 v16, v15, v21, s[40:41]
	v_and_b32_e32 v15, 0x7f800000, v16
	v_cmp_ne_u32_e32 vcc, s56, v15
                                        ; implicit-def: $vgpr15
	s_and_saveexec_b64 s[36:37], vcc
	s_xor_b64 vcc, exec, s[36:37]
; %bb.793:                              ;   in Loop: Header=BB12_785 Depth=4
	v_bfe_u32 v15, v16, 16, 1
	v_add3_u32 v15, v16, v15, s57
                                        ; implicit-def: $vgpr16
; %bb.794:                              ;   in Loop: Header=BB12_785 Depth=4
	s_andn2_saveexec_b64 s[36:37], vcc
	s_cbranch_execz .LBB12_796
; %bb.795:                              ;   in Loop: Header=BB12_785 Depth=4
	buffer_load_dword v21, off, s[0:3], s33 offset:128 ; 4-byte Folded Reload
	buffer_load_dword v22, off, s[0:3], s33 offset:132 ; 4-byte Folded Reload
	v_or_b32_e32 v15, 0x10000, v16
	s_waitcnt vmcnt(1)
	v_cmp_eq_u32_sdwa vcc, v16, v21 src0_sel:WORD_0 src1_sel:DWORD
	v_cndmask_b32_e32 v15, v15, v16, vcc
.LBB12_796:                             ;   in Loop: Header=BB12_785 Depth=4
	s_or_b64 exec, exec, s[36:37]
	s_waitcnt vmcnt(5)
	v_lshlrev_b32_e32 v16, 16, v19
	s_waitcnt vmcnt(3)
	v_lshlrev_b32_e32 v21, 16, v20
	v_max_f32_e32 v21, v21, v21
	v_max_f32_e32 v16, v16, v16
	s_waitcnt vmcnt(0)
	v_min_f32_e32 v22, v16, v21
	v_max_f32_e32 v16, v16, v21
	v_cndmask_b32_e64 v21, v16, v22, s[40:41]
	v_and_b32_e32 v16, 0x7f800000, v21
	v_cmp_ne_u32_e32 vcc, s56, v16
                                        ; implicit-def: $vgpr16
	s_and_saveexec_b64 s[36:37], vcc
	s_xor_b64 vcc, exec, s[36:37]
; %bb.797:                              ;   in Loop: Header=BB12_785 Depth=4
	v_bfe_u32 v16, v21, 16, 1
	v_add3_u32 v16, v21, v16, s57
                                        ; implicit-def: $vgpr21
; %bb.798:                              ;   in Loop: Header=BB12_785 Depth=4
	s_andn2_saveexec_b64 s[36:37], vcc
	s_cbranch_execz .LBB12_800
; %bb.799:                              ;   in Loop: Header=BB12_785 Depth=4
	buffer_load_dword v22, off, s[0:3], s33 offset:128 ; 4-byte Folded Reload
	buffer_load_dword v23, off, s[0:3], s33 offset:132 ; 4-byte Folded Reload
	v_or_b32_e32 v16, 0x10000, v21
	s_waitcnt vmcnt(1)
	v_cmp_eq_u32_sdwa vcc, v21, v22 src0_sel:WORD_0 src1_sel:DWORD
	v_cndmask_b32_e32 v16, v16, v21, vcc
.LBB12_800:                             ;   in Loop: Header=BB12_785 Depth=4
	s_or_b64 exec, exec, s[36:37]
	v_and_b32_e32 v19, 0xffff0000, v19
	v_and_b32_e32 v20, 0xffff0000, v20
	v_max_f32_e32 v20, v20, v20
	v_max_f32_e32 v19, v19, v19
	v_min_f32_e32 v21, v19, v20
	v_max_f32_e32 v19, v19, v20
	v_cndmask_b32_e64 v20, v19, v21, s[40:41]
	v_and_b32_e32 v19, 0x7f800000, v20
	v_cmp_ne_u32_e32 vcc, s56, v19
                                        ; implicit-def: $vgpr19
	s_and_saveexec_b64 s[36:37], vcc
	s_xor_b64 vcc, exec, s[36:37]
; %bb.801:                              ;   in Loop: Header=BB12_785 Depth=4
	v_bfe_u32 v19, v20, 16, 1
	v_add3_u32 v19, v20, v19, s57
                                        ; implicit-def: $vgpr20
; %bb.802:                              ;   in Loop: Header=BB12_785 Depth=4
	s_andn2_saveexec_b64 s[36:37], vcc
	s_cbranch_execz .LBB12_804
; %bb.803:                              ;   in Loop: Header=BB12_785 Depth=4
	buffer_load_dword v21, off, s[0:3], s33 offset:128 ; 4-byte Folded Reload
	buffer_load_dword v22, off, s[0:3], s33 offset:132 ; 4-byte Folded Reload
	v_or_b32_e32 v19, 0x10000, v20
	s_waitcnt vmcnt(1)
	v_cmp_eq_u32_sdwa vcc, v20, v21 src0_sel:WORD_0 src1_sel:DWORD
	v_cndmask_b32_e32 v19, v19, v20, vcc
.LBB12_804:                             ;   in Loop: Header=BB12_785 Depth=4
	s_or_b64 exec, exec, s[36:37]
	v_lshlrev_b32_e32 v20, 16, v17
	v_lshlrev_b32_e32 v21, 16, v18
	v_max_f32_e32 v21, v21, v21
	v_max_f32_e32 v20, v20, v20
	s_waitcnt vmcnt(0)
	v_min_f32_e32 v22, v20, v21
	v_max_f32_e32 v20, v20, v21
	v_cndmask_b32_e64 v21, v20, v22, s[40:41]
	v_and_b32_e32 v20, 0x7f800000, v21
	v_cmp_ne_u32_e32 vcc, s56, v20
                                        ; implicit-def: $vgpr20
	s_and_saveexec_b64 s[36:37], vcc
	s_xor_b64 vcc, exec, s[36:37]
; %bb.805:                              ;   in Loop: Header=BB12_785 Depth=4
	v_bfe_u32 v20, v21, 16, 1
	v_add3_u32 v20, v21, v20, s57
                                        ; implicit-def: $vgpr21
; %bb.806:                              ;   in Loop: Header=BB12_785 Depth=4
	s_andn2_saveexec_b64 s[36:37], vcc
	s_cbranch_execz .LBB12_808
; %bb.807:                              ;   in Loop: Header=BB12_785 Depth=4
	buffer_load_dword v22, off, s[0:3], s33 offset:128 ; 4-byte Folded Reload
	buffer_load_dword v23, off, s[0:3], s33 offset:132 ; 4-byte Folded Reload
	v_or_b32_e32 v20, 0x10000, v21
	s_waitcnt vmcnt(1)
	v_cmp_eq_u32_sdwa vcc, v21, v22 src0_sel:WORD_0 src1_sel:DWORD
	v_cndmask_b32_e32 v20, v20, v21, vcc
.LBB12_808:                             ;   in Loop: Header=BB12_785 Depth=4
	s_or_b64 exec, exec, s[36:37]
	v_and_b32_e32 v17, 0xffff0000, v17
	v_and_b32_e32 v18, 0xffff0000, v18
	v_max_f32_e32 v18, v18, v18
	v_max_f32_e32 v17, v17, v17
	v_min_f32_e32 v21, v17, v18
	v_max_f32_e32 v17, v17, v18
	v_cndmask_b32_e64 v18, v17, v21, s[40:41]
	v_and_b32_e32 v17, 0x7f800000, v18
	v_cmp_ne_u32_e32 vcc, s56, v17
                                        ; implicit-def: $vgpr17
	s_and_saveexec_b64 s[36:37], vcc
	s_xor_b64 vcc, exec, s[36:37]
; %bb.809:                              ;   in Loop: Header=BB12_785 Depth=4
	v_bfe_u32 v17, v18, 16, 1
	v_add3_u32 v17, v18, v17, s57
                                        ; implicit-def: $vgpr18
; %bb.810:                              ;   in Loop: Header=BB12_785 Depth=4
	s_andn2_saveexec_b64 s[36:37], vcc
	s_cbranch_execz .LBB12_812
; %bb.811:                              ;   in Loop: Header=BB12_785 Depth=4
	buffer_load_dword v21, off, s[0:3], s33 offset:128 ; 4-byte Folded Reload
	buffer_load_dword v22, off, s[0:3], s33 offset:132 ; 4-byte Folded Reload
	v_or_b32_e32 v17, 0x10000, v18
	s_waitcnt vmcnt(1)
	v_cmp_eq_u32_sdwa vcc, v18, v21 src0_sel:WORD_0 src1_sel:DWORD
	v_cndmask_b32_e32 v17, v17, v18, vcc
.LBB12_812:                             ;   in Loop: Header=BB12_785 Depth=4
	s_or_b64 exec, exec, s[36:37]
	v_lshlrev_b32_e32 v18, 16, v14
	v_lshlrev_b32_e32 v21, 16, v13
	v_max_f32_e32 v21, v21, v21
	v_max_f32_e32 v18, v18, v18
	s_waitcnt vmcnt(0)
	v_min_f32_e32 v22, v18, v21
	v_max_f32_e32 v18, v18, v21
	v_cndmask_b32_e64 v21, v18, v22, s[40:41]
	v_and_b32_e32 v18, 0x7f800000, v21
	v_cmp_ne_u32_e32 vcc, s56, v18
                                        ; implicit-def: $vgpr18
	s_and_saveexec_b64 s[36:37], vcc
	s_xor_b64 vcc, exec, s[36:37]
; %bb.813:                              ;   in Loop: Header=BB12_785 Depth=4
	v_bfe_u32 v18, v21, 16, 1
	v_add3_u32 v18, v21, v18, s57
                                        ; implicit-def: $vgpr21
; %bb.814:                              ;   in Loop: Header=BB12_785 Depth=4
	s_andn2_saveexec_b64 s[36:37], vcc
	s_cbranch_execz .LBB12_816
; %bb.815:                              ;   in Loop: Header=BB12_785 Depth=4
	buffer_load_dword v22, off, s[0:3], s33 offset:128 ; 4-byte Folded Reload
	buffer_load_dword v23, off, s[0:3], s33 offset:132 ; 4-byte Folded Reload
	v_or_b32_e32 v18, 0x10000, v21
	s_waitcnt vmcnt(1)
	v_cmp_eq_u32_sdwa vcc, v21, v22 src0_sel:WORD_0 src1_sel:DWORD
	v_cndmask_b32_e32 v18, v18, v21, vcc
.LBB12_816:                             ;   in Loop: Header=BB12_785 Depth=4
	s_or_b64 exec, exec, s[36:37]
	v_and_b32_e32 v14, 0xffff0000, v14
	v_and_b32_e32 v13, 0xffff0000, v13
	v_max_f32_e32 v13, v13, v13
	v_max_f32_e32 v14, v14, v14
	v_min_f32_e32 v21, v14, v13
	v_max_f32_e32 v13, v14, v13
	v_cndmask_b32_e64 v14, v13, v21, s[40:41]
	v_and_b32_e32 v13, 0x7f800000, v14
	v_cmp_ne_u32_e32 vcc, s56, v13
                                        ; implicit-def: $vgpr13
	s_and_saveexec_b64 s[36:37], vcc
	s_xor_b64 vcc, exec, s[36:37]
; %bb.817:                              ;   in Loop: Header=BB12_785 Depth=4
	v_bfe_u32 v13, v14, 16, 1
	v_add3_u32 v13, v14, v13, s57
                                        ; implicit-def: $vgpr14
; %bb.818:                              ;   in Loop: Header=BB12_785 Depth=4
	s_andn2_saveexec_b64 s[36:37], vcc
	s_cbranch_execz .LBB12_820
; %bb.819:                              ;   in Loop: Header=BB12_785 Depth=4
	buffer_load_dword v21, off, s[0:3], s33 offset:128 ; 4-byte Folded Reload
	buffer_load_dword v22, off, s[0:3], s33 offset:132 ; 4-byte Folded Reload
	v_or_b32_e32 v13, 0x10000, v14
	s_waitcnt vmcnt(1)
	v_cmp_eq_u32_sdwa vcc, v14, v21 src0_sel:WORD_0 src1_sel:DWORD
	v_cndmask_b32_e32 v13, v13, v14, vcc
.LBB12_820:                             ;   in Loop: Header=BB12_785 Depth=4
	s_or_b64 exec, exec, s[36:37]
	v_lshrrev_b32_e32 v12, 16, v12
	v_lshrrev_b32_e32 v14, 16, v16
	v_and_or_b32 v15, v15, s46, v12
	v_lshrrev_b32_e32 v12, 16, v20
	v_and_or_b32 v16, v19, s46, v14
	v_and_or_b32 v17, v17, s46, v12
	v_lshrrev_b32_e32 v12, 16, v18
	v_and_or_b32 v18, v13, s46, v12
	buffer_store_dword v16, off, s[0:3], s33 offset:100
	buffer_store_dword v15, off, s[0:3], s33 offset:96
	;; [unrolled: 1-line block ×4, first 2 shown]
	buffer_load_dword v12, off, s[0:3], s33 offset:344 ; 4-byte Folded Reload
	s_nop 0
	global_store_dwordx4 v[0:1], v[15:18], off glc slc
	s_waitcnt vmcnt(1)
	v_add_co_u32_e32 v0, vcc, v12, v0
	buffer_load_dword v12, off, s[0:3], s33 offset:348 ; 4-byte Folded Reload
	s_waitcnt vmcnt(0)
	v_addc_co_u32_e32 v1, vcc, v12, v1, vcc
.LBB12_821:                             ;   in Loop: Header=BB12_785 Depth=4
	s_or_b64 exec, exec, s[42:43]
	buffer_load_dword v12, off, s[0:3], s33 offset:340 ; 4-byte Folded Reload
	v_add_co_u32_e32 v7, vcc, v7, v46
	v_sub_u32_e32 v6, v6, v44
	v_cmp_lt_i32_e64 s[36:37], 15, v6
	s_waitcnt vmcnt(0)
	v_addc_co_u32_e32 v9, vcc, v9, v12, vcc
	v_add_co_u32_e32 v10, vcc, v10, v46
	v_addc_co_u32_e32 v11, vcc, v11, v12, vcc
	s_and_saveexec_b64 s[38:39], s[36:37]
	s_cbranch_execz .LBB12_824
; %bb.822:                              ;   in Loop: Header=BB12_785 Depth=4
	s_lshr_b32 s65, s33, 6
	s_addk_i32 s65, 0x60
	s_mov_b64 s[50:51], 0
	s_mov_b64 s[48:49], -1
.LBB12_823:                             ;   Parent Loop BB12_47 Depth=1
                                        ;     Parent Loop BB12_300 Depth=2
                                        ;       Parent Loop BB12_303 Depth=3
                                        ;         Parent Loop BB12_785 Depth=4
                                        ; =>        This Inner Loop Header: Depth=5
	s_cmp_eq_u32 s50, 1
	s_cselect_b64 s[42:43], -1, 0
	v_cndmask_b32_e64 v17, v9, v11, s[42:43]
	v_cndmask_b32_e64 v16, v7, v10, s[42:43]
	global_load_dwordx4 v[12:15], v[16:17], off glc slc
	v_mov_b32_e32 v18, s65
	s_cmp_eq_u32 s50, 0
	s_mov_b64 s[50:51], 1
	s_mov_b32 s65, s71
	s_waitcnt vmcnt(0)
	buffer_store_dword v13, v18, s[0:3], 0 offen offset:4
	buffer_store_dword v12, v18, s[0:3], 0 offen
	buffer_store_dword v15, v18, s[0:3], 0 offen offset:12
	buffer_store_dword v14, v18, s[0:3], 0 offen offset:8
	v_add_co_u32_e32 v12, vcc, s55, v16
	v_addc_co_u32_e32 v13, vcc, 0, v17, vcc
	s_cselect_b64 vcc, -1, 0
	v_cndmask_b32_e32 v9, v9, v13, vcc
	v_cndmask_b32_e32 v7, v7, v12, vcc
	v_cndmask_b32_e64 v11, v11, v13, s[42:43]
	v_cndmask_b32_e64 v10, v10, v12, s[42:43]
	s_and_b64 vcc, exec, s[48:49]
	s_mov_b64 s[48:49], 0
	s_cbranch_vccnz .LBB12_823
.LBB12_824:                             ;   in Loop: Header=BB12_785 Depth=4
	s_or_b64 exec, exec, s[38:39]
	buffer_load_dword v15, off, s[0:3], s33 offset:64
	buffer_load_dword v16, off, s[0:3], s33 offset:80
	;; [unrolled: 1-line block ×8, first 2 shown]
	s_waitcnt vmcnt(7)
	v_lshlrev_b32_e32 v12, 16, v15
	s_waitcnt vmcnt(6)
	v_lshlrev_b32_e32 v21, 16, v16
	v_max_f32_e32 v21, v21, v21
	v_max_f32_e32 v12, v12, v12
	v_min_f32_e32 v22, v12, v21
	v_max_f32_e32 v12, v12, v21
	v_cndmask_b32_e64 v21, v12, v22, s[40:41]
	v_and_b32_e32 v12, 0x7f800000, v21
	v_cmp_ne_u32_e32 vcc, s56, v12
                                        ; implicit-def: $vgpr12
	s_and_saveexec_b64 s[42:43], vcc
	s_xor_b64 s[42:43], exec, s[42:43]
; %bb.825:                              ;   in Loop: Header=BB12_785 Depth=4
	v_bfe_u32 v12, v21, 16, 1
	v_add3_u32 v12, v21, v12, s57
                                        ; implicit-def: $vgpr21
; %bb.826:                              ;   in Loop: Header=BB12_785 Depth=4
	s_andn2_saveexec_b64 s[42:43], s[42:43]
	s_cbranch_execz .LBB12_828
; %bb.827:                              ;   in Loop: Header=BB12_785 Depth=4
	buffer_load_dword v22, off, s[0:3], s33 offset:128 ; 4-byte Folded Reload
	buffer_load_dword v23, off, s[0:3], s33 offset:132 ; 4-byte Folded Reload
	v_or_b32_e32 v12, 0x10000, v21
	s_waitcnt vmcnt(1)
	v_cmp_eq_u32_sdwa vcc, v21, v22 src0_sel:WORD_0 src1_sel:DWORD
	v_cndmask_b32_e32 v12, v12, v21, vcc
.LBB12_828:                             ;   in Loop: Header=BB12_785 Depth=4
	s_or_b64 exec, exec, s[42:43]
	v_and_b32_e32 v15, 0xffff0000, v15
	v_and_b32_e32 v16, 0xffff0000, v16
	v_max_f32_e32 v16, v16, v16
	v_max_f32_e32 v15, v15, v15
	v_min_f32_e32 v21, v15, v16
	v_max_f32_e32 v15, v15, v16
	v_cndmask_b32_e64 v16, v15, v21, s[40:41]
	v_and_b32_e32 v15, 0x7f800000, v16
	v_cmp_ne_u32_e32 vcc, s56, v15
                                        ; implicit-def: $vgpr15
	s_and_saveexec_b64 s[42:43], vcc
	s_xor_b64 s[42:43], exec, s[42:43]
; %bb.829:                              ;   in Loop: Header=BB12_785 Depth=4
	v_bfe_u32 v15, v16, 16, 1
	v_add3_u32 v15, v16, v15, s57
                                        ; implicit-def: $vgpr16
; %bb.830:                              ;   in Loop: Header=BB12_785 Depth=4
	s_andn2_saveexec_b64 s[42:43], s[42:43]
	s_cbranch_execz .LBB12_832
; %bb.831:                              ;   in Loop: Header=BB12_785 Depth=4
	buffer_load_dword v21, off, s[0:3], s33 offset:128 ; 4-byte Folded Reload
	buffer_load_dword v22, off, s[0:3], s33 offset:132 ; 4-byte Folded Reload
	v_or_b32_e32 v15, 0x10000, v16
	s_waitcnt vmcnt(1)
	v_cmp_eq_u32_sdwa vcc, v16, v21 src0_sel:WORD_0 src1_sel:DWORD
	v_cndmask_b32_e32 v15, v15, v16, vcc
.LBB12_832:                             ;   in Loop: Header=BB12_785 Depth=4
	s_or_b64 exec, exec, s[42:43]
	s_waitcnt vmcnt(5)
	v_lshlrev_b32_e32 v16, 16, v19
	s_waitcnt vmcnt(3)
	v_lshlrev_b32_e32 v21, 16, v20
	v_max_f32_e32 v21, v21, v21
	v_max_f32_e32 v16, v16, v16
	s_waitcnt vmcnt(0)
	v_min_f32_e32 v22, v16, v21
	v_max_f32_e32 v16, v16, v21
	v_cndmask_b32_e64 v21, v16, v22, s[40:41]
	v_and_b32_e32 v16, 0x7f800000, v21
	v_cmp_ne_u32_e32 vcc, s56, v16
                                        ; implicit-def: $vgpr16
	s_and_saveexec_b64 s[42:43], vcc
	s_xor_b64 s[42:43], exec, s[42:43]
; %bb.833:                              ;   in Loop: Header=BB12_785 Depth=4
	v_bfe_u32 v16, v21, 16, 1
	v_add3_u32 v16, v21, v16, s57
                                        ; implicit-def: $vgpr21
; %bb.834:                              ;   in Loop: Header=BB12_785 Depth=4
	s_andn2_saveexec_b64 s[42:43], s[42:43]
	s_cbranch_execz .LBB12_836
; %bb.835:                              ;   in Loop: Header=BB12_785 Depth=4
	buffer_load_dword v22, off, s[0:3], s33 offset:128 ; 4-byte Folded Reload
	buffer_load_dword v23, off, s[0:3], s33 offset:132 ; 4-byte Folded Reload
	v_or_b32_e32 v16, 0x10000, v21
	s_waitcnt vmcnt(1)
	v_cmp_eq_u32_sdwa vcc, v21, v22 src0_sel:WORD_0 src1_sel:DWORD
	v_cndmask_b32_e32 v16, v16, v21, vcc
.LBB12_836:                             ;   in Loop: Header=BB12_785 Depth=4
	s_or_b64 exec, exec, s[42:43]
	v_and_b32_e32 v19, 0xffff0000, v19
	v_and_b32_e32 v20, 0xffff0000, v20
	v_max_f32_e32 v20, v20, v20
	v_max_f32_e32 v19, v19, v19
	v_min_f32_e32 v21, v19, v20
	v_max_f32_e32 v19, v19, v20
	v_cndmask_b32_e64 v20, v19, v21, s[40:41]
	v_and_b32_e32 v19, 0x7f800000, v20
	v_cmp_ne_u32_e32 vcc, s56, v19
                                        ; implicit-def: $vgpr19
	s_and_saveexec_b64 s[42:43], vcc
	s_xor_b64 s[42:43], exec, s[42:43]
; %bb.837:                              ;   in Loop: Header=BB12_785 Depth=4
	v_bfe_u32 v19, v20, 16, 1
	v_add3_u32 v19, v20, v19, s57
                                        ; implicit-def: $vgpr20
; %bb.838:                              ;   in Loop: Header=BB12_785 Depth=4
	s_andn2_saveexec_b64 s[42:43], s[42:43]
	s_cbranch_execz .LBB12_840
; %bb.839:                              ;   in Loop: Header=BB12_785 Depth=4
	buffer_load_dword v21, off, s[0:3], s33 offset:128 ; 4-byte Folded Reload
	buffer_load_dword v22, off, s[0:3], s33 offset:132 ; 4-byte Folded Reload
	v_or_b32_e32 v19, 0x10000, v20
	s_waitcnt vmcnt(1)
	v_cmp_eq_u32_sdwa vcc, v20, v21 src0_sel:WORD_0 src1_sel:DWORD
	v_cndmask_b32_e32 v19, v19, v20, vcc
.LBB12_840:                             ;   in Loop: Header=BB12_785 Depth=4
	s_or_b64 exec, exec, s[42:43]
	v_lshlrev_b32_e32 v20, 16, v17
	v_lshlrev_b32_e32 v21, 16, v18
	v_max_f32_e32 v21, v21, v21
	v_max_f32_e32 v20, v20, v20
	s_waitcnt vmcnt(0)
	v_min_f32_e32 v22, v20, v21
	v_max_f32_e32 v20, v20, v21
	v_cndmask_b32_e64 v21, v20, v22, s[40:41]
	v_and_b32_e32 v20, 0x7f800000, v21
	v_cmp_ne_u32_e32 vcc, s56, v20
                                        ; implicit-def: $vgpr20
	s_and_saveexec_b64 s[42:43], vcc
	s_xor_b64 s[42:43], exec, s[42:43]
; %bb.841:                              ;   in Loop: Header=BB12_785 Depth=4
	v_bfe_u32 v20, v21, 16, 1
	v_add3_u32 v20, v21, v20, s57
                                        ; implicit-def: $vgpr21
; %bb.842:                              ;   in Loop: Header=BB12_785 Depth=4
	s_andn2_saveexec_b64 s[42:43], s[42:43]
	s_cbranch_execz .LBB12_844
; %bb.843:                              ;   in Loop: Header=BB12_785 Depth=4
	buffer_load_dword v22, off, s[0:3], s33 offset:128 ; 4-byte Folded Reload
	buffer_load_dword v23, off, s[0:3], s33 offset:132 ; 4-byte Folded Reload
	v_or_b32_e32 v20, 0x10000, v21
	s_waitcnt vmcnt(1)
	v_cmp_eq_u32_sdwa vcc, v21, v22 src0_sel:WORD_0 src1_sel:DWORD
	v_cndmask_b32_e32 v20, v20, v21, vcc
.LBB12_844:                             ;   in Loop: Header=BB12_785 Depth=4
	s_or_b64 exec, exec, s[42:43]
	v_and_b32_e32 v17, 0xffff0000, v17
	v_and_b32_e32 v18, 0xffff0000, v18
	v_max_f32_e32 v18, v18, v18
	v_max_f32_e32 v17, v17, v17
	v_min_f32_e32 v21, v17, v18
	v_max_f32_e32 v17, v17, v18
	v_cndmask_b32_e64 v18, v17, v21, s[40:41]
	v_and_b32_e32 v17, 0x7f800000, v18
	v_cmp_ne_u32_e32 vcc, s56, v17
                                        ; implicit-def: $vgpr17
	s_and_saveexec_b64 s[42:43], vcc
	s_xor_b64 s[42:43], exec, s[42:43]
; %bb.845:                              ;   in Loop: Header=BB12_785 Depth=4
	v_bfe_u32 v17, v18, 16, 1
	v_add3_u32 v17, v18, v17, s57
                                        ; implicit-def: $vgpr18
; %bb.846:                              ;   in Loop: Header=BB12_785 Depth=4
	s_andn2_saveexec_b64 s[42:43], s[42:43]
	s_cbranch_execz .LBB12_848
; %bb.847:                              ;   in Loop: Header=BB12_785 Depth=4
	buffer_load_dword v21, off, s[0:3], s33 offset:128 ; 4-byte Folded Reload
	buffer_load_dword v22, off, s[0:3], s33 offset:132 ; 4-byte Folded Reload
	v_or_b32_e32 v17, 0x10000, v18
	s_waitcnt vmcnt(1)
	v_cmp_eq_u32_sdwa vcc, v18, v21 src0_sel:WORD_0 src1_sel:DWORD
	v_cndmask_b32_e32 v17, v17, v18, vcc
.LBB12_848:                             ;   in Loop: Header=BB12_785 Depth=4
	s_or_b64 exec, exec, s[42:43]
	v_lshlrev_b32_e32 v18, 16, v14
	v_lshlrev_b32_e32 v21, 16, v13
	v_max_f32_e32 v21, v21, v21
	v_max_f32_e32 v18, v18, v18
	s_waitcnt vmcnt(0)
	v_min_f32_e32 v22, v18, v21
	v_max_f32_e32 v18, v18, v21
	v_cndmask_b32_e64 v21, v18, v22, s[40:41]
	v_and_b32_e32 v18, 0x7f800000, v21
	v_cmp_ne_u32_e32 vcc, s56, v18
                                        ; implicit-def: $vgpr18
	s_and_saveexec_b64 s[42:43], vcc
	s_xor_b64 s[42:43], exec, s[42:43]
; %bb.849:                              ;   in Loop: Header=BB12_785 Depth=4
	v_bfe_u32 v18, v21, 16, 1
	v_add3_u32 v18, v21, v18, s57
                                        ; implicit-def: $vgpr21
; %bb.850:                              ;   in Loop: Header=BB12_785 Depth=4
	s_andn2_saveexec_b64 s[42:43], s[42:43]
	s_cbranch_execz .LBB12_852
; %bb.851:                              ;   in Loop: Header=BB12_785 Depth=4
	buffer_load_dword v22, off, s[0:3], s33 offset:128 ; 4-byte Folded Reload
	buffer_load_dword v23, off, s[0:3], s33 offset:132 ; 4-byte Folded Reload
	v_or_b32_e32 v18, 0x10000, v21
	s_waitcnt vmcnt(1)
	v_cmp_eq_u32_sdwa vcc, v21, v22 src0_sel:WORD_0 src1_sel:DWORD
	v_cndmask_b32_e32 v18, v18, v21, vcc
.LBB12_852:                             ;   in Loop: Header=BB12_785 Depth=4
	s_or_b64 exec, exec, s[42:43]
	v_and_b32_e32 v14, 0xffff0000, v14
	v_and_b32_e32 v13, 0xffff0000, v13
	v_max_f32_e32 v13, v13, v13
	v_max_f32_e32 v14, v14, v14
	v_min_f32_e32 v21, v14, v13
	v_max_f32_e32 v13, v14, v13
	v_cndmask_b32_e64 v14, v13, v21, s[40:41]
	v_and_b32_e32 v13, 0x7f800000, v14
	v_cmp_ne_u32_e32 vcc, s56, v13
                                        ; implicit-def: $vgpr13
	s_and_saveexec_b64 s[42:43], vcc
	s_xor_b64 s[42:43], exec, s[42:43]
; %bb.853:                              ;   in Loop: Header=BB12_785 Depth=4
	v_bfe_u32 v13, v14, 16, 1
	v_add3_u32 v13, v14, v13, s57
                                        ; implicit-def: $vgpr14
; %bb.854:                              ;   in Loop: Header=BB12_785 Depth=4
	s_andn2_saveexec_b64 s[42:43], s[42:43]
	s_cbranch_execz .LBB12_856
; %bb.855:                              ;   in Loop: Header=BB12_785 Depth=4
	buffer_load_dword v21, off, s[0:3], s33 offset:128 ; 4-byte Folded Reload
	buffer_load_dword v22, off, s[0:3], s33 offset:132 ; 4-byte Folded Reload
	v_or_b32_e32 v13, 0x10000, v14
	s_waitcnt vmcnt(1)
	v_cmp_eq_u32_sdwa vcc, v14, v21 src0_sel:WORD_0 src1_sel:DWORD
	v_cndmask_b32_e32 v13, v13, v14, vcc
.LBB12_856:                             ;   in Loop: Header=BB12_785 Depth=4
	s_or_b64 exec, exec, s[42:43]
	buffer_load_dword v14, off, s[0:3], s33 offset:152 ; 4-byte Folded Reload
	v_lshrrev_b32_e32 v12, 16, v12
	v_and_or_b32 v15, v15, s46, v12
	v_lshrrev_b32_e32 v12, 16, v20
	v_and_or_b32 v17, v17, s46, v12
	;; [unrolled: 2-line block ×3, first 2 shown]
	s_waitcnt vmcnt(0)
	v_sub_u32_e32 v8, v8, v14
	v_lshrrev_b32_e32 v14, 16, v16
	v_and_or_b32 v16, v19, s46, v14
	buffer_store_dword v16, off, s[0:3], s33 offset:68
	buffer_store_dword v15, off, s[0:3], s33 offset:64
	;; [unrolled: 1-line block ×4, first 2 shown]
	global_store_dwordx4 v[0:1], v[15:18], off glc slc
	v_add_co_u32_e32 v0, vcc, 0x400, v0
	v_addc_co_u32_e32 v1, vcc, 0, v1, vcc
	s_and_saveexec_b64 s[42:43], s[36:37]
	s_cbranch_execz .LBB12_784
; %bb.857:                              ;   in Loop: Header=BB12_785 Depth=4
	buffer_load_dword v12, off, s[0:3], s33 offset:340 ; 4-byte Folded Reload
	v_add_co_u32_e32 v7, vcc, v7, v46
	v_sub_u32_e32 v6, v6, v44
	s_waitcnt vmcnt(0)
	v_addc_co_u32_e32 v9, vcc, v9, v12, vcc
	v_add_co_u32_e32 v10, vcc, v10, v46
	v_addc_co_u32_e32 v11, vcc, v11, v12, vcc
	v_add_co_u32_e32 v0, vcc, v0, v46
	v_addc_co_u32_e32 v1, vcc, v1, v12, vcc
	buffer_load_dword v12, off, s[0:3], s33 offset:152 ; 4-byte Folded Reload
	s_waitcnt vmcnt(0)
	v_sub_u32_e32 v8, v8, v12
	s_branch .LBB12_784
.LBB12_858:                             ;   in Loop: Header=BB12_303 Depth=3
	s_or_b64 exec, exec, s[30:31]
	s_and_b64 s[40:41], s[34:35], exec
.LBB12_859:                             ;   in Loop: Header=BB12_303 Depth=3
	s_or_b64 exec, exec, s[94:95]
	s_and_saveexec_b64 s[42:43], s[40:41]
	s_cbranch_execz .LBB12_893
; %bb.860:                              ;   in Loop: Header=BB12_303 Depth=3
	buffer_load_dword v10, off, s[0:3], s33 offset:96
	buffer_load_dword v11, off, s[0:3], s33 offset:112
	;; [unrolled: 1-line block ×8, first 2 shown]
	s_and_b32 s40, 0xffff, s9
	s_cmp_eq_u32 s40, 0
	s_cselect_b64 vcc, -1, 0
	s_waitcnt vmcnt(7)
	v_lshlrev_b32_e32 v6, 16, v10
	s_waitcnt vmcnt(6)
	v_lshlrev_b32_e32 v16, 16, v11
	v_max_f32_e32 v16, v16, v16
	v_max_f32_e32 v6, v6, v6
	v_min_f32_e32 v17, v6, v16
	v_max_f32_e32 v6, v6, v16
	v_cndmask_b32_e32 v16, v6, v17, vcc
	v_and_b32_e32 v6, 0x7f800000, v16
	v_cmp_ne_u32_e64 s[40:41], s56, v6
                                        ; implicit-def: $vgpr6
	s_and_saveexec_b64 s[94:95], s[40:41]
	s_xor_b64 s[40:41], exec, s[94:95]
; %bb.861:                              ;   in Loop: Header=BB12_303 Depth=3
	v_bfe_u32 v6, v16, 16, 1
	v_add3_u32 v6, v16, v6, s57
                                        ; implicit-def: $vgpr16
; %bb.862:                              ;   in Loop: Header=BB12_303 Depth=3
	s_andn2_saveexec_b64 s[94:95], s[40:41]
	s_cbranch_execz .LBB12_864
; %bb.863:                              ;   in Loop: Header=BB12_303 Depth=3
	buffer_load_dword v17, off, s[0:3], s33 offset:128 ; 4-byte Folded Reload
	buffer_load_dword v18, off, s[0:3], s33 offset:132 ; 4-byte Folded Reload
	v_or_b32_e32 v6, 0x10000, v16
	s_waitcnt vmcnt(1)
	v_cmp_eq_u32_sdwa s[40:41], v16, v17 src0_sel:WORD_0 src1_sel:DWORD
	v_cndmask_b32_e64 v6, v6, v16, s[40:41]
.LBB12_864:                             ;   in Loop: Header=BB12_303 Depth=3
	s_or_b64 exec, exec, s[94:95]
	v_and_b32_e32 v10, 0xffff0000, v10
	v_and_b32_e32 v11, 0xffff0000, v11
	v_max_f32_e32 v11, v11, v11
	v_max_f32_e32 v10, v10, v10
	v_min_f32_e32 v16, v10, v11
	v_max_f32_e32 v10, v10, v11
	v_cndmask_b32_e32 v11, v10, v16, vcc
	v_and_b32_e32 v10, 0x7f800000, v11
	v_cmp_ne_u32_e64 s[40:41], s56, v10
                                        ; implicit-def: $vgpr10
	s_and_saveexec_b64 s[94:95], s[40:41]
	s_xor_b64 s[40:41], exec, s[94:95]
; %bb.865:                              ;   in Loop: Header=BB12_303 Depth=3
	v_bfe_u32 v10, v11, 16, 1
	v_add3_u32 v10, v11, v10, s57
                                        ; implicit-def: $vgpr11
; %bb.866:                              ;   in Loop: Header=BB12_303 Depth=3
	s_andn2_saveexec_b64 s[94:95], s[40:41]
	s_cbranch_execz .LBB12_868
; %bb.867:                              ;   in Loop: Header=BB12_303 Depth=3
	buffer_load_dword v16, off, s[0:3], s33 offset:128 ; 4-byte Folded Reload
	buffer_load_dword v17, off, s[0:3], s33 offset:132 ; 4-byte Folded Reload
	v_or_b32_e32 v10, 0x10000, v11
	s_waitcnt vmcnt(1)
	v_cmp_eq_u32_sdwa s[40:41], v11, v16 src0_sel:WORD_0 src1_sel:DWORD
	v_cndmask_b32_e64 v10, v10, v11, s[40:41]
.LBB12_868:                             ;   in Loop: Header=BB12_303 Depth=3
	s_or_b64 exec, exec, s[94:95]
	s_waitcnt vmcnt(5)
	v_lshlrev_b32_e32 v11, 16, v14
	s_waitcnt vmcnt(3)
	v_lshlrev_b32_e32 v16, 16, v15
	v_max_f32_e32 v16, v16, v16
	v_max_f32_e32 v11, v11, v11
	s_waitcnt vmcnt(0)
	v_min_f32_e32 v17, v11, v16
	v_max_f32_e32 v11, v11, v16
	v_cndmask_b32_e32 v16, v11, v17, vcc
	v_and_b32_e32 v11, 0x7f800000, v16
	v_cmp_ne_u32_e64 s[40:41], s56, v11
                                        ; implicit-def: $vgpr11
	s_and_saveexec_b64 s[94:95], s[40:41]
	s_xor_b64 s[40:41], exec, s[94:95]
; %bb.869:                              ;   in Loop: Header=BB12_303 Depth=3
	v_bfe_u32 v11, v16, 16, 1
	v_add3_u32 v11, v16, v11, s57
                                        ; implicit-def: $vgpr16
; %bb.870:                              ;   in Loop: Header=BB12_303 Depth=3
	s_andn2_saveexec_b64 s[94:95], s[40:41]
	s_cbranch_execz .LBB12_872
; %bb.871:                              ;   in Loop: Header=BB12_303 Depth=3
	buffer_load_dword v17, off, s[0:3], s33 offset:128 ; 4-byte Folded Reload
	buffer_load_dword v18, off, s[0:3], s33 offset:132 ; 4-byte Folded Reload
	v_or_b32_e32 v11, 0x10000, v16
	s_waitcnt vmcnt(1)
	v_cmp_eq_u32_sdwa s[40:41], v16, v17 src0_sel:WORD_0 src1_sel:DWORD
	v_cndmask_b32_e64 v11, v11, v16, s[40:41]
.LBB12_872:                             ;   in Loop: Header=BB12_303 Depth=3
	s_or_b64 exec, exec, s[94:95]
	v_and_b32_e32 v14, 0xffff0000, v14
	v_and_b32_e32 v15, 0xffff0000, v15
	v_max_f32_e32 v15, v15, v15
	v_max_f32_e32 v14, v14, v14
	v_min_f32_e32 v16, v14, v15
	v_max_f32_e32 v14, v14, v15
	v_cndmask_b32_e32 v15, v14, v16, vcc
	v_and_b32_e32 v14, 0x7f800000, v15
	v_cmp_ne_u32_e64 s[40:41], s56, v14
                                        ; implicit-def: $vgpr14
	s_and_saveexec_b64 s[94:95], s[40:41]
	s_xor_b64 s[40:41], exec, s[94:95]
; %bb.873:                              ;   in Loop: Header=BB12_303 Depth=3
	v_bfe_u32 v14, v15, 16, 1
	v_add3_u32 v14, v15, v14, s57
                                        ; implicit-def: $vgpr15
; %bb.874:                              ;   in Loop: Header=BB12_303 Depth=3
	s_andn2_saveexec_b64 s[94:95], s[40:41]
	s_cbranch_execz .LBB12_876
; %bb.875:                              ;   in Loop: Header=BB12_303 Depth=3
	buffer_load_dword v16, off, s[0:3], s33 offset:128 ; 4-byte Folded Reload
	buffer_load_dword v17, off, s[0:3], s33 offset:132 ; 4-byte Folded Reload
	v_or_b32_e32 v14, 0x10000, v15
	s_waitcnt vmcnt(1)
	v_cmp_eq_u32_sdwa s[40:41], v15, v16 src0_sel:WORD_0 src1_sel:DWORD
	v_cndmask_b32_e64 v14, v14, v15, s[40:41]
.LBB12_876:                             ;   in Loop: Header=BB12_303 Depth=3
	s_or_b64 exec, exec, s[94:95]
	v_lshlrev_b32_e32 v15, 16, v12
	v_lshlrev_b32_e32 v16, 16, v13
	v_max_f32_e32 v16, v16, v16
	v_max_f32_e32 v15, v15, v15
	s_waitcnt vmcnt(0)
	v_min_f32_e32 v17, v15, v16
	v_max_f32_e32 v15, v15, v16
	v_cndmask_b32_e32 v16, v15, v17, vcc
	v_and_b32_e32 v15, 0x7f800000, v16
	v_cmp_ne_u32_e64 s[40:41], s56, v15
                                        ; implicit-def: $vgpr15
	s_and_saveexec_b64 s[94:95], s[40:41]
	s_xor_b64 s[40:41], exec, s[94:95]
; %bb.877:                              ;   in Loop: Header=BB12_303 Depth=3
	v_bfe_u32 v15, v16, 16, 1
	v_add3_u32 v15, v16, v15, s57
                                        ; implicit-def: $vgpr16
; %bb.878:                              ;   in Loop: Header=BB12_303 Depth=3
	s_andn2_saveexec_b64 s[94:95], s[40:41]
	s_cbranch_execz .LBB12_880
; %bb.879:                              ;   in Loop: Header=BB12_303 Depth=3
	buffer_load_dword v17, off, s[0:3], s33 offset:128 ; 4-byte Folded Reload
	buffer_load_dword v18, off, s[0:3], s33 offset:132 ; 4-byte Folded Reload
	v_or_b32_e32 v15, 0x10000, v16
	s_waitcnt vmcnt(1)
	v_cmp_eq_u32_sdwa s[40:41], v16, v17 src0_sel:WORD_0 src1_sel:DWORD
	v_cndmask_b32_e64 v15, v15, v16, s[40:41]
.LBB12_880:                             ;   in Loop: Header=BB12_303 Depth=3
	s_or_b64 exec, exec, s[94:95]
	v_and_b32_e32 v12, 0xffff0000, v12
	v_and_b32_e32 v13, 0xffff0000, v13
	v_max_f32_e32 v13, v13, v13
	v_max_f32_e32 v12, v12, v12
	v_min_f32_e32 v16, v12, v13
	v_max_f32_e32 v12, v12, v13
	v_cndmask_b32_e32 v13, v12, v16, vcc
	v_and_b32_e32 v12, 0x7f800000, v13
	v_cmp_ne_u32_e64 s[40:41], s56, v12
                                        ; implicit-def: $vgpr12
	s_and_saveexec_b64 s[94:95], s[40:41]
	s_xor_b64 s[40:41], exec, s[94:95]
; %bb.881:                              ;   in Loop: Header=BB12_303 Depth=3
	v_bfe_u32 v12, v13, 16, 1
	v_add3_u32 v12, v13, v12, s57
                                        ; implicit-def: $vgpr13
; %bb.882:                              ;   in Loop: Header=BB12_303 Depth=3
	s_andn2_saveexec_b64 s[94:95], s[40:41]
	s_cbranch_execz .LBB12_884
; %bb.883:                              ;   in Loop: Header=BB12_303 Depth=3
	buffer_load_dword v16, off, s[0:3], s33 offset:128 ; 4-byte Folded Reload
	buffer_load_dword v17, off, s[0:3], s33 offset:132 ; 4-byte Folded Reload
	v_or_b32_e32 v12, 0x10000, v13
	s_waitcnt vmcnt(1)
	v_cmp_eq_u32_sdwa s[40:41], v13, v16 src0_sel:WORD_0 src1_sel:DWORD
	v_cndmask_b32_e64 v12, v12, v13, s[40:41]
.LBB12_884:                             ;   in Loop: Header=BB12_303 Depth=3
	s_or_b64 exec, exec, s[94:95]
	v_lshlrev_b32_e32 v13, 16, v9
	v_lshlrev_b32_e32 v16, 16, v7
	v_max_f32_e32 v16, v16, v16
	v_max_f32_e32 v13, v13, v13
	s_waitcnt vmcnt(0)
	v_min_f32_e32 v17, v13, v16
	v_max_f32_e32 v13, v13, v16
	v_cndmask_b32_e32 v16, v13, v17, vcc
	v_and_b32_e32 v13, 0x7f800000, v16
	v_cmp_ne_u32_e64 s[40:41], s56, v13
                                        ; implicit-def: $vgpr13
	s_and_saveexec_b64 s[94:95], s[40:41]
	s_xor_b64 s[40:41], exec, s[94:95]
; %bb.885:                              ;   in Loop: Header=BB12_303 Depth=3
	v_bfe_u32 v13, v16, 16, 1
	v_add3_u32 v13, v16, v13, s57
                                        ; implicit-def: $vgpr16
; %bb.886:                              ;   in Loop: Header=BB12_303 Depth=3
	s_andn2_saveexec_b64 s[94:95], s[40:41]
	s_cbranch_execz .LBB12_888
; %bb.887:                              ;   in Loop: Header=BB12_303 Depth=3
	buffer_load_dword v17, off, s[0:3], s33 offset:128 ; 4-byte Folded Reload
	buffer_load_dword v18, off, s[0:3], s33 offset:132 ; 4-byte Folded Reload
	v_or_b32_e32 v13, 0x10000, v16
	s_waitcnt vmcnt(1)
	v_cmp_eq_u32_sdwa s[40:41], v16, v17 src0_sel:WORD_0 src1_sel:DWORD
	v_cndmask_b32_e64 v13, v13, v16, s[40:41]
.LBB12_888:                             ;   in Loop: Header=BB12_303 Depth=3
	s_or_b64 exec, exec, s[94:95]
	v_and_b32_e32 v9, 0xffff0000, v9
	v_and_b32_e32 v7, 0xffff0000, v7
	v_max_f32_e32 v7, v7, v7
	v_max_f32_e32 v9, v9, v9
	v_min_f32_e32 v16, v9, v7
	v_max_f32_e32 v7, v9, v7
	v_cndmask_b32_e32 v9, v7, v16, vcc
	v_and_b32_e32 v7, 0x7f800000, v9
	v_cmp_ne_u32_e32 vcc, s56, v7
                                        ; implicit-def: $vgpr7
	s_and_saveexec_b64 s[40:41], vcc
	s_xor_b64 s[40:41], exec, s[40:41]
; %bb.889:                              ;   in Loop: Header=BB12_303 Depth=3
	v_bfe_u32 v7, v9, 16, 1
	v_add3_u32 v7, v9, v7, s57
                                        ; implicit-def: $vgpr9
; %bb.890:                              ;   in Loop: Header=BB12_303 Depth=3
	s_andn2_saveexec_b64 s[40:41], s[40:41]
	s_cbranch_execz .LBB12_892
; %bb.891:                              ;   in Loop: Header=BB12_303 Depth=3
	buffer_load_dword v16, off, s[0:3], s33 offset:128 ; 4-byte Folded Reload
	buffer_load_dword v17, off, s[0:3], s33 offset:132 ; 4-byte Folded Reload
	v_or_b32_e32 v7, 0x10000, v9
	s_waitcnt vmcnt(1)
	v_cmp_eq_u32_sdwa vcc, v9, v16 src0_sel:WORD_0 src1_sel:DWORD
	v_cndmask_b32_e32 v7, v7, v9, vcc
.LBB12_892:                             ;   in Loop: Header=BB12_303 Depth=3
	s_or_b64 exec, exec, s[40:41]
	v_lshrrev_b32_e32 v6, 16, v6
	v_and_or_b32 v10, v10, s46, v6
	v_lshrrev_b32_e32 v6, 16, v15
	v_lshrrev_b32_e32 v9, 16, v11
	v_and_or_b32 v12, v12, s46, v6
	v_lshrrev_b32_e32 v6, 16, v13
	v_and_or_b32 v11, v14, s46, v9
	v_and_or_b32 v13, v7, s46, v6
	global_store_dwordx4 v[0:1], v[10:13], off glc slc
.LBB12_893:                             ;   in Loop: Header=BB12_303 Depth=3
	s_or_b64 exec, exec, s[42:43]
	v_and_b32_e32 v1, 14, v30
	v_cndmask_b32_e64 v30, v5, v1, s[28:29]
	v_cmp_ne_u32_e32 vcc, 0, v30
	s_mov_b64 s[42:43], s[90:91]
                                        ; implicit-def: $vgpr6
                                        ; implicit-def: $vgpr0
                                        ; implicit-def: $vgpr7
	s_and_saveexec_b64 s[40:41], vcc
	s_cbranch_execz .LBB12_895
; %bb.894:                              ;   in Loop: Header=BB12_303 Depth=3
	v_sub_u32_e32 v0, v5, v1
	v_cndmask_b32_e64 v0, 0, v0, s[28:29]
	v_add3_u32 v6, v4, v2, v0
	buffer_load_dword v0, off, s[0:3], s33 offset:152 ; 4-byte Folded Reload
	v_cmp_lt_i32_e32 vcc, 0, v8
	s_or_b64 s[42:43], s[90:91], exec
	s_waitcnt vmcnt(0)
	v_cndmask_b32_e32 v0, 0, v0, vcc
	v_sub_u32_e32 v0, v0, v8
	v_lshl_add_u32 v0, v0, 6, v3
	v_ashrrev_i32_e32 v1, 31, v0
	v_lshrrev_b32_e32 v1, 26, v1
	v_add_u32_e32 v1, v0, v1
	v_and_b32_e32 v1, 0xffffffc0, v1
	v_sub_u32_e32 v7, v0, v1
.LBB12_895:                             ;   in Loop: Header=BB12_303 Depth=3
	s_or_b64 exec, exec, s[40:41]
	s_andn2_b64 s[28:29], s[90:91], exec
	s_and_b64 s[40:41], s[42:43], exec
	s_or_b64 s[90:91], s[28:29], s[40:41]
.LBB12_896:                             ;   in Loop: Header=BB12_303 Depth=3
	s_or_b64 exec, exec, s[92:93]
	s_and_saveexec_b64 s[42:43], s[90:91]
	s_cbranch_execz .LBB12_1124
.LBB12_897:                             ;   in Loop: Header=BB12_303 Depth=3
	s_waitcnt vmcnt(0)
	v_ashrrev_i32_e32 v1, 31, v0
	v_lshrrev_b32_e32 v1, 26, v1
	v_add_u32_e32 v0, v0, v1
	v_ashrrev_i32_e32 v0, 6, v0
	v_lshlrev_b32_e32 v1, 11, v0
	v_lshlrev_b32_e32 v2, 1, v7
	v_add3_u32 v20, v6, v2, v1
	v_ashrrev_i32_e32 v1, 31, v30
	v_lshrrev_b32_e32 v1, 21, v1
	v_add_u32_e32 v1, v30, v1
	v_ashrrev_i32_e32 v1, 11, v1
	v_ashrrev_i32_e32 v21, 31, v20
	v_sub_u32_e32 v9, v1, v0
	v_add_co_u32_e32 v0, vcc, v28, v20
	buffer_store_dword v1, off, s[0:3], s33 offset:388 ; 4-byte Folded Spill
	v_addc_co_u32_e32 v1, vcc, v29, v21, vcc
	buffer_store_dword v7, off, s[0:3], s33 offset:384 ; 4-byte Folded Spill
	buffer_store_dword v6, off, s[0:3], s33 offset:380 ; 4-byte Folded Spill
	v_cmp_lt_i32_e32 vcc, 0, v9
	v_mov_b32_e32 v8, 0
	s_mov_b64 s[28:29], 0
	v_mov_b32_e32 v12, 0
	v_mov_b32_e32 v15, 0
	;; [unrolled: 1-line block ×31, first 2 shown]
	s_and_saveexec_b64 s[40:41], vcc
	s_cbranch_execz .LBB12_1033
; %bb.898:                              ;   in Loop: Header=BB12_303 Depth=3
	buffer_store_dword v30, off, s[0:3], s33 offset:468 ; 4-byte Folded Spill
	buffer_store_dword v28, off, s[0:3], s33 offset:460 ; 4-byte Folded Spill
	s_nop 0
	buffer_store_dword v29, off, s[0:3], s33 offset:464 ; 4-byte Folded Spill
	buffer_store_dword v45, off, s[0:3], s33 offset:508 ; 4-byte Folded Spill
	;; [unrolled: 1-line block ×3, first 2 shown]
	s_nop 0
	buffer_store_dword v55, off, s[0:3], s33 offset:504 ; 4-byte Folded Spill
	buffer_store_dword v51, off, s[0:3], s33 offset:492 ; 4-byte Folded Spill
	s_nop 0
	buffer_store_dword v52, off, s[0:3], s33 offset:496 ; 4-byte Folded Spill
	s_trap 2
	ds_read_b64 v[4:5], v0
	buffer_load_dword v2, off, s[0:3], s33 offset:452 ; 4-byte Folded Reload
	buffer_load_dword v3, off, s[0:3], s33 offset:456 ; 4-byte Folded Reload
                                        ; implicit-def: $vgpr6
                                        ; kill: killed $vgpr6
                                        ; implicit-def: $vgpr6
                                        ; kill: killed $vgpr6
	;; [unrolled: 2-line block ×8, first 2 shown]
                                        ; implicit-def: $vgpr6
	s_and_b32 s28, s9, 0xff
                                        ; kill: killed $vgpr6
                                        ; implicit-def: $vgpr6
	s_cmp_eq_u32 s28, 0
                                        ; kill: killed $vgpr6
                                        ; implicit-def: $vgpr6
	s_mov_b64 s[94:95], 0
	s_mov_b64 s[92:93], 0
	s_cselect_b64 s[28:29], -1, 0
                                        ; kill: killed $vgpr6
                                        ; implicit-def: $vgpr6
                                        ; implicit-def: $sgpr90_sgpr91
                                        ; implicit-def: $vgpr10
                                        ; implicit-def: $vgpr7
                                        ; implicit-def: $vgpr59
                                        ; implicit-def: $vgpr56
                                        ; implicit-def: $vgpr44
                                        ; implicit-def: $vgpr41
                                        ; implicit-def: $vgpr54
                                        ; implicit-def: $vgpr51
                                        ; implicit-def: $vgpr48
                                        ; implicit-def: $vgpr36
                                        ; implicit-def: $vgpr33
                                        ; implicit-def: $vgpr30
                                        ; implicit-def: $vgpr29
                                        ; implicit-def: $vgpr28
                                        ; implicit-def: $vgpr27
                                        ; implicit-def: $vgpr26
                                        ; kill: killed $vgpr6
                                        ; implicit-def: $vgpr6
                                        ; kill: killed $vgpr6
                                        ; implicit-def: $vgpr23
                                        ; implicit-def: $vgpr24
                                        ; implicit-def: $vgpr25
	s_waitcnt vmcnt(1)
	v_add_co_u32_e32 v2, vcc, v20, v2
	s_waitcnt vmcnt(0)
	v_addc_co_u32_e32 v3, vcc, v21, v3, vcc
	s_waitcnt lgkmcnt(0)
	v_add_co_u32_e32 v4, vcc, v4, v20
	v_addc_co_u32_e32 v5, vcc, v5, v21, vcc
	s_branch .LBB12_900
.LBB12_899:                             ;   in Loop: Header=BB12_900 Depth=4
	s_or_b64 exec, exec, s[30:31]
	flat_store_short_d16_hi v[0:1], v17 glc slc
	flat_store_short_d16_hi v[0:1], v15 offset:128 glc slc
	flat_store_short_d16_hi v[0:1], v13 offset:256 glc slc
	;; [unrolled: 1-line block ×15, first 2 shown]
	buffer_load_dword v11, off, s[0:3], s33 offset:272 ; 4-byte Folded Reload
	buffer_load_dword v12, off, s[0:3], s33 offset:276 ; 4-byte Folded Reload
	;; [unrolled: 1-line block ×4, first 2 shown]
	v_mov_b32_e32 v15, 0x800
	s_waitcnt vmcnt(0)
	v_add_co_u32_e32 v6, vcc, v2, v11
	v_cndmask_b32_e64 v2, v2, v6, s[94:95]
	buffer_load_dword v6, off, s[0:3], s33 offset:152 ; 4-byte Folded Reload
	v_addc_co_u32_e32 v8, vcc, v3, v12, vcc
	v_add_co_u32_e32 v11, vcc, v4, v11
	v_addc_co_u32_e32 v12, vcc, v5, v12, vcc
	v_cndmask_b32_e64 v14, v15, v14, s[94:95]
	v_cndmask_b32_e64 v13, 0, v13, s[94:95]
	v_add_co_u32_e32 v0, vcc, v0, v14
	v_addc_co_u32_e32 v1, vcc, v1, v13, vcc
	v_cndmask_b32_e64 v3, v3, v8, s[94:95]
	v_cndmask_b32_e64 v5, v5, v12, s[94:95]
	;; [unrolled: 1-line block ×3, first 2 shown]
	s_waitcnt vmcnt(0)
	v_cndmask_b32_e64 v6, 0, v6, s[94:95]
	v_sub_u32_e32 v9, v9, v6
	v_cmp_gt_i32_e32 vcc, 1, v9
	s_or_b64 s[92:93], vcc, s[92:93]
	s_andn2_b64 s[90:91], s[90:91], exec
	s_and_b64 vcc, s[94:95], exec
	s_or_b64 s[90:91], s[90:91], vcc
	s_andn2_b64 exec, exec, s[92:93]
	s_cbranch_execz .LBB12_1032
.LBB12_900:                             ;   Parent Loop BB12_47 Depth=1
                                        ;     Parent Loop BB12_300 Depth=2
                                        ;       Parent Loop BB12_303 Depth=3
                                        ; =>      This Inner Loop Header: Depth=4
	flat_load_ushort v17, v[2:3] glc slc
	flat_load_ushort v15, v[2:3] offset:128 glc slc
	flat_load_ushort v13, v[2:3] offset:256 glc slc
	;; [unrolled: 1-line block ×15, first 2 shown]
	flat_load_ushort v18, v[4:5] glc slc
	flat_load_ushort v16, v[4:5] offset:128 glc slc
	flat_load_ushort v14, v[4:5] offset:256 glc slc
	;; [unrolled: 1-line block ×15, first 2 shown]
	s_and_saveexec_b64 s[30:31], s[94:95]
	s_cbranch_execz .LBB12_966
; %bb.901:                              ;   in Loop: Header=BB12_900 Depth=4
	buffer_load_dword v19, off, s[0:3], s33 offset:168 ; 4-byte Folded Reload
	v_lshlrev_b32_e32 v10, 16, v10
	v_max_f32_e32 v10, v10, v10
	s_waitcnt vmcnt(0)
	v_lshlrev_b32_e32 v19, 16, v19
	v_max_f32_e32 v19, v19, v19
	v_min_f32_e32 v20, v10, v19
	v_max_f32_e32 v10, v10, v19
	v_cndmask_b32_e64 v19, v10, v20, s[28:29]
	v_and_b32_e32 v10, 0x7f800000, v19
	v_cmp_ne_u32_e32 vcc, s56, v10
                                        ; implicit-def: $vgpr10
	s_and_saveexec_b64 s[94:95], vcc
	s_xor_b64 s[94:95], exec, s[94:95]
; %bb.902:                              ;   in Loop: Header=BB12_900 Depth=4
	v_bfe_u32 v10, v19, 16, 1
	v_add3_u32 v10, v19, v10, s57
                                        ; implicit-def: $vgpr19
; %bb.903:                              ;   in Loop: Header=BB12_900 Depth=4
	s_andn2_saveexec_b64 s[94:95], s[94:95]
	s_cbranch_execz .LBB12_905
; %bb.904:                              ;   in Loop: Header=BB12_900 Depth=4
	buffer_load_dword v20, off, s[0:3], s33 offset:128 ; 4-byte Folded Reload
	buffer_load_dword v21, off, s[0:3], s33 offset:132 ; 4-byte Folded Reload
	v_or_b32_e32 v10, 0x10000, v19
	s_waitcnt vmcnt(0)
	v_cmp_eq_u32_sdwa vcc, v19, v20 src0_sel:WORD_0 src1_sel:DWORD
	v_cndmask_b32_e32 v10, v10, v19, vcc
.LBB12_905:                             ;   in Loop: Header=BB12_900 Depth=4
	s_or_b64 exec, exec, s[94:95]
	buffer_load_dword v19, off, s[0:3], s33 offset:184 ; 4-byte Folded Reload
	v_lshlrev_b32_e32 v7, 16, v7
	v_max_f32_e32 v7, v7, v7
	s_waitcnt vmcnt(0)
	v_lshlrev_b32_e32 v19, 16, v19
	v_max_f32_e32 v19, v19, v19
	v_min_f32_e32 v20, v7, v19
	v_max_f32_e32 v7, v7, v19
	v_cndmask_b32_e64 v19, v7, v20, s[28:29]
	v_and_b32_e32 v7, 0x7f800000, v19
	v_cmp_ne_u32_e32 vcc, s56, v7
                                        ; implicit-def: $vgpr7
	s_and_saveexec_b64 s[94:95], vcc
	s_xor_b64 s[94:95], exec, s[94:95]
; %bb.906:                              ;   in Loop: Header=BB12_900 Depth=4
	v_bfe_u32 v7, v19, 16, 1
	v_add3_u32 v7, v19, v7, s57
                                        ; implicit-def: $vgpr19
; %bb.907:                              ;   in Loop: Header=BB12_900 Depth=4
	s_andn2_saveexec_b64 s[94:95], s[94:95]
	s_cbranch_execz .LBB12_909
; %bb.908:                              ;   in Loop: Header=BB12_900 Depth=4
	buffer_load_dword v20, off, s[0:3], s33 offset:128 ; 4-byte Folded Reload
	buffer_load_dword v21, off, s[0:3], s33 offset:132 ; 4-byte Folded Reload
	v_or_b32_e32 v7, 0x10000, v19
	s_waitcnt vmcnt(0)
	v_cmp_eq_u32_sdwa vcc, v19, v20 src0_sel:WORD_0 src1_sel:DWORD
	v_cndmask_b32_e32 v7, v7, v19, vcc
.LBB12_909:                             ;   in Loop: Header=BB12_900 Depth=4
	s_or_b64 exec, exec, s[94:95]
	buffer_load_dword v20, off, s[0:3], s33 offset:200 ; 4-byte Folded Reload
	v_lshlrev_b32_e32 v19, 16, v59
	v_max_f32_e32 v19, v19, v19
	s_waitcnt vmcnt(0)
	v_lshlrev_b32_e32 v20, 16, v20
	v_max_f32_e32 v20, v20, v20
	v_min_f32_e32 v59, v19, v20
	v_max_f32_e32 v19, v19, v20
	v_cndmask_b32_e64 v19, v19, v59, s[28:29]
	v_and_b32_e32 v20, 0x7f800000, v19
	v_cmp_ne_u32_e32 vcc, s56, v20
                                        ; implicit-def: $vgpr59
	s_and_saveexec_b64 s[94:95], vcc
	s_xor_b64 s[94:95], exec, s[94:95]
; %bb.910:                              ;   in Loop: Header=BB12_900 Depth=4
	v_bfe_u32 v20, v19, 16, 1
	v_add3_u32 v59, v19, v20, s57
                                        ; implicit-def: $vgpr19
; %bb.911:                              ;   in Loop: Header=BB12_900 Depth=4
	s_andn2_saveexec_b64 s[94:95], s[94:95]
	s_cbranch_execz .LBB12_913
; %bb.912:                              ;   in Loop: Header=BB12_900 Depth=4
	buffer_load_dword v21, off, s[0:3], s33 offset:128 ; 4-byte Folded Reload
	buffer_load_dword v22, off, s[0:3], s33 offset:132 ; 4-byte Folded Reload
	v_or_b32_e32 v20, 0x10000, v19
	s_waitcnt vmcnt(0)
	v_cmp_eq_u32_sdwa vcc, v19, v21 src0_sel:WORD_0 src1_sel:DWORD
	v_cndmask_b32_e32 v59, v20, v19, vcc
.LBB12_913:                             ;   in Loop: Header=BB12_900 Depth=4
	s_or_b64 exec, exec, s[94:95]
	buffer_load_dword v20, off, s[0:3], s33 offset:216 ; 4-byte Folded Reload
	v_lshlrev_b32_e32 v19, 16, v56
	v_max_f32_e32 v19, v19, v19
	s_waitcnt vmcnt(0)
	v_lshlrev_b32_e32 v20, 16, v20
	v_max_f32_e32 v20, v20, v20
	v_min_f32_e32 v56, v19, v20
	v_max_f32_e32 v19, v19, v20
	v_cndmask_b32_e64 v19, v19, v56, s[28:29]
	v_and_b32_e32 v20, 0x7f800000, v19
	v_cmp_ne_u32_e32 vcc, s56, v20
                                        ; implicit-def: $vgpr56
	s_and_saveexec_b64 s[94:95], vcc
	s_xor_b64 s[94:95], exec, s[94:95]
; %bb.914:                              ;   in Loop: Header=BB12_900 Depth=4
	v_bfe_u32 v20, v19, 16, 1
	v_add3_u32 v56, v19, v20, s57
                                        ; implicit-def: $vgpr19
; %bb.915:                              ;   in Loop: Header=BB12_900 Depth=4
	s_andn2_saveexec_b64 s[94:95], s[94:95]
	s_cbranch_execz .LBB12_917
; %bb.916:                              ;   in Loop: Header=BB12_900 Depth=4
	buffer_load_dword v21, off, s[0:3], s33 offset:128 ; 4-byte Folded Reload
	buffer_load_dword v22, off, s[0:3], s33 offset:132 ; 4-byte Folded Reload
	v_or_b32_e32 v20, 0x10000, v19
	s_waitcnt vmcnt(0)
	v_cmp_eq_u32_sdwa vcc, v19, v21 src0_sel:WORD_0 src1_sel:DWORD
	v_cndmask_b32_e32 v56, v20, v19, vcc
.LBB12_917:                             ;   in Loop: Header=BB12_900 Depth=4
	s_or_b64 exec, exec, s[94:95]
	buffer_load_dword v20, off, s[0:3], s33 offset:240 ; 4-byte Folded Reload
	v_lshlrev_b32_e32 v19, 16, v44
	v_max_f32_e32 v19, v19, v19
	s_waitcnt vmcnt(0)
	v_lshlrev_b32_e32 v20, 16, v20
	v_max_f32_e32 v20, v20, v20
	v_min_f32_e32 v44, v19, v20
	v_max_f32_e32 v19, v19, v20
	v_cndmask_b32_e64 v19, v19, v44, s[28:29]
	v_and_b32_e32 v20, 0x7f800000, v19
	v_cmp_ne_u32_e32 vcc, s56, v20
                                        ; implicit-def: $vgpr44
	s_and_saveexec_b64 s[94:95], vcc
	s_xor_b64 s[94:95], exec, s[94:95]
; %bb.918:                              ;   in Loop: Header=BB12_900 Depth=4
	v_bfe_u32 v20, v19, 16, 1
	v_add3_u32 v44, v19, v20, s57
                                        ; implicit-def: $vgpr19
; %bb.919:                              ;   in Loop: Header=BB12_900 Depth=4
	s_andn2_saveexec_b64 s[94:95], s[94:95]
	s_cbranch_execz .LBB12_921
; %bb.920:                              ;   in Loop: Header=BB12_900 Depth=4
	buffer_load_dword v21, off, s[0:3], s33 offset:128 ; 4-byte Folded Reload
	buffer_load_dword v22, off, s[0:3], s33 offset:132 ; 4-byte Folded Reload
	v_or_b32_e32 v20, 0x10000, v19
	s_waitcnt vmcnt(0)
	v_cmp_eq_u32_sdwa vcc, v19, v21 src0_sel:WORD_0 src1_sel:DWORD
	v_cndmask_b32_e32 v44, v20, v19, vcc
.LBB12_921:                             ;   in Loop: Header=BB12_900 Depth=4
	s_or_b64 exec, exec, s[94:95]
	buffer_load_dword v20, off, s[0:3], s33 offset:284 ; 4-byte Folded Reload
	v_lshlrev_b32_e32 v19, 16, v41
	v_max_f32_e32 v19, v19, v19
	s_waitcnt vmcnt(0)
	v_lshlrev_b32_e32 v20, 16, v20
	v_max_f32_e32 v20, v20, v20
	v_min_f32_e32 v41, v19, v20
	v_max_f32_e32 v19, v19, v20
	v_cndmask_b32_e64 v19, v19, v41, s[28:29]
	v_and_b32_e32 v20, 0x7f800000, v19
	v_cmp_ne_u32_e32 vcc, s56, v20
                                        ; implicit-def: $vgpr41
	s_and_saveexec_b64 s[94:95], vcc
	s_xor_b64 s[94:95], exec, s[94:95]
; %bb.922:                              ;   in Loop: Header=BB12_900 Depth=4
	v_bfe_u32 v20, v19, 16, 1
	v_add3_u32 v41, v19, v20, s57
                                        ; implicit-def: $vgpr19
; %bb.923:                              ;   in Loop: Header=BB12_900 Depth=4
	s_andn2_saveexec_b64 s[94:95], s[94:95]
	s_cbranch_execz .LBB12_925
; %bb.924:                              ;   in Loop: Header=BB12_900 Depth=4
	buffer_load_dword v21, off, s[0:3], s33 offset:128 ; 4-byte Folded Reload
	buffer_load_dword v22, off, s[0:3], s33 offset:132 ; 4-byte Folded Reload
	v_or_b32_e32 v20, 0x10000, v19
	s_waitcnt vmcnt(0)
	v_cmp_eq_u32_sdwa vcc, v19, v21 src0_sel:WORD_0 src1_sel:DWORD
	v_cndmask_b32_e32 v41, v20, v19, vcc
.LBB12_925:                             ;   in Loop: Header=BB12_900 Depth=4
	s_or_b64 exec, exec, s[94:95]
	buffer_load_dword v20, off, s[0:3], s33 offset:292 ; 4-byte Folded Reload
	v_lshlrev_b32_e32 v19, 16, v54
	v_max_f32_e32 v19, v19, v19
	s_waitcnt vmcnt(0)
	v_lshlrev_b32_e32 v20, 16, v20
	v_max_f32_e32 v20, v20, v20
	v_min_f32_e32 v54, v19, v20
	v_max_f32_e32 v19, v19, v20
	v_cndmask_b32_e64 v19, v19, v54, s[28:29]
	v_and_b32_e32 v20, 0x7f800000, v19
	v_cmp_ne_u32_e32 vcc, s56, v20
                                        ; implicit-def: $vgpr54
	s_and_saveexec_b64 s[94:95], vcc
	s_xor_b64 s[94:95], exec, s[94:95]
; %bb.926:                              ;   in Loop: Header=BB12_900 Depth=4
	v_bfe_u32 v20, v19, 16, 1
	v_add3_u32 v54, v19, v20, s57
                                        ; implicit-def: $vgpr19
; %bb.927:                              ;   in Loop: Header=BB12_900 Depth=4
	s_andn2_saveexec_b64 s[94:95], s[94:95]
	s_cbranch_execz .LBB12_929
; %bb.928:                              ;   in Loop: Header=BB12_900 Depth=4
	buffer_load_dword v21, off, s[0:3], s33 offset:128 ; 4-byte Folded Reload
	buffer_load_dword v22, off, s[0:3], s33 offset:132 ; 4-byte Folded Reload
	v_or_b32_e32 v20, 0x10000, v19
	s_waitcnt vmcnt(0)
	v_cmp_eq_u32_sdwa vcc, v19, v21 src0_sel:WORD_0 src1_sel:DWORD
	v_cndmask_b32_e32 v54, v20, v19, vcc
.LBB12_929:                             ;   in Loop: Header=BB12_900 Depth=4
	s_or_b64 exec, exec, s[94:95]
	buffer_load_dword v20, off, s[0:3], s33 offset:300 ; 4-byte Folded Reload
	v_lshlrev_b32_e32 v19, 16, v51
	v_max_f32_e32 v19, v19, v19
	s_waitcnt vmcnt(0)
	v_lshlrev_b32_e32 v20, 16, v20
	v_max_f32_e32 v20, v20, v20
	v_min_f32_e32 v51, v19, v20
	v_max_f32_e32 v19, v19, v20
	v_cndmask_b32_e64 v19, v19, v51, s[28:29]
	v_and_b32_e32 v20, 0x7f800000, v19
	v_cmp_ne_u32_e32 vcc, s56, v20
                                        ; implicit-def: $vgpr51
	s_and_saveexec_b64 s[94:95], vcc
	s_xor_b64 s[94:95], exec, s[94:95]
; %bb.930:                              ;   in Loop: Header=BB12_900 Depth=4
	v_bfe_u32 v20, v19, 16, 1
	v_add3_u32 v51, v19, v20, s57
                                        ; implicit-def: $vgpr19
; %bb.931:                              ;   in Loop: Header=BB12_900 Depth=4
	s_andn2_saveexec_b64 s[94:95], s[94:95]
	s_cbranch_execz .LBB12_933
; %bb.932:                              ;   in Loop: Header=BB12_900 Depth=4
	buffer_load_dword v21, off, s[0:3], s33 offset:128 ; 4-byte Folded Reload
	buffer_load_dword v22, off, s[0:3], s33 offset:132 ; 4-byte Folded Reload
	v_or_b32_e32 v20, 0x10000, v19
	s_waitcnt vmcnt(0)
	v_cmp_eq_u32_sdwa vcc, v19, v21 src0_sel:WORD_0 src1_sel:DWORD
	v_cndmask_b32_e32 v51, v20, v19, vcc
.LBB12_933:                             ;   in Loop: Header=BB12_900 Depth=4
	s_or_b64 exec, exec, s[94:95]
	buffer_load_dword v20, off, s[0:3], s33 offset:308 ; 4-byte Folded Reload
	v_lshlrev_b32_e32 v19, 16, v48
	v_max_f32_e32 v19, v19, v19
	s_waitcnt vmcnt(0)
	v_lshlrev_b32_e32 v20, 16, v20
	v_max_f32_e32 v20, v20, v20
	v_min_f32_e32 v48, v19, v20
	v_max_f32_e32 v19, v19, v20
	v_cndmask_b32_e64 v19, v19, v48, s[28:29]
	v_and_b32_e32 v20, 0x7f800000, v19
	v_cmp_ne_u32_e32 vcc, s56, v20
                                        ; implicit-def: $vgpr48
	s_and_saveexec_b64 s[94:95], vcc
	s_xor_b64 s[94:95], exec, s[94:95]
; %bb.934:                              ;   in Loop: Header=BB12_900 Depth=4
	v_bfe_u32 v20, v19, 16, 1
	v_add3_u32 v48, v19, v20, s57
                                        ; implicit-def: $vgpr19
; %bb.935:                              ;   in Loop: Header=BB12_900 Depth=4
	s_andn2_saveexec_b64 s[94:95], s[94:95]
	s_cbranch_execz .LBB12_937
; %bb.936:                              ;   in Loop: Header=BB12_900 Depth=4
	buffer_load_dword v21, off, s[0:3], s33 offset:128 ; 4-byte Folded Reload
	buffer_load_dword v22, off, s[0:3], s33 offset:132 ; 4-byte Folded Reload
	v_or_b32_e32 v20, 0x10000, v19
	s_waitcnt vmcnt(0)
	v_cmp_eq_u32_sdwa vcc, v19, v21 src0_sel:WORD_0 src1_sel:DWORD
	v_cndmask_b32_e32 v48, v20, v19, vcc
.LBB12_937:                             ;   in Loop: Header=BB12_900 Depth=4
	s_or_b64 exec, exec, s[94:95]
	buffer_load_dword v20, off, s[0:3], s33 offset:352 ; 4-byte Folded Reload
	v_lshlrev_b32_e32 v19, 16, v36
	v_max_f32_e32 v19, v19, v19
	s_waitcnt vmcnt(0)
	v_lshlrev_b32_e32 v20, 16, v20
	v_max_f32_e32 v20, v20, v20
	v_min_f32_e32 v36, v19, v20
	v_max_f32_e32 v19, v19, v20
	v_cndmask_b32_e64 v19, v19, v36, s[28:29]
	v_and_b32_e32 v20, 0x7f800000, v19
	v_cmp_ne_u32_e32 vcc, s56, v20
                                        ; implicit-def: $vgpr36
	s_and_saveexec_b64 s[94:95], vcc
	s_xor_b64 s[94:95], exec, s[94:95]
; %bb.938:                              ;   in Loop: Header=BB12_900 Depth=4
	v_bfe_u32 v20, v19, 16, 1
	v_add3_u32 v36, v19, v20, s57
                                        ; implicit-def: $vgpr19
; %bb.939:                              ;   in Loop: Header=BB12_900 Depth=4
	s_andn2_saveexec_b64 s[94:95], s[94:95]
	s_cbranch_execz .LBB12_941
; %bb.940:                              ;   in Loop: Header=BB12_900 Depth=4
	buffer_load_dword v21, off, s[0:3], s33 offset:128 ; 4-byte Folded Reload
	buffer_load_dword v22, off, s[0:3], s33 offset:132 ; 4-byte Folded Reload
	v_or_b32_e32 v20, 0x10000, v19
	s_waitcnt vmcnt(0)
	v_cmp_eq_u32_sdwa vcc, v19, v21 src0_sel:WORD_0 src1_sel:DWORD
	v_cndmask_b32_e32 v36, v20, v19, vcc
.LBB12_941:                             ;   in Loop: Header=BB12_900 Depth=4
	s_or_b64 exec, exec, s[94:95]
	buffer_load_dword v20, off, s[0:3], s33 offset:360 ; 4-byte Folded Reload
	v_lshlrev_b32_e32 v19, 16, v33
	v_max_f32_e32 v19, v19, v19
	s_waitcnt vmcnt(0)
	v_lshlrev_b32_e32 v20, 16, v20
	v_max_f32_e32 v20, v20, v20
	v_min_f32_e32 v33, v19, v20
	v_max_f32_e32 v19, v19, v20
	v_cndmask_b32_e64 v19, v19, v33, s[28:29]
	v_and_b32_e32 v20, 0x7f800000, v19
	v_cmp_ne_u32_e32 vcc, s56, v20
                                        ; implicit-def: $vgpr33
	s_and_saveexec_b64 s[94:95], vcc
	s_xor_b64 s[94:95], exec, s[94:95]
; %bb.942:                              ;   in Loop: Header=BB12_900 Depth=4
	v_bfe_u32 v20, v19, 16, 1
	v_add3_u32 v33, v19, v20, s57
                                        ; implicit-def: $vgpr19
; %bb.943:                              ;   in Loop: Header=BB12_900 Depth=4
	s_andn2_saveexec_b64 s[94:95], s[94:95]
	s_cbranch_execz .LBB12_945
; %bb.944:                              ;   in Loop: Header=BB12_900 Depth=4
	buffer_load_dword v21, off, s[0:3], s33 offset:128 ; 4-byte Folded Reload
	buffer_load_dword v22, off, s[0:3], s33 offset:132 ; 4-byte Folded Reload
	v_or_b32_e32 v20, 0x10000, v19
	s_waitcnt vmcnt(0)
	v_cmp_eq_u32_sdwa vcc, v19, v21 src0_sel:WORD_0 src1_sel:DWORD
	v_cndmask_b32_e32 v33, v20, v19, vcc
.LBB12_945:                             ;   in Loop: Header=BB12_900 Depth=4
	s_or_b64 exec, exec, s[94:95]
	buffer_load_dword v20, off, s[0:3], s33 offset:368 ; 4-byte Folded Reload
	v_lshlrev_b32_e32 v19, 16, v30
	v_max_f32_e32 v19, v19, v19
	s_waitcnt vmcnt(0)
	v_lshlrev_b32_e32 v20, 16, v20
	v_max_f32_e32 v20, v20, v20
	v_min_f32_e32 v30, v19, v20
	v_max_f32_e32 v19, v19, v20
	v_cndmask_b32_e64 v19, v19, v30, s[28:29]
	v_and_b32_e32 v20, 0x7f800000, v19
	v_cmp_ne_u32_e32 vcc, s56, v20
                                        ; implicit-def: $vgpr30
	s_and_saveexec_b64 s[94:95], vcc
	s_xor_b64 s[94:95], exec, s[94:95]
; %bb.946:                              ;   in Loop: Header=BB12_900 Depth=4
	v_bfe_u32 v20, v19, 16, 1
	v_add3_u32 v30, v19, v20, s57
                                        ; implicit-def: $vgpr19
; %bb.947:                              ;   in Loop: Header=BB12_900 Depth=4
	s_andn2_saveexec_b64 s[94:95], s[94:95]
	s_cbranch_execz .LBB12_949
; %bb.948:                              ;   in Loop: Header=BB12_900 Depth=4
	buffer_load_dword v21, off, s[0:3], s33 offset:128 ; 4-byte Folded Reload
	buffer_load_dword v22, off, s[0:3], s33 offset:132 ; 4-byte Folded Reload
	v_or_b32_e32 v20, 0x10000, v19
	s_waitcnt vmcnt(0)
	v_cmp_eq_u32_sdwa vcc, v19, v21 src0_sel:WORD_0 src1_sel:DWORD
	v_cndmask_b32_e32 v30, v20, v19, vcc
.LBB12_949:                             ;   in Loop: Header=BB12_900 Depth=4
	s_or_b64 exec, exec, s[94:95]
	buffer_load_dword v20, off, s[0:3], s33 offset:376 ; 4-byte Folded Reload
	v_lshlrev_b32_e32 v19, 16, v29
	v_max_f32_e32 v19, v19, v19
	s_waitcnt vmcnt(0)
	v_lshlrev_b32_e32 v20, 16, v20
	v_max_f32_e32 v20, v20, v20
	v_min_f32_e32 v29, v19, v20
	v_max_f32_e32 v19, v19, v20
	v_cndmask_b32_e64 v19, v19, v29, s[28:29]
	v_and_b32_e32 v20, 0x7f800000, v19
	v_cmp_ne_u32_e32 vcc, s56, v20
                                        ; implicit-def: $vgpr29
	s_and_saveexec_b64 s[94:95], vcc
	s_xor_b64 s[94:95], exec, s[94:95]
; %bb.950:                              ;   in Loop: Header=BB12_900 Depth=4
	v_bfe_u32 v20, v19, 16, 1
	v_add3_u32 v29, v19, v20, s57
                                        ; implicit-def: $vgpr19
; %bb.951:                              ;   in Loop: Header=BB12_900 Depth=4
	s_andn2_saveexec_b64 s[94:95], s[94:95]
	s_cbranch_execz .LBB12_953
; %bb.952:                              ;   in Loop: Header=BB12_900 Depth=4
	buffer_load_dword v21, off, s[0:3], s33 offset:128 ; 4-byte Folded Reload
	buffer_load_dword v22, off, s[0:3], s33 offset:132 ; 4-byte Folded Reload
	v_or_b32_e32 v20, 0x10000, v19
	s_waitcnt vmcnt(0)
	v_cmp_eq_u32_sdwa vcc, v19, v21 src0_sel:WORD_0 src1_sel:DWORD
	v_cndmask_b32_e32 v29, v20, v19, vcc
.LBB12_953:                             ;   in Loop: Header=BB12_900 Depth=4
	s_or_b64 exec, exec, s[94:95]
	v_lshlrev_b32_e32 v19, 16, v28
	v_lshlrev_b32_e32 v20, 16, v23
	v_max_f32_e32 v20, v20, v20
	v_max_f32_e32 v19, v19, v19
	v_min_f32_e32 v28, v19, v20
	v_max_f32_e32 v19, v19, v20
	v_cndmask_b32_e64 v19, v19, v28, s[28:29]
	v_and_b32_e32 v20, 0x7f800000, v19
	v_cmp_ne_u32_e32 vcc, s56, v20
                                        ; implicit-def: $vgpr28
	s_and_saveexec_b64 s[94:95], vcc
	s_xor_b64 s[94:95], exec, s[94:95]
; %bb.954:                              ;   in Loop: Header=BB12_900 Depth=4
	v_bfe_u32 v20, v19, 16, 1
	v_add3_u32 v28, v19, v20, s57
                                        ; implicit-def: $vgpr19
; %bb.955:                              ;   in Loop: Header=BB12_900 Depth=4
	s_andn2_saveexec_b64 s[94:95], s[94:95]
	s_cbranch_execz .LBB12_957
; %bb.956:                              ;   in Loop: Header=BB12_900 Depth=4
	buffer_load_dword v21, off, s[0:3], s33 offset:128 ; 4-byte Folded Reload
	buffer_load_dword v22, off, s[0:3], s33 offset:132 ; 4-byte Folded Reload
	v_or_b32_e32 v20, 0x10000, v19
	s_waitcnt vmcnt(0)
	v_cmp_eq_u32_sdwa vcc, v19, v21 src0_sel:WORD_0 src1_sel:DWORD
	v_cndmask_b32_e32 v28, v20, v19, vcc
.LBB12_957:                             ;   in Loop: Header=BB12_900 Depth=4
	s_or_b64 exec, exec, s[94:95]
	v_lshlrev_b32_e32 v19, 16, v27
	v_lshlrev_b32_e32 v20, 16, v24
	v_max_f32_e32 v20, v20, v20
	v_max_f32_e32 v19, v19, v19
	v_min_f32_e32 v27, v19, v20
	v_max_f32_e32 v19, v19, v20
	v_cndmask_b32_e64 v19, v19, v27, s[28:29]
	v_and_b32_e32 v20, 0x7f800000, v19
	v_cmp_ne_u32_e32 vcc, s56, v20
                                        ; implicit-def: $vgpr27
	s_and_saveexec_b64 s[94:95], vcc
	s_xor_b64 s[94:95], exec, s[94:95]
; %bb.958:                              ;   in Loop: Header=BB12_900 Depth=4
	v_bfe_u32 v20, v19, 16, 1
	v_add3_u32 v27, v19, v20, s57
                                        ; implicit-def: $vgpr19
; %bb.959:                              ;   in Loop: Header=BB12_900 Depth=4
	s_andn2_saveexec_b64 s[94:95], s[94:95]
	s_cbranch_execz .LBB12_961
; %bb.960:                              ;   in Loop: Header=BB12_900 Depth=4
	buffer_load_dword v21, off, s[0:3], s33 offset:128 ; 4-byte Folded Reload
	buffer_load_dword v22, off, s[0:3], s33 offset:132 ; 4-byte Folded Reload
	v_or_b32_e32 v20, 0x10000, v19
	s_waitcnt vmcnt(0)
	v_cmp_eq_u32_sdwa vcc, v19, v21 src0_sel:WORD_0 src1_sel:DWORD
	v_cndmask_b32_e32 v27, v20, v19, vcc
.LBB12_961:                             ;   in Loop: Header=BB12_900 Depth=4
	s_or_b64 exec, exec, s[94:95]
	v_lshlrev_b32_e32 v19, 16, v26
	v_lshlrev_b32_e32 v20, 16, v25
	v_max_f32_e32 v20, v20, v20
	v_max_f32_e32 v19, v19, v19
	v_min_f32_e32 v26, v19, v20
	v_max_f32_e32 v19, v19, v20
	v_cndmask_b32_e64 v19, v19, v26, s[28:29]
	v_and_b32_e32 v20, 0x7f800000, v19
	v_cmp_ne_u32_e32 vcc, s56, v20
                                        ; implicit-def: $vgpr26
	s_and_saveexec_b64 s[94:95], vcc
	s_xor_b64 s[94:95], exec, s[94:95]
; %bb.962:                              ;   in Loop: Header=BB12_900 Depth=4
	v_bfe_u32 v20, v19, 16, 1
	v_add3_u32 v26, v19, v20, s57
                                        ; implicit-def: $vgpr19
; %bb.963:                              ;   in Loop: Header=BB12_900 Depth=4
	s_andn2_saveexec_b64 s[94:95], s[94:95]
	s_cbranch_execz .LBB12_965
; %bb.964:                              ;   in Loop: Header=BB12_900 Depth=4
	buffer_load_dword v21, off, s[0:3], s33 offset:128 ; 4-byte Folded Reload
	buffer_load_dword v22, off, s[0:3], s33 offset:132 ; 4-byte Folded Reload
	v_or_b32_e32 v20, 0x10000, v19
	s_waitcnt vmcnt(0)
	v_cmp_eq_u32_sdwa vcc, v19, v21 src0_sel:WORD_0 src1_sel:DWORD
	v_cndmask_b32_e32 v26, v20, v19, vcc
.LBB12_965:                             ;   in Loop: Header=BB12_900 Depth=4
	s_or_b64 exec, exec, s[94:95]
	v_lshrrev_b32_e32 v10, 16, v10
	v_lshrrev_b32_e32 v27, 16, v27
	;; [unrolled: 1-line block ×16, first 2 shown]
	flat_store_short v[0:1], v10 glc slc
	flat_store_short v[0:1], v7 offset:128 glc slc
	flat_store_short v[0:1], v59 offset:256 glc slc
	;; [unrolled: 1-line block ×15, first 2 shown]
	buffer_load_dword v19, off, s[0:3], s33 offset:232 ; 4-byte Folded Reload
	s_waitcnt vmcnt(0)
	v_add_co_u32_e32 v0, vcc, v0, v19
	buffer_load_dword v19, off, s[0:3], s33 offset:236 ; 4-byte Folded Reload
	s_waitcnt vmcnt(0)
	v_addc_co_u32_e32 v1, vcc, v1, v19, vcc
.LBB12_966:                             ;   in Loop: Header=BB12_900 Depth=4
	s_or_b64 exec, exec, s[30:31]
	buffer_load_dword v19, off, s[0:3], s33 offset:232 ; 4-byte Folded Reload
	buffer_load_dword v20, off, s[0:3], s33 offset:236 ; 4-byte Folded Reload
	s_waitcnt vmcnt(0)
	v_add_co_u32_e32 v2, vcc, v2, v19
	v_addc_co_u32_e32 v3, vcc, v3, v20, vcc
	v_add_co_u32_e32 v4, vcc, v4, v19
	buffer_load_dword v19, off, s[0:3], s33 offset:152 ; 4-byte Folded Reload
	v_addc_co_u32_e32 v5, vcc, v5, v20, vcc
	s_waitcnt vmcnt(0)
	v_sub_u32_e32 v9, v9, v19
	v_cmp_lt_i32_e64 s[94:95], 0, v9
	s_and_saveexec_b64 s[30:31], s[94:95]
	s_cbranch_execz .LBB12_968
; %bb.967:                              ;   in Loop: Header=BB12_900 Depth=4
	flat_load_ushort v10, v[2:3] glc slc
	flat_load_ushort v7, v[2:3] offset:128 glc slc
	flat_load_ushort v59, v[2:3] offset:256 glc slc
	;; [unrolled: 1-line block ×15, first 2 shown]
	flat_load_ushort v19, v[4:5] glc slc
	v_add_co_u32_e32 v2, vcc, s64, v2
	v_addc_co_u32_e32 v3, vcc, 0, v3, vcc
	s_waitcnt vmcnt(0) lgkmcnt(0)
	buffer_store_dword v19, off, s[0:3], s33 offset:168 ; 4-byte Folded Spill
	flat_load_ushort v19, v[4:5] offset:128 glc slc
	s_waitcnt vmcnt(0) lgkmcnt(0)
	buffer_store_dword v19, off, s[0:3], s33 offset:184 ; 4-byte Folded Spill
	flat_load_ushort v19, v[4:5] offset:256 glc slc
	;; [unrolled: 3-line block ×13, first 2 shown]
	flat_load_ushort v24, v[4:5] offset:1792 glc slc
	flat_load_ushort v25, v[4:5] offset:1920 glc slc
	v_add_co_u32_e32 v4, vcc, 0x800, v4
	v_addc_co_u32_e32 v5, vcc, 0, v5, vcc
.LBB12_968:                             ;   in Loop: Header=BB12_900 Depth=4
	s_or_b64 exec, exec, s[30:31]
	s_waitcnt lgkmcnt(0)
	v_lshlrev_b32_e32 v17, 16, v17
	v_lshlrev_b32_e32 v18, 16, v18
	v_max_f32_e32 v18, v18, v18
	v_max_f32_e32 v17, v17, v17
	v_min_f32_e32 v19, v17, v18
	v_max_f32_e32 v17, v17, v18
	v_cndmask_b32_e64 v18, v17, v19, s[28:29]
	v_and_b32_e32 v17, 0x7f800000, v18
	v_cmp_ne_u32_e32 vcc, s56, v17
                                        ; implicit-def: $vgpr17
	s_and_saveexec_b64 s[30:31], vcc
	s_xor_b64 vcc, exec, s[30:31]
; %bb.969:                              ;   in Loop: Header=BB12_900 Depth=4
	v_bfe_u32 v17, v18, 16, 1
	v_add3_u32 v17, v18, v17, s57
                                        ; implicit-def: $vgpr18
; %bb.970:                              ;   in Loop: Header=BB12_900 Depth=4
	s_andn2_saveexec_b64 s[30:31], vcc
	s_cbranch_execz .LBB12_972
; %bb.971:                              ;   in Loop: Header=BB12_900 Depth=4
	buffer_load_dword v19, off, s[0:3], s33 offset:128 ; 4-byte Folded Reload
	buffer_load_dword v20, off, s[0:3], s33 offset:132 ; 4-byte Folded Reload
	v_or_b32_e32 v17, 0x10000, v18
	s_waitcnt vmcnt(0)
	v_cmp_eq_u32_sdwa vcc, v18, v19 src0_sel:WORD_0 src1_sel:DWORD
	v_cndmask_b32_e32 v17, v17, v18, vcc
.LBB12_972:                             ;   in Loop: Header=BB12_900 Depth=4
	s_or_b64 exec, exec, s[30:31]
	v_lshlrev_b32_e32 v15, 16, v15
	v_lshlrev_b32_e32 v16, 16, v16
	v_max_f32_e32 v16, v16, v16
	v_max_f32_e32 v15, v15, v15
	v_min_f32_e32 v18, v15, v16
	v_max_f32_e32 v15, v15, v16
	v_cndmask_b32_e64 v16, v15, v18, s[28:29]
	v_and_b32_e32 v15, 0x7f800000, v16
	v_cmp_ne_u32_e32 vcc, s56, v15
                                        ; implicit-def: $vgpr15
	s_and_saveexec_b64 s[30:31], vcc
	s_xor_b64 vcc, exec, s[30:31]
; %bb.973:                              ;   in Loop: Header=BB12_900 Depth=4
	v_bfe_u32 v15, v16, 16, 1
	v_add3_u32 v15, v16, v15, s57
                                        ; implicit-def: $vgpr16
; %bb.974:                              ;   in Loop: Header=BB12_900 Depth=4
	s_andn2_saveexec_b64 s[30:31], vcc
	s_cbranch_execz .LBB12_976
; %bb.975:                              ;   in Loop: Header=BB12_900 Depth=4
	buffer_load_dword v18, off, s[0:3], s33 offset:128 ; 4-byte Folded Reload
	buffer_load_dword v19, off, s[0:3], s33 offset:132 ; 4-byte Folded Reload
	v_or_b32_e32 v15, 0x10000, v16
	s_waitcnt vmcnt(0)
	v_cmp_eq_u32_sdwa vcc, v16, v18 src0_sel:WORD_0 src1_sel:DWORD
	v_cndmask_b32_e32 v15, v15, v16, vcc
.LBB12_976:                             ;   in Loop: Header=BB12_900 Depth=4
	s_or_b64 exec, exec, s[30:31]
	v_lshlrev_b32_e32 v13, 16, v13
	v_lshlrev_b32_e32 v14, 16, v14
	v_max_f32_e32 v14, v14, v14
	v_max_f32_e32 v13, v13, v13
	v_min_f32_e32 v16, v13, v14
	v_max_f32_e32 v13, v13, v14
	v_cndmask_b32_e64 v14, v13, v16, s[28:29]
	v_and_b32_e32 v13, 0x7f800000, v14
	v_cmp_ne_u32_e32 vcc, s56, v13
                                        ; implicit-def: $vgpr13
	s_and_saveexec_b64 s[30:31], vcc
	s_xor_b64 vcc, exec, s[30:31]
; %bb.977:                              ;   in Loop: Header=BB12_900 Depth=4
	v_bfe_u32 v13, v14, 16, 1
	v_add3_u32 v13, v14, v13, s57
                                        ; implicit-def: $vgpr14
; %bb.978:                              ;   in Loop: Header=BB12_900 Depth=4
	s_andn2_saveexec_b64 s[30:31], vcc
	s_cbranch_execz .LBB12_980
; %bb.979:                              ;   in Loop: Header=BB12_900 Depth=4
	buffer_load_dword v18, off, s[0:3], s33 offset:128 ; 4-byte Folded Reload
	buffer_load_dword v19, off, s[0:3], s33 offset:132 ; 4-byte Folded Reload
	v_or_b32_e32 v13, 0x10000, v14
	s_waitcnt vmcnt(0)
	v_cmp_eq_u32_sdwa vcc, v14, v18 src0_sel:WORD_0 src1_sel:DWORD
	v_cndmask_b32_e32 v13, v13, v14, vcc
.LBB12_980:                             ;   in Loop: Header=BB12_900 Depth=4
	s_or_b64 exec, exec, s[30:31]
	v_lshlrev_b32_e32 v11, 16, v11
	v_lshlrev_b32_e32 v12, 16, v12
	v_max_f32_e32 v12, v12, v12
	v_max_f32_e32 v11, v11, v11
	v_min_f32_e32 v14, v11, v12
	v_max_f32_e32 v11, v11, v12
	v_cndmask_b32_e64 v12, v11, v14, s[28:29]
	v_and_b32_e32 v11, 0x7f800000, v12
	v_cmp_ne_u32_e32 vcc, s56, v11
                                        ; implicit-def: $vgpr11
	s_and_saveexec_b64 s[30:31], vcc
	s_xor_b64 vcc, exec, s[30:31]
; %bb.981:                              ;   in Loop: Header=BB12_900 Depth=4
	v_bfe_u32 v11, v12, 16, 1
	v_add3_u32 v11, v12, v11, s57
                                        ; implicit-def: $vgpr12
; %bb.982:                              ;   in Loop: Header=BB12_900 Depth=4
	s_andn2_saveexec_b64 s[30:31], vcc
	s_cbranch_execz .LBB12_984
; %bb.983:                              ;   in Loop: Header=BB12_900 Depth=4
	buffer_load_dword v18, off, s[0:3], s33 offset:128 ; 4-byte Folded Reload
	buffer_load_dword v19, off, s[0:3], s33 offset:132 ; 4-byte Folded Reload
	v_or_b32_e32 v11, 0x10000, v12
	s_waitcnt vmcnt(0)
	v_cmp_eq_u32_sdwa vcc, v12, v18 src0_sel:WORD_0 src1_sel:DWORD
	v_cndmask_b32_e32 v11, v11, v12, vcc
.LBB12_984:                             ;   in Loop: Header=BB12_900 Depth=4
	s_or_b64 exec, exec, s[30:31]
	v_lshlrev_b32_e32 v8, 16, v8
	v_lshlrev_b32_e32 v6, 16, v6
	v_max_f32_e32 v6, v6, v6
	v_max_f32_e32 v8, v8, v8
	v_min_f32_e32 v12, v8, v6
	v_max_f32_e32 v6, v8, v6
	v_cndmask_b32_e64 v8, v6, v12, s[28:29]
	v_and_b32_e32 v6, 0x7f800000, v8
	v_cmp_ne_u32_e32 vcc, s56, v6
                                        ; implicit-def: $vgpr6
	s_and_saveexec_b64 s[30:31], vcc
	s_xor_b64 vcc, exec, s[30:31]
; %bb.985:                              ;   in Loop: Header=BB12_900 Depth=4
	v_bfe_u32 v6, v8, 16, 1
	v_add3_u32 v6, v8, v6, s57
                                        ; implicit-def: $vgpr8
; %bb.986:                              ;   in Loop: Header=BB12_900 Depth=4
	s_andn2_saveexec_b64 s[30:31], vcc
	s_cbranch_execz .LBB12_988
; %bb.987:                              ;   in Loop: Header=BB12_900 Depth=4
	buffer_load_dword v18, off, s[0:3], s33 offset:128 ; 4-byte Folded Reload
	buffer_load_dword v19, off, s[0:3], s33 offset:132 ; 4-byte Folded Reload
	v_or_b32_e32 v6, 0x10000, v8
	s_waitcnt vmcnt(0)
	v_cmp_eq_u32_sdwa vcc, v8, v18 src0_sel:WORD_0 src1_sel:DWORD
	v_cndmask_b32_e32 v6, v6, v8, vcc
.LBB12_988:                             ;   in Loop: Header=BB12_900 Depth=4
	s_or_b64 exec, exec, s[30:31]
	v_lshlrev_b32_e32 v8, 16, v60
	v_lshlrev_b32_e32 v12, 16, v61
	v_max_f32_e32 v12, v12, v12
	v_max_f32_e32 v8, v8, v8
	v_min_f32_e32 v14, v8, v12
	v_max_f32_e32 v8, v8, v12
	v_cndmask_b32_e64 v12, v8, v14, s[28:29]
	v_and_b32_e32 v8, 0x7f800000, v12
	v_cmp_ne_u32_e32 vcc, s56, v8
                                        ; implicit-def: $vgpr8
	s_and_saveexec_b64 s[30:31], vcc
	s_xor_b64 vcc, exec, s[30:31]
; %bb.989:                              ;   in Loop: Header=BB12_900 Depth=4
	v_bfe_u32 v8, v12, 16, 1
	v_add3_u32 v8, v12, v8, s57
                                        ; implicit-def: $vgpr12
; %bb.990:                              ;   in Loop: Header=BB12_900 Depth=4
	s_andn2_saveexec_b64 s[30:31], vcc
	s_cbranch_execz .LBB12_992
; %bb.991:                              ;   in Loop: Header=BB12_900 Depth=4
	buffer_load_dword v18, off, s[0:3], s33 offset:128 ; 4-byte Folded Reload
	buffer_load_dword v19, off, s[0:3], s33 offset:132 ; 4-byte Folded Reload
	v_or_b32_e32 v8, 0x10000, v12
	s_waitcnt vmcnt(0)
	v_cmp_eq_u32_sdwa vcc, v12, v18 src0_sel:WORD_0 src1_sel:DWORD
	v_cndmask_b32_e32 v8, v8, v12, vcc
.LBB12_992:                             ;   in Loop: Header=BB12_900 Depth=4
	s_or_b64 exec, exec, s[30:31]
	v_lshlrev_b32_e32 v12, 16, v57
	v_lshlrev_b32_e32 v14, 16, v58
	v_max_f32_e32 v14, v14, v14
	v_max_f32_e32 v12, v12, v12
	v_min_f32_e32 v16, v12, v14
	v_max_f32_e32 v12, v12, v14
	v_cndmask_b32_e64 v14, v12, v16, s[28:29]
	v_and_b32_e32 v12, 0x7f800000, v14
	v_cmp_ne_u32_e32 vcc, s56, v12
                                        ; implicit-def: $vgpr12
	s_and_saveexec_b64 s[30:31], vcc
	s_xor_b64 vcc, exec, s[30:31]
; %bb.993:                              ;   in Loop: Header=BB12_900 Depth=4
	v_bfe_u32 v12, v14, 16, 1
	v_add3_u32 v12, v14, v12, s57
                                        ; implicit-def: $vgpr14
; %bb.994:                              ;   in Loop: Header=BB12_900 Depth=4
	s_andn2_saveexec_b64 s[30:31], vcc
	s_cbranch_execz .LBB12_996
; %bb.995:                              ;   in Loop: Header=BB12_900 Depth=4
	buffer_load_dword v18, off, s[0:3], s33 offset:128 ; 4-byte Folded Reload
	buffer_load_dword v19, off, s[0:3], s33 offset:132 ; 4-byte Folded Reload
	v_or_b32_e32 v12, 0x10000, v14
	s_waitcnt vmcnt(0)
	v_cmp_eq_u32_sdwa vcc, v14, v18 src0_sel:WORD_0 src1_sel:DWORD
	v_cndmask_b32_e32 v12, v12, v14, vcc
.LBB12_996:                             ;   in Loop: Header=BB12_900 Depth=4
	s_or_b64 exec, exec, s[30:31]
	v_lshlrev_b32_e32 v14, 16, v46
	v_lshlrev_b32_e32 v16, 16, v47
	v_max_f32_e32 v16, v16, v16
	v_max_f32_e32 v14, v14, v14
	v_min_f32_e32 v18, v14, v16
	v_max_f32_e32 v14, v14, v16
	v_cndmask_b32_e64 v16, v14, v18, s[28:29]
	v_and_b32_e32 v14, 0x7f800000, v16
	v_cmp_ne_u32_e32 vcc, s56, v14
                                        ; implicit-def: $vgpr14
	s_and_saveexec_b64 s[30:31], vcc
	s_xor_b64 vcc, exec, s[30:31]
; %bb.997:                              ;   in Loop: Header=BB12_900 Depth=4
	v_bfe_u32 v14, v16, 16, 1
	v_add3_u32 v14, v16, v14, s57
                                        ; implicit-def: $vgpr16
; %bb.998:                              ;   in Loop: Header=BB12_900 Depth=4
	s_andn2_saveexec_b64 s[30:31], vcc
	s_cbranch_execz .LBB12_1000
; %bb.999:                              ;   in Loop: Header=BB12_900 Depth=4
	buffer_load_dword v18, off, s[0:3], s33 offset:128 ; 4-byte Folded Reload
	buffer_load_dword v19, off, s[0:3], s33 offset:132 ; 4-byte Folded Reload
	v_or_b32_e32 v14, 0x10000, v16
	s_waitcnt vmcnt(0)
	v_cmp_eq_u32_sdwa vcc, v16, v18 src0_sel:WORD_0 src1_sel:DWORD
	v_cndmask_b32_e32 v14, v14, v16, vcc
.LBB12_1000:                            ;   in Loop: Header=BB12_900 Depth=4
	s_or_b64 exec, exec, s[30:31]
	v_lshlrev_b32_e32 v16, 16, v43
	v_lshlrev_b32_e32 v18, 16, v45
	v_max_f32_e32 v18, v18, v18
	v_max_f32_e32 v16, v16, v16
	v_min_f32_e32 v19, v16, v18
	v_max_f32_e32 v16, v16, v18
	v_cndmask_b32_e64 v18, v16, v19, s[28:29]
	v_and_b32_e32 v16, 0x7f800000, v18
	v_cmp_ne_u32_e32 vcc, s56, v16
                                        ; implicit-def: $vgpr16
	s_and_saveexec_b64 s[30:31], vcc
	s_xor_b64 vcc, exec, s[30:31]
; %bb.1001:                             ;   in Loop: Header=BB12_900 Depth=4
	v_bfe_u32 v16, v18, 16, 1
	v_add3_u32 v16, v18, v16, s57
                                        ; implicit-def: $vgpr18
; %bb.1002:                             ;   in Loop: Header=BB12_900 Depth=4
	s_andn2_saveexec_b64 s[30:31], vcc
	s_cbranch_execz .LBB12_1004
; %bb.1003:                             ;   in Loop: Header=BB12_900 Depth=4
	buffer_load_dword v19, off, s[0:3], s33 offset:128 ; 4-byte Folded Reload
	buffer_load_dword v20, off, s[0:3], s33 offset:132 ; 4-byte Folded Reload
	v_or_b32_e32 v16, 0x10000, v18
	s_waitcnt vmcnt(0)
	v_cmp_eq_u32_sdwa vcc, v18, v19 src0_sel:WORD_0 src1_sel:DWORD
	v_cndmask_b32_e32 v16, v16, v18, vcc
.LBB12_1004:                            ;   in Loop: Header=BB12_900 Depth=4
	s_or_b64 exec, exec, s[30:31]
	v_lshlrev_b32_e32 v18, 16, v40
	v_lshlrev_b32_e32 v19, 16, v42
	v_max_f32_e32 v19, v19, v19
	v_max_f32_e32 v18, v18, v18
	v_min_f32_e32 v20, v18, v19
	v_max_f32_e32 v18, v18, v19
	v_cndmask_b32_e64 v19, v18, v20, s[28:29]
	v_and_b32_e32 v18, 0x7f800000, v19
	v_cmp_ne_u32_e32 vcc, s56, v18
                                        ; implicit-def: $vgpr18
	s_and_saveexec_b64 s[30:31], vcc
	s_xor_b64 vcc, exec, s[30:31]
; %bb.1005:                             ;   in Loop: Header=BB12_900 Depth=4
	v_bfe_u32 v18, v19, 16, 1
	v_add3_u32 v18, v19, v18, s57
                                        ; implicit-def: $vgpr19
; %bb.1006:                             ;   in Loop: Header=BB12_900 Depth=4
	s_andn2_saveexec_b64 s[30:31], vcc
	s_cbranch_execz .LBB12_1008
; %bb.1007:                             ;   in Loop: Header=BB12_900 Depth=4
	buffer_load_dword v20, off, s[0:3], s33 offset:128 ; 4-byte Folded Reload
	buffer_load_dword v21, off, s[0:3], s33 offset:132 ; 4-byte Folded Reload
	v_or_b32_e32 v18, 0x10000, v19
	s_waitcnt vmcnt(0)
	v_cmp_eq_u32_sdwa vcc, v19, v20 src0_sel:WORD_0 src1_sel:DWORD
	v_cndmask_b32_e32 v18, v18, v19, vcc
.LBB12_1008:                            ;   in Loop: Header=BB12_900 Depth=4
	s_or_b64 exec, exec, s[30:31]
	v_lshlrev_b32_e32 v19, 16, v53
	v_lshlrev_b32_e32 v20, 16, v55
	v_max_f32_e32 v20, v20, v20
	v_max_f32_e32 v19, v19, v19
	v_min_f32_e32 v53, v19, v20
	v_max_f32_e32 v19, v19, v20
	v_cndmask_b32_e64 v19, v19, v53, s[28:29]
	v_and_b32_e32 v20, 0x7f800000, v19
	v_cmp_ne_u32_e32 vcc, s56, v20
                                        ; implicit-def: $vgpr53
	s_and_saveexec_b64 s[30:31], vcc
	s_xor_b64 vcc, exec, s[30:31]
; %bb.1009:                             ;   in Loop: Header=BB12_900 Depth=4
	v_bfe_u32 v20, v19, 16, 1
	v_add3_u32 v53, v19, v20, s57
                                        ; implicit-def: $vgpr19
; %bb.1010:                             ;   in Loop: Header=BB12_900 Depth=4
	s_andn2_saveexec_b64 s[30:31], vcc
	s_cbranch_execz .LBB12_1012
; %bb.1011:                             ;   in Loop: Header=BB12_900 Depth=4
	buffer_load_dword v21, off, s[0:3], s33 offset:128 ; 4-byte Folded Reload
	buffer_load_dword v22, off, s[0:3], s33 offset:132 ; 4-byte Folded Reload
	v_or_b32_e32 v20, 0x10000, v19
	s_waitcnt vmcnt(0)
	v_cmp_eq_u32_sdwa vcc, v19, v21 src0_sel:WORD_0 src1_sel:DWORD
	v_cndmask_b32_e32 v53, v20, v19, vcc
.LBB12_1012:                            ;   in Loop: Header=BB12_900 Depth=4
	s_or_b64 exec, exec, s[30:31]
	v_lshlrev_b32_e32 v19, 16, v50
	v_lshlrev_b32_e32 v20, 16, v52
	v_max_f32_e32 v20, v20, v20
	v_max_f32_e32 v19, v19, v19
	v_min_f32_e32 v50, v19, v20
	v_max_f32_e32 v19, v19, v20
	v_cndmask_b32_e64 v19, v19, v50, s[28:29]
	v_and_b32_e32 v20, 0x7f800000, v19
	v_cmp_ne_u32_e32 vcc, s56, v20
                                        ; implicit-def: $vgpr50
	s_and_saveexec_b64 s[30:31], vcc
	s_xor_b64 vcc, exec, s[30:31]
; %bb.1013:                             ;   in Loop: Header=BB12_900 Depth=4
	v_bfe_u32 v20, v19, 16, 1
	v_add3_u32 v50, v19, v20, s57
                                        ; implicit-def: $vgpr19
; %bb.1014:                             ;   in Loop: Header=BB12_900 Depth=4
	s_andn2_saveexec_b64 s[30:31], vcc
	s_cbranch_execz .LBB12_1016
; %bb.1015:                             ;   in Loop: Header=BB12_900 Depth=4
	buffer_load_dword v21, off, s[0:3], s33 offset:128 ; 4-byte Folded Reload
	buffer_load_dword v22, off, s[0:3], s33 offset:132 ; 4-byte Folded Reload
	v_or_b32_e32 v20, 0x10000, v19
	s_waitcnt vmcnt(0)
	v_cmp_eq_u32_sdwa vcc, v19, v21 src0_sel:WORD_0 src1_sel:DWORD
	v_cndmask_b32_e32 v50, v20, v19, vcc
.LBB12_1016:                            ;   in Loop: Header=BB12_900 Depth=4
	s_or_b64 exec, exec, s[30:31]
	v_lshlrev_b32_e32 v19, 16, v39
	v_lshlrev_b32_e32 v20, 16, v49
	v_max_f32_e32 v20, v20, v20
	v_max_f32_e32 v19, v19, v19
	v_min_f32_e32 v39, v19, v20
	v_max_f32_e32 v19, v19, v20
	v_cndmask_b32_e64 v19, v19, v39, s[28:29]
	v_and_b32_e32 v20, 0x7f800000, v19
	v_cmp_ne_u32_e32 vcc, s56, v20
                                        ; implicit-def: $vgpr39
	s_and_saveexec_b64 s[30:31], vcc
	s_xor_b64 vcc, exec, s[30:31]
; %bb.1017:                             ;   in Loop: Header=BB12_900 Depth=4
	v_bfe_u32 v20, v19, 16, 1
	v_add3_u32 v39, v19, v20, s57
                                        ; implicit-def: $vgpr19
; %bb.1018:                             ;   in Loop: Header=BB12_900 Depth=4
	s_andn2_saveexec_b64 s[30:31], vcc
	s_cbranch_execz .LBB12_1020
; %bb.1019:                             ;   in Loop: Header=BB12_900 Depth=4
	buffer_load_dword v21, off, s[0:3], s33 offset:128 ; 4-byte Folded Reload
	buffer_load_dword v22, off, s[0:3], s33 offset:132 ; 4-byte Folded Reload
	v_or_b32_e32 v20, 0x10000, v19
	s_waitcnt vmcnt(0)
	v_cmp_eq_u32_sdwa vcc, v19, v21 src0_sel:WORD_0 src1_sel:DWORD
	v_cndmask_b32_e32 v39, v20, v19, vcc
.LBB12_1020:                            ;   in Loop: Header=BB12_900 Depth=4
	s_or_b64 exec, exec, s[30:31]
	v_lshlrev_b32_e32 v19, 16, v37
	v_lshlrev_b32_e32 v20, 16, v38
	v_max_f32_e32 v20, v20, v20
	v_max_f32_e32 v19, v19, v19
	v_min_f32_e32 v37, v19, v20
	v_max_f32_e32 v19, v19, v20
	v_cndmask_b32_e64 v19, v19, v37, s[28:29]
	v_and_b32_e32 v20, 0x7f800000, v19
	v_cmp_ne_u32_e32 vcc, s56, v20
                                        ; implicit-def: $vgpr37
	s_and_saveexec_b64 s[30:31], vcc
	s_xor_b64 vcc, exec, s[30:31]
; %bb.1021:                             ;   in Loop: Header=BB12_900 Depth=4
	v_bfe_u32 v20, v19, 16, 1
	v_add3_u32 v37, v19, v20, s57
                                        ; implicit-def: $vgpr19
; %bb.1022:                             ;   in Loop: Header=BB12_900 Depth=4
	s_andn2_saveexec_b64 s[30:31], vcc
	s_cbranch_execz .LBB12_1024
; %bb.1023:                             ;   in Loop: Header=BB12_900 Depth=4
	buffer_load_dword v21, off, s[0:3], s33 offset:128 ; 4-byte Folded Reload
	buffer_load_dword v22, off, s[0:3], s33 offset:132 ; 4-byte Folded Reload
	v_or_b32_e32 v20, 0x10000, v19
	s_waitcnt vmcnt(0)
	v_cmp_eq_u32_sdwa vcc, v19, v21 src0_sel:WORD_0 src1_sel:DWORD
	v_cndmask_b32_e32 v37, v20, v19, vcc
.LBB12_1024:                            ;   in Loop: Header=BB12_900 Depth=4
	s_or_b64 exec, exec, s[30:31]
	v_lshlrev_b32_e32 v19, 16, v34
	v_lshlrev_b32_e32 v20, 16, v35
	v_max_f32_e32 v20, v20, v20
	v_max_f32_e32 v19, v19, v19
	v_min_f32_e32 v34, v19, v20
	v_max_f32_e32 v19, v19, v20
	v_cndmask_b32_e64 v19, v19, v34, s[28:29]
	v_and_b32_e32 v20, 0x7f800000, v19
	v_cmp_ne_u32_e32 vcc, s56, v20
                                        ; implicit-def: $vgpr34
	s_and_saveexec_b64 s[30:31], vcc
	s_xor_b64 vcc, exec, s[30:31]
; %bb.1025:                             ;   in Loop: Header=BB12_900 Depth=4
	v_bfe_u32 v20, v19, 16, 1
	v_add3_u32 v34, v19, v20, s57
                                        ; implicit-def: $vgpr19
; %bb.1026:                             ;   in Loop: Header=BB12_900 Depth=4
	s_andn2_saveexec_b64 s[30:31], vcc
	s_cbranch_execz .LBB12_1028
; %bb.1027:                             ;   in Loop: Header=BB12_900 Depth=4
	buffer_load_dword v21, off, s[0:3], s33 offset:128 ; 4-byte Folded Reload
	buffer_load_dword v22, off, s[0:3], s33 offset:132 ; 4-byte Folded Reload
	v_or_b32_e32 v20, 0x10000, v19
	s_waitcnt vmcnt(0)
	v_cmp_eq_u32_sdwa vcc, v19, v21 src0_sel:WORD_0 src1_sel:DWORD
	v_cndmask_b32_e32 v34, v20, v19, vcc
.LBB12_1028:                            ;   in Loop: Header=BB12_900 Depth=4
	s_or_b64 exec, exec, s[30:31]
	v_lshlrev_b32_e32 v19, 16, v31
	v_lshlrev_b32_e32 v20, 16, v32
	v_max_f32_e32 v20, v20, v20
	v_max_f32_e32 v19, v19, v19
	v_min_f32_e32 v31, v19, v20
	v_max_f32_e32 v19, v19, v20
	v_cndmask_b32_e64 v19, v19, v31, s[28:29]
	v_and_b32_e32 v20, 0x7f800000, v19
	v_cmp_ne_u32_e32 vcc, s56, v20
                                        ; implicit-def: $vgpr31
	s_and_saveexec_b64 s[30:31], vcc
	s_xor_b64 vcc, exec, s[30:31]
; %bb.1029:                             ;   in Loop: Header=BB12_900 Depth=4
	v_bfe_u32 v20, v19, 16, 1
	v_add3_u32 v31, v19, v20, s57
                                        ; implicit-def: $vgpr19
; %bb.1030:                             ;   in Loop: Header=BB12_900 Depth=4
	s_andn2_saveexec_b64 s[30:31], vcc
	s_cbranch_execz .LBB12_899
; %bb.1031:                             ;   in Loop: Header=BB12_900 Depth=4
	buffer_load_dword v21, off, s[0:3], s33 offset:128 ; 4-byte Folded Reload
	buffer_load_dword v22, off, s[0:3], s33 offset:132 ; 4-byte Folded Reload
	v_or_b32_e32 v20, 0x10000, v19
	s_waitcnt vmcnt(0)
	v_cmp_eq_u32_sdwa vcc, v19, v21 src0_sel:WORD_0 src1_sel:DWORD
	v_cndmask_b32_e32 v31, v20, v19, vcc
	s_branch .LBB12_899
.LBB12_1032:                            ;   in Loop: Header=BB12_303 Depth=3
	s_or_b64 exec, exec, s[92:93]
	buffer_load_dword v2, off, s[0:3], s33 offset:168 ; 4-byte Folded Reload
	v_lshlrev_b32_e32 v52, 16, v44
	v_lshlrev_b32_e32 v49, 16, v41
	;; [unrolled: 1-line block ×18, first 2 shown]
	s_and_b64 s[28:29], s[90:91], exec
	s_waitcnt vmcnt(0)
	v_lshlrev_b32_e32 v43, 16, v2
	buffer_load_dword v2, off, s[0:3], s33 offset:184 ; 4-byte Folded Reload
	s_waitcnt vmcnt(0)
	v_lshlrev_b32_e32 v42, 16, v2
	buffer_load_dword v2, off, s[0:3], s33 offset:200 ; 4-byte Folded Reload
	s_waitcnt vmcnt(0)
	v_lshlrev_b32_e32 v40, 16, v2
	buffer_load_dword v2, off, s[0:3], s33 offset:216 ; 4-byte Folded Reload
	s_waitcnt vmcnt(0)
	v_lshlrev_b32_e32 v55, 16, v2
	buffer_load_dword v2, off, s[0:3], s33 offset:240 ; 4-byte Folded Reload
	s_waitcnt vmcnt(0)
	v_lshlrev_b32_e32 v53, 16, v2
	buffer_load_dword v2, off, s[0:3], s33 offset:284 ; 4-byte Folded Reload
	s_waitcnt vmcnt(0)
	v_lshlrev_b32_e32 v50, 16, v2
	buffer_load_dword v2, off, s[0:3], s33 offset:292 ; 4-byte Folded Reload
	s_waitcnt vmcnt(0)
	v_lshlrev_b32_e32 v39, 16, v2
	buffer_load_dword v2, off, s[0:3], s33 offset:300 ; 4-byte Folded Reload
	s_waitcnt vmcnt(0)
	v_lshlrev_b32_e32 v37, 16, v2
	buffer_load_dword v2, off, s[0:3], s33 offset:308 ; 4-byte Folded Reload
	s_waitcnt vmcnt(0)
	v_lshlrev_b32_e32 v34, 16, v2
	buffer_load_dword v2, off, s[0:3], s33 offset:352 ; 4-byte Folded Reload
	s_waitcnt vmcnt(0)
	v_lshlrev_b32_e32 v19, 16, v2
	buffer_load_dword v2, off, s[0:3], s33 offset:360 ; 4-byte Folded Reload
	s_waitcnt vmcnt(0)
	v_lshlrev_b32_e32 v17, 16, v2
	buffer_load_dword v2, off, s[0:3], s33 offset:368 ; 4-byte Folded Reload
	s_waitcnt vmcnt(0)
	v_lshlrev_b32_e32 v14, 16, v2
	buffer_load_dword v2, off, s[0:3], s33 offset:376 ; 4-byte Folded Reload
	buffer_load_dword v41, off, s[0:3], s33 offset:524 ; 4-byte Folded Reload
	buffer_load_dword v44, off, s[0:3], s33 offset:528 ; 4-byte Folded Reload
	buffer_load_dword v46, off, s[0:3], s33 offset:532 ; 4-byte Folded Reload
	buffer_load_dword v48, off, s[0:3], s33 offset:536 ; 4-byte Folded Reload
	buffer_load_dword v20, off, s[0:3], s33 offset:492 ; 4-byte Folded Reload
	buffer_load_dword v21, off, s[0:3], s33 offset:496 ; 4-byte Folded Reload
	s_waitcnt vmcnt(0)
	v_mov_b32_e32 v51, v20
	buffer_load_dword v20, off, s[0:3], s33 offset:500 ; 4-byte Folded Reload
	buffer_load_dword v21, off, s[0:3], s33 offset:504 ; 4-byte Folded Reload
	;; [unrolled: 1-line block ×8, first 2 shown]
	v_lshlrev_b32_e32 v11, 16, v2
	v_lshlrev_b32_e32 v2, 16, v26
	s_waitcnt vmcnt(0)
	v_mov_b32_e32 v54, v20
.LBB12_1033:                            ;   in Loop: Header=BB12_303 Depth=3
	s_or_b64 exec, exec, s[40:41]
	s_and_saveexec_b64 s[40:41], s[28:29]
	s_cbranch_execz .LBB12_1099
; %bb.1034:                             ;   in Loop: Header=BB12_303 Depth=3
	s_and_b32 s28, s9, 0xff
	s_cmp_eq_u32 s28, 0
	v_max_f32_e32 v20, v43, v43
	v_max_f32_e32 v8, v8, v8
	v_min_f32_e32 v21, v8, v20
	v_max_f32_e32 v8, v8, v20
	s_cselect_b64 vcc, -1, 0
	v_cndmask_b32_e32 v20, v8, v21, vcc
	v_and_b32_e32 v8, 0x7f800000, v20
	v_cmp_ne_u32_e64 s[28:29], s56, v8
                                        ; implicit-def: $vgpr8
	s_and_saveexec_b64 s[90:91], s[28:29]
	s_xor_b64 s[28:29], exec, s[90:91]
; %bb.1035:                             ;   in Loop: Header=BB12_303 Depth=3
	v_bfe_u32 v8, v20, 16, 1
	v_add3_u32 v8, v20, v8, s57
                                        ; implicit-def: $vgpr20
; %bb.1036:                             ;   in Loop: Header=BB12_303 Depth=3
	s_andn2_saveexec_b64 s[90:91], s[28:29]
	s_cbranch_execz .LBB12_1038
; %bb.1037:                             ;   in Loop: Header=BB12_303 Depth=3
	buffer_load_dword v21, off, s[0:3], s33 offset:128 ; 4-byte Folded Reload
	buffer_load_dword v22, off, s[0:3], s33 offset:132 ; 4-byte Folded Reload
	v_or_b32_e32 v8, 0x10000, v20
	s_waitcnt vmcnt(0)
	v_cmp_eq_u32_sdwa s[28:29], v20, v21 src0_sel:WORD_0 src1_sel:DWORD
	v_cndmask_b32_e64 v8, v8, v20, s[28:29]
.LBB12_1038:                            ;   in Loop: Header=BB12_303 Depth=3
	s_or_b64 exec, exec, s[90:91]
	v_max_f32_e32 v20, v42, v42
	v_max_f32_e32 v12, v12, v12
	v_min_f32_e32 v21, v12, v20
	v_max_f32_e32 v12, v12, v20
	v_cndmask_b32_e32 v20, v12, v21, vcc
	v_and_b32_e32 v12, 0x7f800000, v20
	v_cmp_ne_u32_e64 s[28:29], s56, v12
                                        ; implicit-def: $vgpr12
	s_and_saveexec_b64 s[90:91], s[28:29]
	s_xor_b64 s[28:29], exec, s[90:91]
; %bb.1039:                             ;   in Loop: Header=BB12_303 Depth=3
	v_bfe_u32 v12, v20, 16, 1
	v_add3_u32 v12, v20, v12, s57
                                        ; implicit-def: $vgpr20
; %bb.1040:                             ;   in Loop: Header=BB12_303 Depth=3
	s_andn2_saveexec_b64 s[90:91], s[28:29]
	s_cbranch_execz .LBB12_1042
; %bb.1041:                             ;   in Loop: Header=BB12_303 Depth=3
	buffer_load_dword v21, off, s[0:3], s33 offset:128 ; 4-byte Folded Reload
	buffer_load_dword v22, off, s[0:3], s33 offset:132 ; 4-byte Folded Reload
	v_or_b32_e32 v12, 0x10000, v20
	s_waitcnt vmcnt(0)
	v_cmp_eq_u32_sdwa s[28:29], v20, v21 src0_sel:WORD_0 src1_sel:DWORD
	v_cndmask_b32_e64 v12, v12, v20, s[28:29]
.LBB12_1042:                            ;   in Loop: Header=BB12_303 Depth=3
	s_or_b64 exec, exec, s[90:91]
	v_max_f32_e32 v20, v40, v40
	v_max_f32_e32 v15, v15, v15
	v_min_f32_e32 v21, v15, v20
	v_max_f32_e32 v15, v15, v20
	v_cndmask_b32_e32 v20, v15, v21, vcc
	v_and_b32_e32 v15, 0x7f800000, v20
	v_cmp_ne_u32_e64 s[28:29], s56, v15
                                        ; implicit-def: $vgpr15
	s_and_saveexec_b64 s[90:91], s[28:29]
	s_xor_b64 s[28:29], exec, s[90:91]
; %bb.1043:                             ;   in Loop: Header=BB12_303 Depth=3
	v_bfe_u32 v15, v20, 16, 1
	v_add3_u32 v15, v20, v15, s57
                                        ; implicit-def: $vgpr20
; %bb.1044:                             ;   in Loop: Header=BB12_303 Depth=3
	s_andn2_saveexec_b64 s[90:91], s[28:29]
	s_cbranch_execz .LBB12_1046
; %bb.1045:                             ;   in Loop: Header=BB12_303 Depth=3
	buffer_load_dword v21, off, s[0:3], s33 offset:128 ; 4-byte Folded Reload
	buffer_load_dword v22, off, s[0:3], s33 offset:132 ; 4-byte Folded Reload
	v_or_b32_e32 v15, 0x10000, v20
	s_waitcnt vmcnt(0)
	v_cmp_eq_u32_sdwa s[28:29], v20, v21 src0_sel:WORD_0 src1_sel:DWORD
	v_cndmask_b32_e64 v15, v15, v20, s[28:29]
.LBB12_1046:                            ;   in Loop: Header=BB12_303 Depth=3
	s_or_b64 exec, exec, s[90:91]
	v_max_f32_e32 v20, v55, v55
	v_max_f32_e32 v18, v18, v18
	v_min_f32_e32 v21, v18, v20
	v_max_f32_e32 v18, v18, v20
	v_cndmask_b32_e32 v20, v18, v21, vcc
	v_and_b32_e32 v18, 0x7f800000, v20
	v_cmp_ne_u32_e64 s[28:29], s56, v18
                                        ; implicit-def: $vgpr18
	s_and_saveexec_b64 s[90:91], s[28:29]
	s_xor_b64 s[28:29], exec, s[90:91]
; %bb.1047:                             ;   in Loop: Header=BB12_303 Depth=3
	v_bfe_u32 v18, v20, 16, 1
	v_add3_u32 v18, v20, v18, s57
                                        ; implicit-def: $vgpr20
; %bb.1048:                             ;   in Loop: Header=BB12_303 Depth=3
	s_andn2_saveexec_b64 s[90:91], s[28:29]
	s_cbranch_execz .LBB12_1050
; %bb.1049:                             ;   in Loop: Header=BB12_303 Depth=3
	buffer_load_dword v21, off, s[0:3], s33 offset:128 ; 4-byte Folded Reload
	buffer_load_dword v22, off, s[0:3], s33 offset:132 ; 4-byte Folded Reload
	v_or_b32_e32 v18, 0x10000, v20
	s_waitcnt vmcnt(0)
	v_cmp_eq_u32_sdwa s[28:29], v20, v21 src0_sel:WORD_0 src1_sel:DWORD
	v_cndmask_b32_e64 v18, v18, v20, s[28:29]
.LBB12_1050:                            ;   in Loop: Header=BB12_303 Depth=3
	s_or_b64 exec, exec, s[90:91]
	v_max_f32_e32 v20, v53, v53
	v_max_f32_e32 v21, v52, v52
	v_min_f32_e32 v22, v21, v20
	v_max_f32_e32 v20, v21, v20
	v_cndmask_b32_e32 v21, v20, v22, vcc
	v_and_b32_e32 v20, 0x7f800000, v21
	v_cmp_ne_u32_e64 s[28:29], s56, v20
                                        ; implicit-def: $vgpr20
	s_and_saveexec_b64 s[90:91], s[28:29]
	s_xor_b64 s[28:29], exec, s[90:91]
; %bb.1051:                             ;   in Loop: Header=BB12_303 Depth=3
	v_bfe_u32 v20, v21, 16, 1
	v_add3_u32 v20, v21, v20, s57
                                        ; implicit-def: $vgpr21
; %bb.1052:                             ;   in Loop: Header=BB12_303 Depth=3
	s_andn2_saveexec_b64 s[90:91], s[28:29]
	s_cbranch_execz .LBB12_1054
; %bb.1053:                             ;   in Loop: Header=BB12_303 Depth=3
	buffer_load_dword v22, off, s[0:3], s33 offset:128 ; 4-byte Folded Reload
	buffer_load_dword v23, off, s[0:3], s33 offset:132 ; 4-byte Folded Reload
	v_or_b32_e32 v20, 0x10000, v21
	s_waitcnt vmcnt(0)
	v_cmp_eq_u32_sdwa s[28:29], v21, v22 src0_sel:WORD_0 src1_sel:DWORD
	v_cndmask_b32_e64 v20, v20, v21, s[28:29]
.LBB12_1054:                            ;   in Loop: Header=BB12_303 Depth=3
	s_or_b64 exec, exec, s[90:91]
	v_max_f32_e32 v21, v50, v50
	v_max_f32_e32 v22, v49, v49
	v_min_f32_e32 v23, v22, v21
	v_max_f32_e32 v21, v22, v21
	v_cndmask_b32_e32 v22, v21, v23, vcc
	v_and_b32_e32 v21, 0x7f800000, v22
	v_cmp_ne_u32_e64 s[28:29], s56, v21
                                        ; implicit-def: $vgpr21
	s_and_saveexec_b64 s[90:91], s[28:29]
	s_xor_b64 s[28:29], exec, s[90:91]
; %bb.1055:                             ;   in Loop: Header=BB12_303 Depth=3
	v_bfe_u32 v21, v22, 16, 1
	v_add3_u32 v21, v22, v21, s57
                                        ; implicit-def: $vgpr22
; %bb.1056:                             ;   in Loop: Header=BB12_303 Depth=3
	s_andn2_saveexec_b64 s[90:91], s[28:29]
	s_cbranch_execz .LBB12_1058
; %bb.1057:                             ;   in Loop: Header=BB12_303 Depth=3
	buffer_load_dword v23, off, s[0:3], s33 offset:128 ; 4-byte Folded Reload
	buffer_load_dword v24, off, s[0:3], s33 offset:132 ; 4-byte Folded Reload
	v_or_b32_e32 v21, 0x10000, v22
	s_waitcnt vmcnt(0)
	v_cmp_eq_u32_sdwa s[28:29], v22, v23 src0_sel:WORD_0 src1_sel:DWORD
	v_cndmask_b32_e64 v21, v21, v22, s[28:29]
.LBB12_1058:                            ;   in Loop: Header=BB12_303 Depth=3
	s_or_b64 exec, exec, s[90:91]
	v_max_f32_e32 v22, v39, v39
	v_max_f32_e32 v23, v38, v38
	v_min_f32_e32 v24, v23, v22
	v_max_f32_e32 v22, v23, v22
	v_cndmask_b32_e32 v23, v22, v24, vcc
	v_and_b32_e32 v22, 0x7f800000, v23
	v_cmp_ne_u32_e64 s[28:29], s56, v22
                                        ; implicit-def: $vgpr22
	s_and_saveexec_b64 s[90:91], s[28:29]
	s_xor_b64 s[28:29], exec, s[90:91]
; %bb.1059:                             ;   in Loop: Header=BB12_303 Depth=3
	v_bfe_u32 v22, v23, 16, 1
	v_add3_u32 v22, v23, v22, s57
                                        ; implicit-def: $vgpr23
; %bb.1060:                             ;   in Loop: Header=BB12_303 Depth=3
	s_andn2_saveexec_b64 s[90:91], s[28:29]
	s_cbranch_execz .LBB12_1062
; %bb.1061:                             ;   in Loop: Header=BB12_303 Depth=3
	buffer_load_dword v24, off, s[0:3], s33 offset:128 ; 4-byte Folded Reload
	buffer_load_dword v25, off, s[0:3], s33 offset:132 ; 4-byte Folded Reload
	v_or_b32_e32 v22, 0x10000, v23
	s_waitcnt vmcnt(0)
	v_cmp_eq_u32_sdwa s[28:29], v23, v24 src0_sel:WORD_0 src1_sel:DWORD
	v_cndmask_b32_e64 v22, v22, v23, s[28:29]
.LBB12_1062:                            ;   in Loop: Header=BB12_303 Depth=3
	s_or_b64 exec, exec, s[90:91]
	v_max_f32_e32 v23, v37, v37
	v_max_f32_e32 v24, v35, v35
	v_min_f32_e32 v25, v24, v23
	v_max_f32_e32 v23, v24, v23
	v_cndmask_b32_e32 v24, v23, v25, vcc
	v_and_b32_e32 v23, 0x7f800000, v24
	v_cmp_ne_u32_e64 s[28:29], s56, v23
                                        ; implicit-def: $vgpr23
	s_and_saveexec_b64 s[90:91], s[28:29]
	s_xor_b64 s[28:29], exec, s[90:91]
; %bb.1063:                             ;   in Loop: Header=BB12_303 Depth=3
	v_bfe_u32 v23, v24, 16, 1
	v_add3_u32 v23, v24, v23, s57
                                        ; implicit-def: $vgpr24
; %bb.1064:                             ;   in Loop: Header=BB12_303 Depth=3
	s_andn2_saveexec_b64 s[90:91], s[28:29]
	s_cbranch_execz .LBB12_1066
; %bb.1065:                             ;   in Loop: Header=BB12_303 Depth=3
	buffer_load_dword v25, off, s[0:3], s33 offset:128 ; 4-byte Folded Reload
	buffer_load_dword v26, off, s[0:3], s33 offset:132 ; 4-byte Folded Reload
	v_or_b32_e32 v23, 0x10000, v24
	s_waitcnt vmcnt(0)
	v_cmp_eq_u32_sdwa s[28:29], v24, v25 src0_sel:WORD_0 src1_sel:DWORD
	v_cndmask_b32_e64 v23, v23, v24, s[28:29]
.LBB12_1066:                            ;   in Loop: Header=BB12_303 Depth=3
	s_or_b64 exec, exec, s[90:91]
	v_max_f32_e32 v24, v34, v34
	v_max_f32_e32 v25, v32, v32
	v_min_f32_e32 v26, v25, v24
	v_max_f32_e32 v24, v25, v24
	v_cndmask_b32_e32 v25, v24, v26, vcc
	v_and_b32_e32 v24, 0x7f800000, v25
	v_cmp_ne_u32_e64 s[28:29], s56, v24
                                        ; implicit-def: $vgpr24
	s_and_saveexec_b64 s[90:91], s[28:29]
	s_xor_b64 s[28:29], exec, s[90:91]
; %bb.1067:                             ;   in Loop: Header=BB12_303 Depth=3
	v_bfe_u32 v24, v25, 16, 1
	v_add3_u32 v24, v25, v24, s57
                                        ; implicit-def: $vgpr25
; %bb.1068:                             ;   in Loop: Header=BB12_303 Depth=3
	s_andn2_saveexec_b64 s[90:91], s[28:29]
	s_cbranch_execz .LBB12_1070
; %bb.1069:                             ;   in Loop: Header=BB12_303 Depth=3
	buffer_load_dword v26, off, s[0:3], s33 offset:128 ; 4-byte Folded Reload
	buffer_load_dword v27, off, s[0:3], s33 offset:132 ; 4-byte Folded Reload
	v_or_b32_e32 v24, 0x10000, v25
	s_waitcnt vmcnt(0)
	v_cmp_eq_u32_sdwa s[28:29], v25, v26 src0_sel:WORD_0 src1_sel:DWORD
	v_cndmask_b32_e64 v24, v24, v25, s[28:29]
.LBB12_1070:                            ;   in Loop: Header=BB12_303 Depth=3
	s_or_b64 exec, exec, s[90:91]
	v_max_f32_e32 v19, v19, v19
	v_max_f32_e32 v25, v31, v31
	v_min_f32_e32 v26, v25, v19
	v_max_f32_e32 v19, v25, v19
	v_cndmask_b32_e32 v25, v19, v26, vcc
	v_and_b32_e32 v19, 0x7f800000, v25
	v_cmp_ne_u32_e64 s[28:29], s56, v19
                                        ; implicit-def: $vgpr19
	s_and_saveexec_b64 s[90:91], s[28:29]
	s_xor_b64 s[28:29], exec, s[90:91]
; %bb.1071:                             ;   in Loop: Header=BB12_303 Depth=3
	v_bfe_u32 v19, v25, 16, 1
	v_add3_u32 v19, v25, v19, s57
                                        ; implicit-def: $vgpr25
; %bb.1072:                             ;   in Loop: Header=BB12_303 Depth=3
	s_andn2_saveexec_b64 s[90:91], s[28:29]
	s_cbranch_execz .LBB12_1074
; %bb.1073:                             ;   in Loop: Header=BB12_303 Depth=3
	buffer_load_dword v26, off, s[0:3], s33 offset:128 ; 4-byte Folded Reload
	buffer_load_dword v27, off, s[0:3], s33 offset:132 ; 4-byte Folded Reload
	v_or_b32_e32 v19, 0x10000, v25
	s_waitcnt vmcnt(0)
	v_cmp_eq_u32_sdwa s[28:29], v25, v26 src0_sel:WORD_0 src1_sel:DWORD
	v_cndmask_b32_e64 v19, v19, v25, s[28:29]
.LBB12_1074:                            ;   in Loop: Header=BB12_303 Depth=3
	s_or_b64 exec, exec, s[90:91]
	v_max_f32_e32 v17, v17, v17
	v_max_f32_e32 v16, v16, v16
	v_min_f32_e32 v25, v16, v17
	v_max_f32_e32 v16, v16, v17
	v_cndmask_b32_e32 v17, v16, v25, vcc
	v_and_b32_e32 v16, 0x7f800000, v17
	v_cmp_ne_u32_e64 s[28:29], s56, v16
                                        ; implicit-def: $vgpr16
	s_and_saveexec_b64 s[90:91], s[28:29]
	s_xor_b64 s[28:29], exec, s[90:91]
; %bb.1075:                             ;   in Loop: Header=BB12_303 Depth=3
	v_bfe_u32 v16, v17, 16, 1
	v_add3_u32 v16, v17, v16, s57
                                        ; implicit-def: $vgpr17
; %bb.1076:                             ;   in Loop: Header=BB12_303 Depth=3
	s_andn2_saveexec_b64 s[90:91], s[28:29]
	s_cbranch_execz .LBB12_1078
; %bb.1077:                             ;   in Loop: Header=BB12_303 Depth=3
	buffer_load_dword v25, off, s[0:3], s33 offset:128 ; 4-byte Folded Reload
	buffer_load_dword v26, off, s[0:3], s33 offset:132 ; 4-byte Folded Reload
	v_or_b32_e32 v16, 0x10000, v17
	s_waitcnt vmcnt(0)
	v_cmp_eq_u32_sdwa s[28:29], v17, v25 src0_sel:WORD_0 src1_sel:DWORD
	v_cndmask_b32_e64 v16, v16, v17, s[28:29]
.LBB12_1078:                            ;   in Loop: Header=BB12_303 Depth=3
	s_or_b64 exec, exec, s[90:91]
	v_max_f32_e32 v14, v14, v14
	v_max_f32_e32 v13, v13, v13
	v_min_f32_e32 v17, v13, v14
	v_max_f32_e32 v13, v13, v14
	v_cndmask_b32_e32 v14, v13, v17, vcc
	v_and_b32_e32 v13, 0x7f800000, v14
	v_cmp_ne_u32_e64 s[28:29], s56, v13
                                        ; implicit-def: $vgpr13
	s_and_saveexec_b64 s[90:91], s[28:29]
	s_xor_b64 s[28:29], exec, s[90:91]
; %bb.1079:                             ;   in Loop: Header=BB12_303 Depth=3
	v_bfe_u32 v13, v14, 16, 1
	v_add3_u32 v13, v14, v13, s57
                                        ; implicit-def: $vgpr14
; %bb.1080:                             ;   in Loop: Header=BB12_303 Depth=3
	s_andn2_saveexec_b64 s[90:91], s[28:29]
	s_cbranch_execz .LBB12_1082
; %bb.1081:                             ;   in Loop: Header=BB12_303 Depth=3
	buffer_load_dword v25, off, s[0:3], s33 offset:128 ; 4-byte Folded Reload
	buffer_load_dword v26, off, s[0:3], s33 offset:132 ; 4-byte Folded Reload
	v_or_b32_e32 v13, 0x10000, v14
	s_waitcnt vmcnt(0)
	v_cmp_eq_u32_sdwa s[28:29], v14, v25 src0_sel:WORD_0 src1_sel:DWORD
	v_cndmask_b32_e64 v13, v13, v14, s[28:29]
.LBB12_1082:                            ;   in Loop: Header=BB12_303 Depth=3
	s_or_b64 exec, exec, s[90:91]
	v_max_f32_e32 v11, v11, v11
	v_max_f32_e32 v10, v10, v10
	v_min_f32_e32 v14, v10, v11
	v_max_f32_e32 v10, v10, v11
	v_cndmask_b32_e32 v11, v10, v14, vcc
	v_and_b32_e32 v10, 0x7f800000, v11
	v_cmp_ne_u32_e64 s[28:29], s56, v10
                                        ; implicit-def: $vgpr10
	s_and_saveexec_b64 s[90:91], s[28:29]
	s_xor_b64 s[28:29], exec, s[90:91]
; %bb.1083:                             ;   in Loop: Header=BB12_303 Depth=3
	v_bfe_u32 v10, v11, 16, 1
	v_add3_u32 v10, v11, v10, s57
                                        ; implicit-def: $vgpr11
; %bb.1084:                             ;   in Loop: Header=BB12_303 Depth=3
	s_andn2_saveexec_b64 s[90:91], s[28:29]
	s_cbranch_execz .LBB12_1086
; %bb.1085:                             ;   in Loop: Header=BB12_303 Depth=3
	buffer_load_dword v25, off, s[0:3], s33 offset:128 ; 4-byte Folded Reload
	buffer_load_dword v26, off, s[0:3], s33 offset:132 ; 4-byte Folded Reload
	v_or_b32_e32 v10, 0x10000, v11
	s_waitcnt vmcnt(0)
	v_cmp_eq_u32_sdwa s[28:29], v11, v25 src0_sel:WORD_0 src1_sel:DWORD
	v_cndmask_b32_e64 v10, v10, v11, s[28:29]
.LBB12_1086:                            ;   in Loop: Header=BB12_303 Depth=3
	s_or_b64 exec, exec, s[90:91]
	v_max_f32_e32 v7, v7, v7
	v_max_f32_e32 v6, v6, v6
	v_min_f32_e32 v11, v6, v7
	v_max_f32_e32 v6, v6, v7
	v_cndmask_b32_e32 v7, v6, v11, vcc
	v_and_b32_e32 v6, 0x7f800000, v7
	v_cmp_ne_u32_e64 s[28:29], s56, v6
                                        ; implicit-def: $vgpr6
	s_and_saveexec_b64 s[90:91], s[28:29]
	s_xor_b64 s[28:29], exec, s[90:91]
; %bb.1087:                             ;   in Loop: Header=BB12_303 Depth=3
	v_bfe_u32 v6, v7, 16, 1
	v_add3_u32 v6, v7, v6, s57
                                        ; implicit-def: $vgpr7
; %bb.1088:                             ;   in Loop: Header=BB12_303 Depth=3
	s_andn2_saveexec_b64 s[90:91], s[28:29]
	s_cbranch_execz .LBB12_1090
; %bb.1089:                             ;   in Loop: Header=BB12_303 Depth=3
	buffer_load_dword v25, off, s[0:3], s33 offset:128 ; 4-byte Folded Reload
	buffer_load_dword v26, off, s[0:3], s33 offset:132 ; 4-byte Folded Reload
	v_or_b32_e32 v6, 0x10000, v7
	s_waitcnt vmcnt(0)
	v_cmp_eq_u32_sdwa s[28:29], v7, v25 src0_sel:WORD_0 src1_sel:DWORD
	v_cndmask_b32_e64 v6, v6, v7, s[28:29]
.LBB12_1090:                            ;   in Loop: Header=BB12_303 Depth=3
	s_or_b64 exec, exec, s[90:91]
	v_max_f32_e32 v5, v5, v5
	v_max_f32_e32 v4, v4, v4
	v_min_f32_e32 v7, v4, v5
	v_max_f32_e32 v4, v4, v5
	v_cndmask_b32_e32 v5, v4, v7, vcc
	v_and_b32_e32 v4, 0x7f800000, v5
	v_cmp_ne_u32_e64 s[28:29], s56, v4
                                        ; implicit-def: $vgpr4
	s_and_saveexec_b64 s[90:91], s[28:29]
	s_xor_b64 s[28:29], exec, s[90:91]
; %bb.1091:                             ;   in Loop: Header=BB12_303 Depth=3
	v_bfe_u32 v4, v5, 16, 1
	v_add3_u32 v4, v5, v4, s57
                                        ; implicit-def: $vgpr5
; %bb.1092:                             ;   in Loop: Header=BB12_303 Depth=3
	s_andn2_saveexec_b64 s[90:91], s[28:29]
	s_cbranch_execz .LBB12_1094
; %bb.1093:                             ;   in Loop: Header=BB12_303 Depth=3
	buffer_load_dword v25, off, s[0:3], s33 offset:128 ; 4-byte Folded Reload
	buffer_load_dword v26, off, s[0:3], s33 offset:132 ; 4-byte Folded Reload
	v_or_b32_e32 v4, 0x10000, v5
	s_waitcnt vmcnt(0)
	v_cmp_eq_u32_sdwa s[28:29], v5, v25 src0_sel:WORD_0 src1_sel:DWORD
	v_cndmask_b32_e64 v4, v4, v5, s[28:29]
.LBB12_1094:                            ;   in Loop: Header=BB12_303 Depth=3
	s_or_b64 exec, exec, s[90:91]
	v_max_f32_e32 v3, v3, v3
	v_max_f32_e32 v2, v2, v2
	v_min_f32_e32 v5, v2, v3
	v_max_f32_e32 v2, v2, v3
	v_cndmask_b32_e32 v3, v2, v5, vcc
	v_and_b32_e32 v2, 0x7f800000, v3
	v_cmp_ne_u32_e32 vcc, s56, v2
                                        ; implicit-def: $vgpr2
	s_and_saveexec_b64 s[28:29], vcc
	s_xor_b64 s[28:29], exec, s[28:29]
; %bb.1095:                             ;   in Loop: Header=BB12_303 Depth=3
	v_bfe_u32 v2, v3, 16, 1
	v_add3_u32 v2, v3, v2, s57
                                        ; implicit-def: $vgpr3
; %bb.1096:                             ;   in Loop: Header=BB12_303 Depth=3
	s_andn2_saveexec_b64 s[28:29], s[28:29]
	s_cbranch_execz .LBB12_1098
; %bb.1097:                             ;   in Loop: Header=BB12_303 Depth=3
	buffer_load_dword v25, off, s[0:3], s33 offset:128 ; 4-byte Folded Reload
	buffer_load_dword v26, off, s[0:3], s33 offset:132 ; 4-byte Folded Reload
	v_or_b32_e32 v2, 0x10000, v3
	s_waitcnt vmcnt(0)
	v_cmp_eq_u32_sdwa vcc, v3, v25 src0_sel:WORD_0 src1_sel:DWORD
	v_cndmask_b32_e32 v2, v2, v3, vcc
.LBB12_1098:                            ;   in Loop: Header=BB12_303 Depth=3
	s_or_b64 exec, exec, s[28:29]
	flat_store_short_d16_hi v[0:1], v8 glc slc
	flat_store_short_d16_hi v[0:1], v12 offset:128 glc slc
	flat_store_short_d16_hi v[0:1], v15 offset:256 glc slc
	;; [unrolled: 1-line block ×15, first 2 shown]
.LBB12_1099:                            ;   in Loop: Header=BB12_303 Depth=3
	s_or_b64 exec, exec, s[40:41]
	buffer_load_dword v0, off, s[0:3], s33 offset:388 ; 4-byte Folded Reload
	buffer_load_dword v4, off, s[0:3], s33 offset:380 ; 4-byte Folded Reload
	;; [unrolled: 1-line block ×3, first 2 shown]
	s_waitcnt vmcnt(0)
	v_lshlrev_b32_e32 v0, 11, v0
	v_cmp_ne_u32_e32 vcc, v30, v0
	s_and_b64 s[28:29], exec, vcc
	s_mov_b64 exec, s[28:29]
	s_cbranch_execz .LBB12_1124
; %bb.1100:                             ;   in Loop: Header=BB12_303 Depth=3
	v_lshlrev_b32_e32 v1, 6, v9
	v_sub_u32_e32 v1, v2, v1
	v_ashrrev_i32_e32 v2, 31, v1
	v_lshrrev_b32_e32 v2, 26, v2
	v_add_u32_e32 v2, v1, v2
	v_and_b32_e32 v3, 0x7fffffc0, v2
	v_sub_u32_e32 v1, v1, v3
	v_lshlrev_b32_e32 v2, 1, v2
	v_and_b32_e32 v2, 0xffffff80, v2
	v_lshlrev_b32_e32 v1, 1, v1
	v_add3_u32 v0, v2, v1, v0
	v_sub_u32_e32 v2, v30, v0
	v_cmp_lt_i32_e32 vcc, 1, v2
	s_and_b64 exec, exec, vcc
	s_cbranch_execz .LBB12_1124
; %bb.1101:                             ;   in Loop: Header=BB12_303 Depth=3
	s_trap 2
	ds_read_b64 v[7:8], v0
	v_add_u32_e32 v3, v0, v4
	buffer_load_dword v4, off, s[0:3], s33 offset:452 ; 4-byte Folded Reload
	buffer_load_dword v5, off, s[0:3], s33 offset:456 ; 4-byte Folded Reload
	v_ashrrev_i32_e32 v9, 31, v3
	v_add_co_u32_e32 v0, vcc, v28, v3
	v_addc_co_u32_e32 v1, vcc, v29, v9, vcc
	s_and_b32 s9, s9, 0xff
	s_cmp_eq_u32 s9, 0
	s_mov_b64 s[94:95], 0
	s_mov_b64 s[90:91], 0
	s_cselect_b64 s[28:29], -1, 0
                                        ; implicit-def: $sgpr92_sgpr93
	s_waitcnt vmcnt(0)
	v_add_co_u32_e32 v6, vcc, v3, v4
	v_addc_co_u32_e32 v5, vcc, v9, v5, vcc
	s_waitcnt lgkmcnt(0)
	v_add_co_u32_e32 v4, vcc, v7, v3
	v_addc_co_u32_e32 v3, vcc, v8, v9, vcc
	s_branch .LBB12_1103
.LBB12_1102:                            ;   in Loop: Header=BB12_1103 Depth=4
	s_or_b64 exec, exec, s[40:41]
	v_lshrrev_b32_e32 v7, 16, v8
	buffer_store_short v7, off, s[0:3], s33 offset:64
	flat_store_short v[0:1], v7 glc slc
	buffer_load_dword v9, off, s[0:3], s33 offset:316 ; 4-byte Folded Reload
	buffer_load_dword v10, off, s[0:3], s33 offset:320 ; 4-byte Folded Reload
	;; [unrolled: 1-line block ×4, first 2 shown]
	v_mov_b32_e32 v13, 0x80
	s_waitcnt vmcnt(0)
	v_add_co_u32_e32 v7, vcc, v6, v9
	v_cndmask_b32_e64 v6, v6, v7, s[94:95]
	buffer_load_dword v7, off, s[0:3], s33 offset:280 ; 4-byte Folded Reload
	v_addc_co_u32_e32 v8, vcc, v5, v10, vcc
	v_add_co_u32_e32 v9, vcc, v4, v9
	v_addc_co_u32_e32 v10, vcc, v3, v10, vcc
	v_cndmask_b32_e64 v12, v13, v12, s[94:95]
	v_cndmask_b32_e64 v11, 0, v11, s[94:95]
	v_add_co_u32_e32 v0, vcc, v0, v12
	v_addc_co_u32_e32 v1, vcc, v1, v11, vcc
	v_cndmask_b32_e64 v3, v3, v10, s[94:95]
	v_cndmask_b32_e64 v4, v4, v9, s[94:95]
	;; [unrolled: 1-line block ×3, first 2 shown]
	s_waitcnt vmcnt(0)
	v_cndmask_b32_e64 v7, 0, v7, s[94:95]
	v_sub_u32_e32 v2, v2, v7
	v_cmp_gt_i32_e32 vcc, 2, v2
	s_or_b64 s[90:91], vcc, s[90:91]
	s_andn2_b64 s[40:41], s[92:93], exec
	s_and_b64 s[92:93], s[94:95], exec
	s_or_b64 s[92:93], s[40:41], s[92:93]
	s_andn2_b64 exec, exec, s[90:91]
	s_cbranch_execz .LBB12_1118
.LBB12_1103:                            ;   Parent Loop BB12_47 Depth=1
                                        ;     Parent Loop BB12_300 Depth=2
                                        ;       Parent Loop BB12_303 Depth=3
                                        ; =>      This Loop Header: Depth=4
                                        ;           Child Loop BB12_1104 Depth 5
                                        ;           Child Loop BB12_1113 Depth 5
	s_lshr_b32 s9, s33, 6
	s_add_i32 s9, s9, 64
	s_mov_b64 s[30:31], -1
	s_mov_b64 s[34:35], 0
.LBB12_1104:                            ;   Parent Loop BB12_47 Depth=1
                                        ;     Parent Loop BB12_300 Depth=2
                                        ;       Parent Loop BB12_303 Depth=3
                                        ;         Parent Loop BB12_1103 Depth=4
                                        ; =>        This Inner Loop Header: Depth=5
	s_cmp_eq_u32 s34, 1
	s_cselect_b64 s[40:41], -1, 0
	v_cndmask_b32_e64 v8, v5, v3, s[40:41]
	v_cndmask_b32_e64 v7, v6, v4, s[40:41]
	flat_load_ushort v9, v[7:8] glc slc
	v_add_co_u32_e32 v7, vcc, 0x80, v7
	v_addc_co_u32_e32 v8, vcc, 0, v8, vcc
	s_cmp_eq_u32 s34, 0
	v_mov_b32_e32 v10, s9
	s_cselect_b64 vcc, -1, 0
	s_lshr_b32 s9, s33, 6
	s_addk_i32 s9, 0x60
	v_cndmask_b32_e64 v3, v3, v8, s[40:41]
	v_cndmask_b32_e64 v4, v4, v7, s[40:41]
	v_cndmask_b32_e32 v5, v5, v8, vcc
	v_cndmask_b32_e32 v6, v6, v7, vcc
	s_mov_b64 s[34:35], 1
	s_and_b64 vcc, exec, s[30:31]
	s_mov_b64 s[30:31], 0
	s_waitcnt vmcnt(0) lgkmcnt(0)
	buffer_store_short v9, v10, s[0:3], 0 offen
	s_cbranch_vccnz .LBB12_1104
; %bb.1105:                             ;   in Loop: Header=BB12_1103 Depth=4
	s_and_saveexec_b64 s[40:41], s[94:95]
	s_cbranch_execz .LBB12_1111
; %bb.1106:                             ;   in Loop: Header=BB12_1103 Depth=4
	buffer_load_ushort v7, off, s[0:3], s33 offset:56
	buffer_load_ushort v8, off, s[0:3], s33 offset:58
	s_waitcnt vmcnt(1)
	v_lshlrev_b32_e32 v7, 16, v7
	s_waitcnt vmcnt(0)
	v_lshlrev_b32_e32 v8, 16, v8
	v_max_f32_e32 v8, v8, v8
	v_max_f32_e32 v7, v7, v7
	v_min_f32_e32 v9, v7, v8
	v_max_f32_e32 v7, v7, v8
	v_cndmask_b32_e64 v7, v7, v9, s[28:29]
	v_and_b32_e32 v8, 0x7f800000, v7
	v_cmp_ne_u32_e32 vcc, s56, v8
                                        ; implicit-def: $vgpr8
	s_and_saveexec_b64 s[94:95], vcc
	s_xor_b64 s[94:95], exec, s[94:95]
; %bb.1107:                             ;   in Loop: Header=BB12_1103 Depth=4
	v_bfe_u32 v8, v7, 16, 1
	v_add3_u32 v8, v7, v8, s57
                                        ; implicit-def: $vgpr7
; %bb.1108:                             ;   in Loop: Header=BB12_1103 Depth=4
	s_andn2_saveexec_b64 s[94:95], s[94:95]
	s_cbranch_execz .LBB12_1110
; %bb.1109:                             ;   in Loop: Header=BB12_1103 Depth=4
	buffer_load_dword v9, off, s[0:3], s33 offset:128 ; 4-byte Folded Reload
	buffer_load_dword v10, off, s[0:3], s33 offset:132 ; 4-byte Folded Reload
	v_or_b32_e32 v8, 0x10000, v7
	s_waitcnt vmcnt(1)
	v_cmp_eq_u32_sdwa vcc, v7, v9 src0_sel:WORD_0 src1_sel:DWORD
	v_cndmask_b32_e32 v8, v8, v7, vcc
.LBB12_1110:                            ;   in Loop: Header=BB12_1103 Depth=4
	s_or_b64 exec, exec, s[94:95]
	v_lshrrev_b32_e32 v7, 16, v8
	buffer_store_short v7, off, s[0:3], s33 offset:56
	flat_store_short v[0:1], v7 glc slc
	buffer_load_dword v7, off, s[0:3], s33 offset:324 ; 4-byte Folded Reload
	s_waitcnt vmcnt(0)
	v_add_co_u32_e32 v0, vcc, v0, v7
	buffer_load_dword v7, off, s[0:3], s33 offset:328 ; 4-byte Folded Reload
	s_waitcnt vmcnt(0)
	v_addc_co_u32_e32 v1, vcc, v1, v7, vcc
.LBB12_1111:                            ;   in Loop: Header=BB12_1103 Depth=4
	s_or_b64 exec, exec, s[40:41]
	buffer_load_dword v7, off, s[0:3], s33 offset:316 ; 4-byte Folded Reload
	buffer_load_dword v8, off, s[0:3], s33 offset:320 ; 4-byte Folded Reload
	s_waitcnt vmcnt(0)
	v_add_co_u32_e32 v6, vcc, v6, v7
	v_addc_co_u32_e32 v5, vcc, v5, v8, vcc
	v_add_co_u32_e32 v4, vcc, v4, v7
	buffer_load_dword v7, off, s[0:3], s33 offset:280 ; 4-byte Folded Reload
	v_addc_co_u32_e32 v3, vcc, v3, v8, vcc
	s_waitcnt vmcnt(0)
	v_sub_u32_e32 v2, v2, v7
	v_cmp_lt_i32_e64 s[94:95], 1, v2
	s_and_saveexec_b64 s[30:31], s[94:95]
	s_cbranch_execz .LBB12_1114
; %bb.1112:                             ;   in Loop: Header=BB12_1103 Depth=4
	s_lshr_b32 s9, s33, 6
	s_add_i32 s9, s9, 56
	s_mov_b64 s[36:37], 0
	s_mov_b64 s[34:35], -1
.LBB12_1113:                            ;   Parent Loop BB12_47 Depth=1
                                        ;     Parent Loop BB12_300 Depth=2
                                        ;       Parent Loop BB12_303 Depth=3
                                        ;         Parent Loop BB12_1103 Depth=4
                                        ; =>        This Inner Loop Header: Depth=5
	s_cmp_eq_u32 s36, 1
	s_cselect_b64 s[40:41], -1, 0
	v_cndmask_b32_e64 v8, v5, v3, s[40:41]
	v_cndmask_b32_e64 v7, v6, v4, s[40:41]
	flat_load_ushort v9, v[7:8] glc slc
	v_add_co_u32_e32 v7, vcc, 0x80, v7
	v_addc_co_u32_e32 v8, vcc, 0, v8, vcc
	s_cmp_eq_u32 s36, 0
	v_mov_b32_e32 v10, s9
	s_cselect_b64 vcc, -1, 0
	s_lshr_b32 s9, s33, 6
	s_add_i32 s9, s9, 58
	v_cndmask_b32_e32 v5, v5, v8, vcc
	v_cndmask_b32_e32 v6, v6, v7, vcc
	v_cndmask_b32_e64 v3, v3, v8, s[40:41]
	v_cndmask_b32_e64 v4, v4, v7, s[40:41]
	s_mov_b64 s[36:37], 1
	s_and_b64 vcc, exec, s[34:35]
	s_mov_b64 s[34:35], 0
	s_waitcnt vmcnt(0) lgkmcnt(0)
	buffer_store_short v9, v10, s[0:3], 0 offen
	s_cbranch_vccnz .LBB12_1113
.LBB12_1114:                            ;   in Loop: Header=BB12_1103 Depth=4
	s_or_b64 exec, exec, s[30:31]
	buffer_load_ushort v7, off, s[0:3], s33 offset:64
	buffer_load_ushort v8, off, s[0:3], s33 offset:96
	s_waitcnt vmcnt(0)
	v_lshlrev_b32_e32 v7, 16, v7
	v_lshlrev_b32_e32 v8, 16, v8
	v_max_f32_e32 v8, v8, v8
	v_max_f32_e32 v7, v7, v7
	v_min_f32_e32 v9, v7, v8
	v_max_f32_e32 v7, v7, v8
	v_cndmask_b32_e64 v7, v7, v9, s[28:29]
	v_and_b32_e32 v8, 0x7f800000, v7
	v_cmp_ne_u32_e32 vcc, s56, v8
                                        ; implicit-def: $vgpr8
	s_and_saveexec_b64 s[40:41], vcc
	s_xor_b64 s[40:41], exec, s[40:41]
; %bb.1115:                             ;   in Loop: Header=BB12_1103 Depth=4
	v_bfe_u32 v8, v7, 16, 1
	v_add3_u32 v8, v7, v8, s57
                                        ; implicit-def: $vgpr7
; %bb.1116:                             ;   in Loop: Header=BB12_1103 Depth=4
	s_andn2_saveexec_b64 s[40:41], s[40:41]
	s_cbranch_execz .LBB12_1102
; %bb.1117:                             ;   in Loop: Header=BB12_1103 Depth=4
	buffer_load_dword v9, off, s[0:3], s33 offset:128 ; 4-byte Folded Reload
	buffer_load_dword v10, off, s[0:3], s33 offset:132 ; 4-byte Folded Reload
	v_or_b32_e32 v8, 0x10000, v7
	s_waitcnt vmcnt(0)
	v_cmp_eq_u32_sdwa vcc, v7, v9 src0_sel:WORD_0 src1_sel:DWORD
	v_cndmask_b32_e32 v8, v8, v7, vcc
	s_branch .LBB12_1102
.LBB12_1118:                            ;   in Loop: Header=BB12_303 Depth=3
	s_or_b64 exec, exec, s[90:91]
	s_and_b64 exec, exec, s[92:93]
	s_cbranch_execz .LBB12_1124
; %bb.1119:                             ;   in Loop: Header=BB12_303 Depth=3
	buffer_load_ushort v2, off, s[0:3], s33 offset:56
	buffer_load_ushort v3, off, s[0:3], s33 offset:58
	s_waitcnt vmcnt(0)
	v_lshlrev_b32_e32 v2, 16, v2
	v_lshlrev_b32_e32 v3, 16, v3
	v_max_f32_e32 v3, v3, v3
	v_max_f32_e32 v2, v2, v2
	v_min_f32_e32 v4, v2, v3
	v_max_f32_e32 v2, v2, v3
	v_cndmask_b32_e64 v2, v2, v4, s[28:29]
	v_and_b32_e32 v3, 0x7f800000, v2
	v_cmp_ne_u32_e32 vcc, s56, v3
                                        ; implicit-def: $vgpr3
	s_and_saveexec_b64 s[28:29], vcc
	s_xor_b64 s[28:29], exec, s[28:29]
; %bb.1120:                             ;   in Loop: Header=BB12_303 Depth=3
	v_bfe_u32 v3, v2, 16, 1
	v_add3_u32 v3, v2, v3, s57
                                        ; implicit-def: $vgpr2
; %bb.1121:                             ;   in Loop: Header=BB12_303 Depth=3
	s_andn2_saveexec_b64 s[28:29], s[28:29]
	s_cbranch_execz .LBB12_1123
; %bb.1122:                             ;   in Loop: Header=BB12_303 Depth=3
	buffer_load_dword v4, off, s[0:3], s33 offset:128 ; 4-byte Folded Reload
	buffer_load_dword v5, off, s[0:3], s33 offset:132 ; 4-byte Folded Reload
	v_or_b32_e32 v3, 0x10000, v2
	s_waitcnt vmcnt(0)
	v_cmp_eq_u32_sdwa vcc, v2, v4 src0_sel:WORD_0 src1_sel:DWORD
	v_cndmask_b32_e32 v3, v3, v2, vcc
.LBB12_1123:                            ;   in Loop: Header=BB12_303 Depth=3
	s_or_b64 exec, exec, s[28:29]
	flat_store_short_d16_hi v[0:1], v3 glc slc
.LBB12_1124:                            ;   in Loop: Header=BB12_303 Depth=3
	s_or_b64 exec, exec, s[42:43]
	v_cmp_lt_i32_e64 s[28:29], 0, v45
	s_and_saveexec_b64 s[40:41], s[10:11]
	s_cbranch_execz .LBB12_378
.LBB12_1125:                            ;   in Loop: Header=BB12_303 Depth=3
	s_and_saveexec_b64 s[42:43], s[58:59]
	s_xor_b64 s[42:43], exec, s[42:43]
	s_cbranch_execz .LBB12_1140
; %bb.1126:                             ;   in Loop: Header=BB12_303 Depth=3
	s_and_saveexec_b64 s[90:91], s[16:17]
	s_cbranch_execz .LBB12_1139
; %bb.1127:                             ;   in Loop: Header=BB12_303 Depth=3
	s_mov_b64 s[94:95], exec
	s_waitcnt vmcnt(0)
	v_mbcnt_lo_u32_b32 v0, s94, 0
	v_mbcnt_hi_u32_b32 v0, s95, v0
	v_cmp_eq_u32_e32 vcc, 0, v0
	s_waitcnt lgkmcnt(0)
	buffer_wbinvl1_vol
	s_and_saveexec_b64 s[92:93], vcc
	s_cbranch_execz .LBB12_1129
; %bb.1128:                             ;   in Loop: Header=BB12_303 Depth=3
	buffer_load_dword v1, off, s[0:3], s33 offset:128 ; 4-byte Folded Reload
	buffer_load_dword v2, off, s[0:3], s33 offset:132 ; 4-byte Folded Reload
	s_bcnt1_i32_b64 s9, s[94:95]
	v_mov_b32_e32 v0, s9
	s_waitcnt vmcnt(1)
	ds_add_u64 v0, v[0:1]
	s_trap 2
.LBB12_1129:                            ;   in Loop: Header=BB12_303 Depth=3
	s_or_b64 exec, exec, s[92:93]
	s_trap 2
	ds_read_b64 v[0:1], v0
	s_waitcnt lgkmcnt(0)
	buffer_load_dword v2, off, s[0:3], s33 offset:152 ; 4-byte Folded Reload
	buffer_load_dword v3, off, s[0:3], s33 offset:160 ; 4-byte Folded Reload
	;; [unrolled: 1-line block ×3, first 2 shown]
	s_waitcnt vmcnt(1)
	v_add_co_u32_e32 v3, vcc, v3, v2
	s_waitcnt vmcnt(0)
	v_addc_co_u32_e32 v4, vcc, 0, v4, vcc
	buffer_store_dword v3, off, s[0:3], s33 offset:160 ; 4-byte Folded Spill
	s_nop 0
	buffer_store_dword v4, off, s[0:3], s33 offset:164 ; 4-byte Folded Spill
	v_cmp_lt_u64_e32 vcc, v[0:1], v[3:4]
	s_and_saveexec_b64 s[92:93], vcc
	s_cbranch_execz .LBB12_1138
; %bb.1130:                             ;   in Loop: Header=BB12_303 Depth=3
	s_mov_b32 s9, 0
	s_mov_b64 s[94:95], 0
                                        ; implicit-def: $sgpr30_sgpr31
                                        ; implicit-def: $sgpr34_sgpr35
	s_branch .LBB12_1132
.LBB12_1131:                            ;   in Loop: Header=BB12_1132 Depth=4
	s_or_b64 exec, exec, s[38:39]
	s_and_b64 vcc, exec, vcc
	s_or_b64 s[94:95], vcc, s[94:95]
	s_andn2_b64 vcc, s[30:31], exec
	s_and_b64 s[30:31], s[34:35], exec
	s_or_b64 s[30:31], vcc, s[30:31]
	s_andn2_b64 exec, exec, s[94:95]
	s_cbranch_execz .LBB12_1136
.LBB12_1132:                            ;   Parent Loop BB12_47 Depth=1
                                        ;     Parent Loop BB12_300 Depth=2
                                        ;       Parent Loop BB12_303 Depth=3
                                        ; =>      This Inner Loop Header: Depth=4
	s_add_i32 s9, s9, 1
	s_cmpk_lg_i32 s9, 0x2710
	s_cselect_b64 s[36:37], -1, 0
	s_and_b64 vcc, exec, s[36:37]
	s_cbranch_vccz .LBB12_1134
; %bb.1133:                             ;   in Loop: Header=BB12_1132 Depth=4
	s_mov_b64 vcc, -1
	s_or_b64 s[34:35], s[34:35], exec
	s_and_saveexec_b64 s[38:39], s[36:37]
	s_cbranch_execz .LBB12_1131
	s_branch .LBB12_1135
.LBB12_1134:                            ;   in Loop: Header=BB12_1132 Depth=4
	s_trap 2
	ds_read_b64 v[0:1], v0
	s_andn2_b64 s[36:37], s[36:37], exec
	s_mov_b32 s9, 0
	s_waitcnt vmcnt(0) lgkmcnt(0)
	flat_load_dword v0, v[0:1] glc
	s_waitcnt vmcnt(0) lgkmcnt(0)
	buffer_wbinvl1_vol
	v_cmp_eq_u32_e32 vcc, 0, v0
	s_and_b64 vcc, vcc, exec
	s_or_b64 s[36:37], s[36:37], vcc
	s_mov_b64 vcc, -1
	s_or_b64 s[34:35], s[34:35], exec
	s_and_saveexec_b64 s[38:39], s[36:37]
	s_cbranch_execz .LBB12_1131
.LBB12_1135:                            ;   in Loop: Header=BB12_1132 Depth=4
	s_sleep 1
	s_trap 2
	ds_read_b64 v[0:1], v0
	s_waitcnt lgkmcnt(0)
	buffer_load_dword v2, off, s[0:3], s33 offset:160 ; 4-byte Folded Reload
	buffer_load_dword v3, off, s[0:3], s33 offset:164 ; 4-byte Folded Reload
	s_andn2_b64 s[34:35], s[34:35], exec
	s_waitcnt vmcnt(0)
	v_cmp_ge_u64_e32 vcc, v[0:1], v[2:3]
	s_orn2_b64 vcc, vcc, exec
	s_branch .LBB12_1131
.LBB12_1136:                            ;   in Loop: Header=BB12_303 Depth=3
	s_or_b64 exec, exec, s[94:95]
	s_and_saveexec_b64 s[94:95], s[30:31]
	s_xor_b64 s[94:95], exec, s[94:95]
	s_cbranch_execz .LBB12_1138
; %bb.1137:                             ;   in Loop: Header=BB12_303 Depth=3
	v_mov_b32_e32 v0, 1
	ds_write_b32 v0, v0
	s_trap 2
.LBB12_1138:                            ;   in Loop: Header=BB12_303 Depth=3
	s_or_b64 exec, exec, s[92:93]
	;;#ASMSTART
	s_wakeup
	;;#ASMEND
.LBB12_1139:                            ;   in Loop: Header=BB12_303 Depth=3
	s_or_b64 exec, exec, s[90:91]
.LBB12_1140:                            ;   in Loop: Header=BB12_303 Depth=3
	s_andn2_saveexec_b64 s[42:43], s[42:43]
	s_cbranch_execz .LBB12_1142
; %bb.1141:                             ;   in Loop: Header=BB12_303 Depth=3
	s_waitcnt vmcnt(0) lgkmcnt(0)
	buffer_wbinvl1_vol
	s_barrier
.LBB12_1142:                            ;   in Loop: Header=BB12_303 Depth=3
	s_or_b64 exec, exec, s[42:43]
	s_or_b64 exec, exec, s[40:41]
                                        ; implicit-def: $vgpr0
	s_and_saveexec_b64 s[40:41], s[24:25]
	s_xor_b64 s[40:41], exec, s[40:41]
	s_cbranch_execnz .LBB12_379
.LBB12_1143:                            ;   in Loop: Header=BB12_303 Depth=3
	s_andn2_saveexec_b64 s[28:29], s[40:41]
	s_cbranch_execz .LBB12_1162
.LBB12_1144:                            ;   in Loop: Header=BB12_303 Depth=3
	s_and_saveexec_b64 s[40:41], s[58:59]
	s_xor_b64 s[40:41], exec, s[40:41]
	s_cbranch_execz .LBB12_1159
; %bb.1145:                             ;   in Loop: Header=BB12_303 Depth=3
	s_and_saveexec_b64 s[42:43], s[16:17]
	s_cbranch_execz .LBB12_1158
; %bb.1146:                             ;   in Loop: Header=BB12_303 Depth=3
	s_mov_b64 s[92:93], exec
	s_waitcnt vmcnt(0)
	v_mbcnt_lo_u32_b32 v0, s92, 0
	v_mbcnt_hi_u32_b32 v0, s93, v0
	v_cmp_eq_u32_e32 vcc, 0, v0
	;;#ASMSTART
	s_waitcnt lgkmcnt(0) vmcnt(0)
	;;#ASMEND
	s_and_saveexec_b64 s[90:91], vcc
	s_cbranch_execz .LBB12_1148
; %bb.1147:                             ;   in Loop: Header=BB12_303 Depth=3
	buffer_load_dword v1, off, s[0:3], s33 offset:128 ; 4-byte Folded Reload
	buffer_load_dword v2, off, s[0:3], s33 offset:132 ; 4-byte Folded Reload
	s_bcnt1_i32_b64 s9, s[92:93]
	v_mov_b32_e32 v0, s9
	s_waitcnt vmcnt(0) lgkmcnt(0)
	ds_add_u64 v0, v[0:1]
	s_trap 2
.LBB12_1148:                            ;   in Loop: Header=BB12_303 Depth=3
	s_or_b64 exec, exec, s[90:91]
	s_trap 2
	ds_read_b64 v[0:1], v0
	s_waitcnt lgkmcnt(0)
	buffer_load_dword v2, off, s[0:3], s33 offset:152 ; 4-byte Folded Reload
	buffer_load_dword v3, off, s[0:3], s33 offset:160 ; 4-byte Folded Reload
	;; [unrolled: 1-line block ×3, first 2 shown]
	s_waitcnt vmcnt(1)
	v_add_co_u32_e32 v3, vcc, v3, v2
	s_waitcnt vmcnt(0)
	v_addc_co_u32_e32 v4, vcc, 0, v4, vcc
	buffer_store_dword v3, off, s[0:3], s33 offset:160 ; 4-byte Folded Spill
	s_nop 0
	buffer_store_dword v4, off, s[0:3], s33 offset:164 ; 4-byte Folded Spill
	v_cmp_lt_u64_e32 vcc, v[0:1], v[3:4]
	s_and_saveexec_b64 s[90:91], vcc
	s_cbranch_execz .LBB12_1157
; %bb.1149:                             ;   in Loop: Header=BB12_303 Depth=3
	s_mov_b32 s9, 0
	s_mov_b64 s[92:93], 0
                                        ; implicit-def: $sgpr94_sgpr95
                                        ; implicit-def: $sgpr30_sgpr31
	s_branch .LBB12_1151
.LBB12_1150:                            ;   in Loop: Header=BB12_1151 Depth=4
	s_or_b64 exec, exec, s[36:37]
	s_and_b64 vcc, exec, vcc
	s_or_b64 s[92:93], vcc, s[92:93]
	s_andn2_b64 s[94:95], s[94:95], exec
	s_and_b64 vcc, s[30:31], exec
	s_or_b64 s[94:95], s[94:95], vcc
	s_andn2_b64 exec, exec, s[92:93]
	s_cbranch_execz .LBB12_1155
.LBB12_1151:                            ;   Parent Loop BB12_47 Depth=1
                                        ;     Parent Loop BB12_300 Depth=2
                                        ;       Parent Loop BB12_303 Depth=3
                                        ; =>      This Inner Loop Header: Depth=4
	s_add_i32 s9, s9, 1
	s_cmpk_lg_i32 s9, 0x2710
	s_cselect_b64 s[34:35], -1, 0
	s_and_b64 vcc, exec, s[34:35]
	s_cbranch_vccz .LBB12_1153
; %bb.1152:                             ;   in Loop: Header=BB12_1151 Depth=4
	s_mov_b64 vcc, -1
	s_or_b64 s[30:31], s[30:31], exec
	s_and_saveexec_b64 s[36:37], s[34:35]
	s_cbranch_execz .LBB12_1150
	s_branch .LBB12_1154
.LBB12_1153:                            ;   in Loop: Header=BB12_1151 Depth=4
	s_trap 2
	ds_read_b64 v[0:1], v0
	s_andn2_b64 s[34:35], s[34:35], exec
	s_mov_b32 s9, 0
	s_waitcnt vmcnt(0) lgkmcnt(0)
	flat_load_dword v0, v[0:1] glc
	s_waitcnt vmcnt(0) lgkmcnt(0)
	buffer_wbinvl1_vol
	v_cmp_eq_u32_e32 vcc, 0, v0
	s_and_b64 vcc, vcc, exec
	s_or_b64 s[34:35], s[34:35], vcc
	s_mov_b64 vcc, -1
	s_or_b64 s[30:31], s[30:31], exec
	s_and_saveexec_b64 s[36:37], s[34:35]
	s_cbranch_execz .LBB12_1150
.LBB12_1154:                            ;   in Loop: Header=BB12_1151 Depth=4
	s_sleep 1
	s_trap 2
	ds_read_b64 v[0:1], v0
	s_waitcnt lgkmcnt(0)
	buffer_load_dword v2, off, s[0:3], s33 offset:160 ; 4-byte Folded Reload
	buffer_load_dword v3, off, s[0:3], s33 offset:164 ; 4-byte Folded Reload
	s_andn2_b64 s[30:31], s[30:31], exec
	s_waitcnt vmcnt(0)
	v_cmp_ge_u64_e32 vcc, v[0:1], v[2:3]
	s_orn2_b64 vcc, vcc, exec
	s_branch .LBB12_1150
.LBB12_1155:                            ;   in Loop: Header=BB12_303 Depth=3
	s_or_b64 exec, exec, s[92:93]
	s_and_saveexec_b64 s[92:93], s[94:95]
	s_xor_b64 s[92:93], exec, s[92:93]
	s_cbranch_execz .LBB12_1157
; %bb.1156:                             ;   in Loop: Header=BB12_303 Depth=3
	v_mov_b32_e32 v0, 1
	ds_write_b32 v0, v0
	s_trap 2
.LBB12_1157:                            ;   in Loop: Header=BB12_303 Depth=3
	s_or_b64 exec, exec, s[90:91]
	;;#ASMSTART
	s_wakeup
	;;#ASMEND
.LBB12_1158:                            ;   in Loop: Header=BB12_303 Depth=3
	s_or_b64 exec, exec, s[42:43]
.LBB12_1159:                            ;   in Loop: Header=BB12_303 Depth=3
	s_andn2_saveexec_b64 s[40:41], s[40:41]
	s_cbranch_execz .LBB12_1161
; %bb.1160:                             ;   in Loop: Header=BB12_303 Depth=3
	;;#ASMSTART
	s_waitcnt lgkmcnt(0) vmcnt(0)
	;;#ASMEND
	s_waitcnt vmcnt(0) lgkmcnt(0)
	s_barrier
.LBB12_1161:                            ;   in Loop: Header=BB12_303 Depth=3
	s_or_b64 exec, exec, s[40:41]
	buffer_load_dword v0, off, s[0:3], s33 offset:156 ; 4-byte Folded Reload
	s_waitcnt vmcnt(0)
	v_and_b32_e32 v0, 16, v0
.LBB12_1162:                            ;   in Loop: Header=BB12_303 Depth=3
	s_or_b64 exec, exec, s[28:29]
	s_waitcnt vmcnt(0)
	v_cmp_ne_u32_e32 vcc, 0, v0
	s_xor_b64 s[28:29], s[12:13], -1
	s_and_b64 s[40:41], vcc, s[28:29]
	s_and_saveexec_b64 s[28:29], s[40:41]
	s_cbranch_execz .LBB12_1164
; %bb.1163:                             ;   in Loop: Header=BB12_303 Depth=3
	buffer_load_dword v0, off, s[0:3], s33 offset:428 ; 4-byte Folded Reload
	buffer_load_dword v1, off, s[0:3], s33 offset:432 ; 4-byte Folded Reload
	v_mov_b32_e32 v2, 1
	s_waitcnt vmcnt(0)
	flat_store_dword v[0:1], v2
.LBB12_1164:                            ;   in Loop: Header=BB12_303 Depth=3
	s_or_b64 exec, exec, s[28:29]
	buffer_load_dword v0, off, s[0:3], s33 offset:156 ; 4-byte Folded Reload
	s_waitcnt vmcnt(0)
	v_and_b32_e32 v0, 48, v0
	v_cmp_ne_u32_e32 vcc, 0, v0
	s_and_saveexec_b64 s[28:29], vcc
	s_cbranch_execz .LBB12_302
; %bb.1165:                             ;   in Loop: Header=BB12_303 Depth=3
	buffer_load_dword v2, off, s[0:3], s33 offset:256 ; 4-byte Folded Reload
	buffer_load_dword v3, off, s[0:3], s33 offset:260 ; 4-byte Folded Reload
	;; [unrolled: 1-line block ×4, first 2 shown]
	s_waitcnt vmcnt(0)
	v_add_co_u32_e32 v2, vcc, 2, v2
	v_addc_co_u32_e32 v3, vcc, 0, v3, vcc
	buffer_store_dword v2, off, s[0:3], s33 offset:256 ; 4-byte Folded Spill
	s_nop 0
	buffer_store_dword v3, off, s[0:3], s33 offset:260 ; 4-byte Folded Spill
	flat_store_dwordx2 v[0:1], v[2:3]
	s_branch .LBB12_302
.LBB12_1166:                            ;   in Loop: Header=BB12_300 Depth=2
	s_or_b64 exec, exec, s[78:79]
.LBB12_1167:                            ;   in Loop: Header=BB12_300 Depth=2
	s_or_b64 exec, exec, s[44:45]
	v_cmp_gt_i32_e32 vcc, 2, v2
	s_and_saveexec_b64 s[40:41], vcc
	s_cbranch_execz .LBB12_299
; %bb.1168:                             ;   in Loop: Header=BB12_300 Depth=2
	v_cmp_eq_u32_e64 s[44:45], 0, v2
	s_mov_b64 s[42:43], 0
	s_branch .LBB12_1170
.LBB12_1169:                            ;   in Loop: Header=BB12_1170 Depth=3
	s_or_b64 exec, exec, s[28:29]
	v_add_u32_e32 v54, v51, v54
	s_mov_b64 s[44:45], 0
	s_andn2_b64 exec, exec, s[42:43]
	s_cbranch_execz .LBB12_298
.LBB12_1170:                            ;   Parent Loop BB12_47 Depth=1
                                        ;     Parent Loop BB12_300 Depth=2
                                        ; =>    This Loop Header: Depth=3
                                        ;         Child Loop BB12_1176 Depth 4
                                        ;         Child Loop BB12_1204 Depth 4
	;; [unrolled: 1-line block ×3, first 2 shown]
	v_sub_u32_e32 v0, v48, v54
	v_min_i32_e32 v51, v51, v0
	buffer_load_dword v0, off, s[0:3], s33 offset:156 ; 4-byte Folded Reload
	s_waitcnt vmcnt(0)
	v_and_b32_e32 v0, 12, v0
	v_cmp_ne_u32_e32 vcc, 0, v0
	s_and_saveexec_b64 s[78:79], vcc
	s_cbranch_execz .LBB12_1196
; %bb.1171:                             ;   in Loop: Header=BB12_1170 Depth=3
	buffer_load_dword v0, off, s[0:3], s33 offset:156 ; 4-byte Folded Reload
	s_waitcnt vmcnt(0)
	v_and_b32_e32 v8, 8, v0
	buffer_load_dword v0, off, s[0:3], s33 offset:136 ; 4-byte Folded Reload
	buffer_load_dword v1, off, s[0:3], s33 offset:140 ; 4-byte Folded Reload
	s_waitcnt vmcnt(0)
	v_add_co_u32_e32 v2, vcc, v0, v8
	v_addc_co_u32_e32 v3, vcc, 0, v1, vcc
	buffer_load_dword v0, off, s[0:3], s33 offset:256 ; 4-byte Folded Reload
	buffer_load_dword v1, off, s[0:3], s33 offset:260 ; 4-byte Folded Reload
	s_waitcnt vmcnt(0)
	v_add_co_u32_e32 v0, vcc, 2, v0
	v_addc_co_u32_e32 v1, vcc, 0, v1, vcc
	v_cmp_lt_u64_e32 vcc, v[2:3], v[0:1]
	s_and_saveexec_b64 s[88:89], vcc
	s_cbranch_execz .LBB12_1183
; %bb.1172:                             ;   in Loop: Header=BB12_1170 Depth=3
	buffer_load_dword v2, off, s[0:3], s33 offset:156 ; 4-byte Folded Reload
	s_mov_b32 s9, 0
	s_mov_b64 s[90:91], 0
                                        ; implicit-def: $sgpr92_sgpr93
                                        ; implicit-def: $sgpr94_sgpr95
                                        ; implicit-def: $sgpr30_sgpr31
	s_waitcnt vmcnt(0)
	v_and_b32_e32 v2, 64, v2
	v_cmp_eq_u32_e32 vcc, 0, v2
	s_branch .LBB12_1176
.LBB12_1173:                            ;   in Loop: Header=BB12_1176 Depth=4
	buffer_load_dword v3, off, s[0:3], s33 offset:136 ; 4-byte Folded Reload
	buffer_load_dword v4, off, s[0:3], s33 offset:140 ; 4-byte Folded Reload
	s_or_b64 s[38:39], s[38:39], exec
	s_waitcnt vmcnt(1)
	v_add_co_u32_e64 v3, s[28:29], v3, v8
	s_waitcnt vmcnt(0)
	v_addc_co_u32_e64 v4, s[28:29], 0, v4, s[28:29]
	v_cmp_ge_u64_e64 s[28:29], v[3:4], v[0:1]
	s_orn2_b64 s[36:37], s[28:29], exec
.LBB12_1174:                            ;   in Loop: Header=BB12_1176 Depth=4
	s_or_b64 exec, exec, s[50:51]
	s_andn2_b64 s[28:29], s[30:31], exec
	s_and_b64 s[30:31], s[38:39], exec
	s_or_b64 s[30:31], s[28:29], s[30:31]
	s_andn2_b64 s[28:29], s[94:95], exec
	s_and_b64 s[94:95], s[36:37], exec
	s_or_b64 s[94:95], s[28:29], s[94:95]
.LBB12_1175:                            ;   in Loop: Header=BB12_1176 Depth=4
	s_or_b64 exec, exec, s[34:35]
	s_and_b64 s[28:29], exec, s[94:95]
	s_or_b64 s[90:91], s[28:29], s[90:91]
	s_andn2_b64 s[28:29], s[92:93], exec
	s_and_b64 s[92:93], s[30:31], exec
	s_or_b64 s[92:93], s[28:29], s[92:93]
	s_andn2_b64 exec, exec, s[90:91]
	s_cbranch_execz .LBB12_1180
.LBB12_1176:                            ;   Parent Loop BB12_47 Depth=1
                                        ;     Parent Loop BB12_300 Depth=2
                                        ;       Parent Loop BB12_1170 Depth=3
                                        ; =>      This Inner Loop Header: Depth=4
	s_sleep 1
	buffer_load_dword v2, off, s[0:3], s33 offset:144 ; 4-byte Folded Reload
	buffer_load_dword v3, off, s[0:3], s33 offset:148 ; 4-byte Folded Reload
	s_or_b64 s[30:31], s[30:31], exec
	s_or_b64 s[94:95], s[94:95], exec
	s_waitcnt vmcnt(0)
	flat_load_dwordx2 v[2:3], v[2:3] glc
	s_waitcnt vmcnt(0) lgkmcnt(0)
	buffer_store_dword v2, off, s[0:3], s33 offset:136 ; 4-byte Folded Spill
	s_nop 0
	buffer_store_dword v3, off, s[0:3], s33 offset:140 ; 4-byte Folded Spill
                                        ; implicit-def: $vgpr2
	s_and_saveexec_b64 s[34:35], vcc
	s_cbranch_execz .LBB12_1175
; %bb.1177:                             ;   in Loop: Header=BB12_1176 Depth=4
	s_cmpk_lt_i32 s9, 0x270f
	s_cselect_b64 s[48:49], -1, 0
	s_cmpk_gt_i32 s9, 0x270e
	s_mov_b64 s[36:37], -1
	s_cbranch_scc0 .LBB12_1179
; %bb.1178:                             ;   in Loop: Header=BB12_1176 Depth=4
	s_trap 2
	ds_read_b64 v[2:3], v0
	s_andn2_b64 s[48:49], s[48:49], exec
	s_mov_b32 s9, 0
	s_mov_b64 s[38:39], 0
	s_waitcnt vmcnt(0) lgkmcnt(0)
	flat_load_dword v2, v[2:3] glc
	s_waitcnt vmcnt(0) lgkmcnt(0)
	buffer_wbinvl1_vol
	v_cmp_eq_u32_e64 s[28:29], 0, v2
	s_and_b64 s[28:29], s[28:29], exec
	s_or_b64 s[48:49], s[48:49], s[28:29]
	s_and_saveexec_b64 s[50:51], s[48:49]
	s_cbranch_execz .LBB12_1174
	s_branch .LBB12_1173
.LBB12_1179:                            ;   in Loop: Header=BB12_1176 Depth=4
	s_add_i32 s9, s9, 1
	s_mov_b64 s[38:39], -1
                                        ; implicit-def: $vgpr2
	s_and_saveexec_b64 s[50:51], s[48:49]
	s_cbranch_execz .LBB12_1174
	s_branch .LBB12_1173
.LBB12_1180:                            ;   in Loop: Header=BB12_1170 Depth=3
	s_or_b64 exec, exec, s[90:91]
	s_xor_b64 s[28:29], s[92:93], -1
	s_and_saveexec_b64 s[90:91], s[28:29]
	s_xor_b64 s[28:29], exec, s[90:91]
	s_cbranch_execz .LBB12_1182
; %bb.1181:                             ;   in Loop: Header=BB12_1170 Depth=3
	ds_write_b32 v0, v2
	s_trap 2
	buffer_load_dword v2, off, s[0:3], s33 offset:156 ; 4-byte Folded Reload
	s_waitcnt vmcnt(0)
	v_or_b32_e32 v2, 64, v2
	buffer_store_dword v2, off, s[0:3], s33 offset:156 ; 4-byte Folded Spill
.LBB12_1182:                            ;   in Loop: Header=BB12_1170 Depth=3
	s_or_b64 exec, exec, s[28:29]
.LBB12_1183:                            ;   in Loop: Header=BB12_1170 Depth=3
	s_or_b64 exec, exec, s[88:89]
	;;#ASMSTART
	s_wakeup
	;;#ASMEND
	buffer_load_dword v2, off, s[0:3], s33 offset:156 ; 4-byte Folded Reload
	s_waitcnt vmcnt(0)
	v_and_b32_e32 v2, 0x108, v2
	v_cmp_ne_u32_e32 vcc, s97, v2
                                        ; implicit-def: $vgpr2_vgpr3
	s_and_saveexec_b64 s[28:29], vcc
	s_xor_b64 s[28:29], exec, s[28:29]
	s_cbranch_execz .LBB12_1185
; %bb.1184:                             ;   in Loop: Header=BB12_1170 Depth=3
	buffer_load_dword v2, off, s[0:3], s33 offset:256 ; 4-byte Folded Reload
	buffer_load_dword v3, off, s[0:3], s33 offset:260 ; 4-byte Folded Reload
	;; [unrolled: 1-line block ×4, first 2 shown]
                                        ; implicit-def: $vgpr4_vgpr5
                                        ; kill: killed $vgpr4_vgpr5
	s_waitcnt vmcnt(0)
	v_and_b32_e32 v2, 7, v2
.LBB12_1185:                            ;   in Loop: Header=BB12_1170 Depth=3
	s_andn2_saveexec_b64 s[28:29], s[28:29]
	s_cbranch_execz .LBB12_1187
; %bb.1186:                             ;   in Loop: Header=BB12_1170 Depth=3
	buffer_load_dword v2, off, s[0:3], s33 offset:256 ; 4-byte Folded Reload
	buffer_load_dword v3, off, s[0:3], s33 offset:260 ; 4-byte Folded Reload
	;; [unrolled: 1-line block ×8, first 2 shown]
	v_ashrrev_i32_e32 v52, 31, v51
	s_waitcnt vmcnt(0)
	v_lshlrev_b64 v[6:7], 1, v[51:52]
	v_and_b32_e32 v2, 7, v2
	v_mad_u64_u32 v[4:5], s[88:89], v2, 24, v[3:4]
	v_mov_b32_e32 v3, v9
	flat_store_dwordx2 v[4:5], v[6:7] offset:8
.LBB12_1187:                            ;   in Loop: Header=BB12_1170 Depth=3
	s_or_b64 exec, exec, s[28:29]
	buffer_load_dword v4, off, s[0:3], s33 offset:156 ; 4-byte Folded Reload
	s_mov_b64 s[28:29], -1
	s_waitcnt vmcnt(0)
	v_and_b32_e32 v4, 0x100, v4
	v_cmp_ne_u32_e32 vcc, 0, v4
                                        ; implicit-def: $vgpr4_vgpr5
	s_and_saveexec_b64 s[88:89], vcc
	s_cbranch_execz .LBB12_1191
; %bb.1188:                             ;   in Loop: Header=BB12_1170 Depth=3
	buffer_load_dword v4, off, s[0:3], s33 offset:412 ; 4-byte Folded Reload
	buffer_load_dword v5, off, s[0:3], s33 offset:416 ; 4-byte Folded Reload
	;; [unrolled: 1-line block ×4, first 2 shown]
	s_waitcnt vmcnt(0)
	v_mad_u64_u32 v[6:7], s[28:29], v2, 24, v[4:5]
	v_mov_b32_e32 v4, v7
	v_mad_u64_u32 v[4:5], s[28:29], v3, 24, v[4:5]
	v_mov_b32_e32 v7, v4
	flat_load_dword v4, v[6:7]
	s_waitcnt vmcnt(0) lgkmcnt(0)
	v_cmp_ne_u32_e32 vcc, 1, v4
	v_cmp_eq_u32_e64 s[28:29], 1, v4
                                        ; implicit-def: $vgpr4_vgpr5
	s_and_saveexec_b64 s[90:91], s[28:29]
	s_cbranch_execz .LBB12_1190
; %bb.1189:                             ;   in Loop: Header=BB12_1170 Depth=3
	flat_load_dword v4, v[6:7] offset:4 glc
	s_waitcnt vmcnt(0) lgkmcnt(0)
	v_ashrrev_i32_e32 v5, 31, v4
	v_lshrrev_b64 v[4:5], 1, v[4:5]
.LBB12_1190:                            ;   in Loop: Header=BB12_1170 Depth=3
	s_or_b64 exec, exec, s[90:91]
	s_orn2_b64 s[28:29], vcc, exec
.LBB12_1191:                            ;   in Loop: Header=BB12_1170 Depth=3
	s_or_b64 exec, exec, s[88:89]
	s_and_saveexec_b64 s[88:89], s[28:29]
	s_cbranch_execz .LBB12_1193
; %bb.1192:                             ;   in Loop: Header=BB12_1170 Depth=3
	buffer_load_dword v4, off, s[0:3], s33 offset:436 ; 4-byte Folded Reload
	buffer_load_dword v5, off, s[0:3], s33 offset:440 ; 4-byte Folded Reload
	s_waitcnt vmcnt(0)
	v_mul_lo_u32 v3, v3, v4
	v_mul_lo_u32 v6, v2, v5
	v_mad_u64_u32 v[4:5], s[28:29], v2, v4, 0
	v_add3_u32 v5, v5, v6, v3
.LBB12_1193:                            ;   in Loop: Header=BB12_1170 Depth=3
	s_or_b64 exec, exec, s[88:89]
	v_cmp_eq_u32_e32 vcc, 0, v8
	v_mov_b32_e32 v2, 0xc8
	v_mov_b32_e32 v3, 0x90
	v_cndmask_b32_e32 v6, v2, v3, vcc
	v_lshlrev_b64 v[2:3], 1, v[4:5]
	buffer_load_dword v4, off, s[0:3], s33 offset:404 ; 4-byte Folded Reload
	buffer_load_dword v5, off, s[0:3], s33 offset:408 ; 4-byte Folded Reload
	s_waitcnt vmcnt(0)
	v_add_co_u32_e32 v2, vcc, v4, v2
	v_addc_co_u32_e32 v3, vcc, v5, v3, vcc
	v_add_u32_e32 v4, v0, v6
	ds_write_b64 v4, v[2:3] offset:584
	buffer_load_dword v2, off, s[0:3], s33 offset:156 ; 4-byte Folded Reload
	s_waitcnt vmcnt(0)
	v_and_b32_e32 v2, 0x2000, v2
	v_cmp_ne_u32_e32 vcc, 0, v2
	s_and_saveexec_b64 s[28:29], vcc
	s_cbranch_execz .LBB12_1195
; %bb.1194:                             ;   in Loop: Header=BB12_1170 Depth=3
	ds_read_b64 v[2:3], v0 offset:872
	s_waitcnt lgkmcnt(0)
	v_add_co_u32_e32 v2, vcc, 1, v2
	v_addc_co_u32_e32 v3, vcc, 0, v3, vcc
	ds_write_b64 v0, v[2:3] offset:872
.LBB12_1195:                            ;   in Loop: Header=BB12_1170 Depth=3
	s_or_b64 exec, exec, s[28:29]
	buffer_store_dword v0, off, s[0:3], s33 offset:256 ; 4-byte Folded Spill
	s_nop 0
	buffer_store_dword v1, off, s[0:3], s33 offset:260 ; 4-byte Folded Spill
.LBB12_1196:                            ;   in Loop: Header=BB12_1170 Depth=3
	s_or_b64 exec, exec, s[78:79]
	s_xor_b64 s[28:29], s[44:45], -1
	s_and_b64 s[28:29], exec, s[28:29]
	s_or_b64 s[42:43], s[28:29], s[42:43]
	s_and_saveexec_b64 s[28:29], s[10:11]
	s_cbranch_execz .LBB12_1215
; %bb.1197:                             ;   in Loop: Header=BB12_1170 Depth=3
	s_and_saveexec_b64 s[44:45], s[58:59]
	s_xor_b64 s[44:45], exec, s[44:45]
	s_cbranch_execz .LBB12_1212
; %bb.1198:                             ;   in Loop: Header=BB12_1170 Depth=3
	s_and_saveexec_b64 s[78:79], s[16:17]
	s_cbranch_execz .LBB12_1211
; %bb.1199:                             ;   in Loop: Header=BB12_1170 Depth=3
	s_mov_b64 s[90:91], exec
	v_mbcnt_lo_u32_b32 v0, s90, 0
	v_mbcnt_hi_u32_b32 v0, s91, v0
	v_cmp_eq_u32_e32 vcc, 0, v0
	s_waitcnt vmcnt(0) lgkmcnt(0)
	buffer_wbinvl1_vol
	s_and_saveexec_b64 s[88:89], vcc
	s_cbranch_execz .LBB12_1201
; %bb.1200:                             ;   in Loop: Header=BB12_1170 Depth=3
	buffer_load_dword v1, off, s[0:3], s33 offset:128 ; 4-byte Folded Reload
	buffer_load_dword v2, off, s[0:3], s33 offset:132 ; 4-byte Folded Reload
	s_bcnt1_i32_b64 s9, s[90:91]
	v_mov_b32_e32 v0, s9
	s_waitcnt vmcnt(1)
	ds_add_u64 v0, v[0:1]
	s_trap 2
.LBB12_1201:                            ;   in Loop: Header=BB12_1170 Depth=3
	s_or_b64 exec, exec, s[88:89]
	s_trap 2
	ds_read_b64 v[0:1], v0
	s_waitcnt lgkmcnt(0)
	buffer_load_dword v2, off, s[0:3], s33 offset:152 ; 4-byte Folded Reload
	buffer_load_dword v3, off, s[0:3], s33 offset:160 ; 4-byte Folded Reload
	;; [unrolled: 1-line block ×3, first 2 shown]
	s_waitcnt vmcnt(1)
	v_add_co_u32_e32 v3, vcc, v3, v2
	s_waitcnt vmcnt(0)
	v_addc_co_u32_e32 v4, vcc, 0, v4, vcc
	buffer_store_dword v3, off, s[0:3], s33 offset:160 ; 4-byte Folded Spill
	s_nop 0
	buffer_store_dword v4, off, s[0:3], s33 offset:164 ; 4-byte Folded Spill
	v_cmp_lt_u64_e32 vcc, v[0:1], v[3:4]
	s_and_saveexec_b64 s[88:89], vcc
	s_cbranch_execz .LBB12_1210
; %bb.1202:                             ;   in Loop: Header=BB12_1170 Depth=3
	s_mov_b32 s9, 0
	s_mov_b64 s[90:91], 0
                                        ; implicit-def: $sgpr92_sgpr93
                                        ; implicit-def: $sgpr94_sgpr95
	s_branch .LBB12_1204
.LBB12_1203:                            ;   in Loop: Header=BB12_1204 Depth=4
	s_or_b64 exec, exec, s[34:35]
	s_and_b64 vcc, exec, vcc
	s_or_b64 s[90:91], vcc, s[90:91]
	s_andn2_b64 s[92:93], s[92:93], exec
	s_and_b64 vcc, s[94:95], exec
	s_or_b64 s[92:93], s[92:93], vcc
	s_andn2_b64 exec, exec, s[90:91]
	s_cbranch_execz .LBB12_1208
.LBB12_1204:                            ;   Parent Loop BB12_47 Depth=1
                                        ;     Parent Loop BB12_300 Depth=2
                                        ;       Parent Loop BB12_1170 Depth=3
                                        ; =>      This Inner Loop Header: Depth=4
	s_add_i32 s9, s9, 1
	s_cmpk_lg_i32 s9, 0x2710
	s_cselect_b64 s[30:31], -1, 0
	s_and_b64 vcc, exec, s[30:31]
	s_cbranch_vccz .LBB12_1206
; %bb.1205:                             ;   in Loop: Header=BB12_1204 Depth=4
	s_mov_b64 vcc, -1
	s_or_b64 s[94:95], s[94:95], exec
	s_and_saveexec_b64 s[34:35], s[30:31]
	s_cbranch_execz .LBB12_1203
	s_branch .LBB12_1207
.LBB12_1206:                            ;   in Loop: Header=BB12_1204 Depth=4
	s_trap 2
	ds_read_b64 v[0:1], v0
	s_andn2_b64 s[30:31], s[30:31], exec
	s_mov_b32 s9, 0
	s_waitcnt vmcnt(0) lgkmcnt(0)
	flat_load_dword v0, v[0:1] glc
	s_waitcnt vmcnt(0) lgkmcnt(0)
	buffer_wbinvl1_vol
	v_cmp_eq_u32_e32 vcc, 0, v0
	s_and_b64 vcc, vcc, exec
	s_or_b64 s[30:31], s[30:31], vcc
	s_mov_b64 vcc, -1
	s_or_b64 s[94:95], s[94:95], exec
	s_and_saveexec_b64 s[34:35], s[30:31]
	s_cbranch_execz .LBB12_1203
.LBB12_1207:                            ;   in Loop: Header=BB12_1204 Depth=4
	s_sleep 1
	s_trap 2
	ds_read_b64 v[0:1], v0
	s_waitcnt lgkmcnt(0)
	buffer_load_dword v2, off, s[0:3], s33 offset:160 ; 4-byte Folded Reload
	buffer_load_dword v3, off, s[0:3], s33 offset:164 ; 4-byte Folded Reload
	s_andn2_b64 s[94:95], s[94:95], exec
	s_waitcnt vmcnt(0)
	v_cmp_ge_u64_e32 vcc, v[0:1], v[2:3]
	s_orn2_b64 vcc, vcc, exec
	s_branch .LBB12_1203
.LBB12_1208:                            ;   in Loop: Header=BB12_1170 Depth=3
	s_or_b64 exec, exec, s[90:91]
	s_and_saveexec_b64 s[90:91], s[92:93]
	s_xor_b64 s[90:91], exec, s[90:91]
	s_cbranch_execz .LBB12_1210
; %bb.1209:                             ;   in Loop: Header=BB12_1170 Depth=3
	v_mov_b32_e32 v0, 1
	ds_write_b32 v0, v0
	s_trap 2
.LBB12_1210:                            ;   in Loop: Header=BB12_1170 Depth=3
	s_or_b64 exec, exec, s[88:89]
	;;#ASMSTART
	s_wakeup
	;;#ASMEND
.LBB12_1211:                            ;   in Loop: Header=BB12_1170 Depth=3
	s_or_b64 exec, exec, s[78:79]
.LBB12_1212:                            ;   in Loop: Header=BB12_1170 Depth=3
	s_andn2_saveexec_b64 s[44:45], s[44:45]
	s_cbranch_execz .LBB12_1214
; %bb.1213:                             ;   in Loop: Header=BB12_1170 Depth=3
	s_waitcnt vmcnt(0) lgkmcnt(0)
	buffer_wbinvl1_vol
	s_barrier
.LBB12_1214:                            ;   in Loop: Header=BB12_1170 Depth=3
	s_or_b64 exec, exec, s[44:45]
.LBB12_1215:                            ;   in Loop: Header=BB12_1170 Depth=3
	s_or_b64 exec, exec, s[28:29]
                                        ; implicit-def: $vgpr0
	s_and_saveexec_b64 s[28:29], s[72:73]
	s_xor_b64 s[28:29], exec, s[28:29]
	s_cbranch_execz .LBB12_1227
; %bb.1216:                             ;   in Loop: Header=BB12_1170 Depth=3
	s_and_saveexec_b64 s[44:45], s[58:59]
	s_xor_b64 s[44:45], exec, s[44:45]
	s_cbranch_execz .LBB12_1232
; %bb.1217:                             ;   in Loop: Header=BB12_1170 Depth=3
	s_and_saveexec_b64 s[78:79], s[16:17]
	s_cbranch_execz .LBB12_1231
; %bb.1218:                             ;   in Loop: Header=BB12_1170 Depth=3
	s_mov_b64 s[90:91], exec
	v_mbcnt_lo_u32_b32 v0, s90, 0
	v_mbcnt_hi_u32_b32 v0, s91, v0
	v_cmp_eq_u32_e32 vcc, 0, v0
	;;#ASMSTART
	s_waitcnt lgkmcnt(0) vmcnt(0)
	;;#ASMEND
	s_and_saveexec_b64 s[88:89], vcc
	s_cbranch_execz .LBB12_1220
; %bb.1219:                             ;   in Loop: Header=BB12_1170 Depth=3
	buffer_load_dword v1, off, s[0:3], s33 offset:128 ; 4-byte Folded Reload
	buffer_load_dword v2, off, s[0:3], s33 offset:132 ; 4-byte Folded Reload
	s_bcnt1_i32_b64 s9, s[90:91]
	v_mov_b32_e32 v0, s9
	s_waitcnt vmcnt(0) lgkmcnt(0)
	ds_add_u64 v0, v[0:1]
	s_trap 2
.LBB12_1220:                            ;   in Loop: Header=BB12_1170 Depth=3
	s_or_b64 exec, exec, s[88:89]
	s_trap 2
	ds_read_b64 v[0:1], v0
	s_waitcnt lgkmcnt(0)
	buffer_load_dword v2, off, s[0:3], s33 offset:152 ; 4-byte Folded Reload
	buffer_load_dword v3, off, s[0:3], s33 offset:160 ; 4-byte Folded Reload
	buffer_load_dword v4, off, s[0:3], s33 offset:164 ; 4-byte Folded Reload
	s_waitcnt vmcnt(1)
	v_add_co_u32_e32 v3, vcc, v3, v2
	s_waitcnt vmcnt(0)
	v_addc_co_u32_e32 v4, vcc, 0, v4, vcc
	buffer_store_dword v3, off, s[0:3], s33 offset:160 ; 4-byte Folded Spill
	s_nop 0
	buffer_store_dword v4, off, s[0:3], s33 offset:164 ; 4-byte Folded Spill
	v_cmp_lt_u64_e32 vcc, v[0:1], v[3:4]
	s_and_saveexec_b64 s[88:89], vcc
	s_cbranch_execz .LBB12_1230
; %bb.1221:                             ;   in Loop: Header=BB12_1170 Depth=3
	s_mov_b32 s9, 0
	s_mov_b64 s[90:91], 0
                                        ; implicit-def: $sgpr92_sgpr93
                                        ; implicit-def: $sgpr94_sgpr95
	s_branch .LBB12_1223
.LBB12_1222:                            ;   in Loop: Header=BB12_1223 Depth=4
	s_or_b64 exec, exec, s[34:35]
	s_and_b64 vcc, exec, vcc
	s_or_b64 s[90:91], vcc, s[90:91]
	s_andn2_b64 s[92:93], s[92:93], exec
	s_and_b64 vcc, s[94:95], exec
	s_or_b64 s[92:93], s[92:93], vcc
	s_andn2_b64 exec, exec, s[90:91]
	s_cbranch_execz .LBB12_1228
.LBB12_1223:                            ;   Parent Loop BB12_47 Depth=1
                                        ;     Parent Loop BB12_300 Depth=2
                                        ;       Parent Loop BB12_1170 Depth=3
                                        ; =>      This Inner Loop Header: Depth=4
	s_add_i32 s9, s9, 1
	s_cmpk_lg_i32 s9, 0x2710
	s_cselect_b64 s[30:31], -1, 0
	s_and_b64 vcc, exec, s[30:31]
	s_cbranch_vccz .LBB12_1225
; %bb.1224:                             ;   in Loop: Header=BB12_1223 Depth=4
	s_mov_b64 vcc, -1
	s_or_b64 s[94:95], s[94:95], exec
	s_and_saveexec_b64 s[34:35], s[30:31]
	s_cbranch_execz .LBB12_1222
	s_branch .LBB12_1226
.LBB12_1225:                            ;   in Loop: Header=BB12_1223 Depth=4
	s_trap 2
	ds_read_b64 v[0:1], v0
	s_andn2_b64 s[30:31], s[30:31], exec
	s_mov_b32 s9, 0
	s_waitcnt vmcnt(0) lgkmcnt(0)
	flat_load_dword v0, v[0:1] glc
	s_waitcnt vmcnt(0) lgkmcnt(0)
	buffer_wbinvl1_vol
	v_cmp_eq_u32_e32 vcc, 0, v0
	s_and_b64 vcc, vcc, exec
	s_or_b64 s[30:31], s[30:31], vcc
	s_mov_b64 vcc, -1
	s_or_b64 s[94:95], s[94:95], exec
	s_and_saveexec_b64 s[34:35], s[30:31]
	s_cbranch_execz .LBB12_1222
.LBB12_1226:                            ;   in Loop: Header=BB12_1223 Depth=4
	s_sleep 1
	s_trap 2
	ds_read_b64 v[0:1], v0
	s_waitcnt lgkmcnt(0)
	buffer_load_dword v2, off, s[0:3], s33 offset:160 ; 4-byte Folded Reload
	buffer_load_dword v3, off, s[0:3], s33 offset:164 ; 4-byte Folded Reload
	s_andn2_b64 s[94:95], s[94:95], exec
	s_waitcnt vmcnt(0)
	v_cmp_ge_u64_e32 vcc, v[0:1], v[2:3]
	s_orn2_b64 vcc, vcc, exec
	s_branch .LBB12_1222
.LBB12_1227:                            ;   in Loop: Header=BB12_1170 Depth=3
	s_andn2_saveexec_b64 s[28:29], s[28:29]
	s_cbranch_execnz .LBB12_1235
	s_branch .LBB12_1238
.LBB12_1228:                            ;   in Loop: Header=BB12_1170 Depth=3
	s_or_b64 exec, exec, s[90:91]
	s_and_saveexec_b64 s[90:91], s[92:93]
	s_xor_b64 s[90:91], exec, s[90:91]
	s_cbranch_execz .LBB12_1230
; %bb.1229:                             ;   in Loop: Header=BB12_1170 Depth=3
	v_mov_b32_e32 v0, 1
	ds_write_b32 v0, v0
	s_trap 2
.LBB12_1230:                            ;   in Loop: Header=BB12_1170 Depth=3
	s_or_b64 exec, exec, s[88:89]
	;;#ASMSTART
	s_wakeup
	;;#ASMEND
.LBB12_1231:                            ;   in Loop: Header=BB12_1170 Depth=3
	s_or_b64 exec, exec, s[78:79]
.LBB12_1232:                            ;   in Loop: Header=BB12_1170 Depth=3
	s_andn2_saveexec_b64 s[44:45], s[44:45]
	s_cbranch_execz .LBB12_1234
; %bb.1233:                             ;   in Loop: Header=BB12_1170 Depth=3
	;;#ASMSTART
	s_waitcnt lgkmcnt(0) vmcnt(0)
	;;#ASMEND
	s_waitcnt vmcnt(0) lgkmcnt(0)
	s_barrier
.LBB12_1234:                            ;   in Loop: Header=BB12_1170 Depth=3
	s_or_b64 exec, exec, s[44:45]
	buffer_load_dword v0, off, s[0:3], s33 offset:156 ; 4-byte Folded Reload
	s_waitcnt vmcnt(0)
	v_and_b32_e32 v0, 16, v0
	s_andn2_saveexec_b64 s[28:29], s[28:29]
	s_cbranch_execz .LBB12_1238
.LBB12_1235:                            ;   in Loop: Header=BB12_1170 Depth=3
	s_trap 2
	buffer_load_dword v1, off, s[0:3], s33 offset:156 ; 4-byte Folded Reload
	ds_read_b32 v0, v0
	v_cmp_lt_i32_e32 vcc, 0, v51
	s_waitcnt lgkmcnt(0)
	v_readfirstlane_b32 s9, v0
	s_cmp_eq_u32 s9, 0
	s_cselect_b64 s[44:45], -1, 0
	s_and_b64 s[44:45], vcc, s[44:45]
	s_waitcnt vmcnt(0)
	v_and_b32_e32 v0, 16, v1
	v_and_b32_e32 v1, 16, v1
	v_cmp_ne_u32_e32 vcc, 0, v1
	s_and_b64 s[78:79], vcc, s[44:45]
	s_and_saveexec_b64 s[44:45], s[78:79]
	s_cbranch_execz .LBB12_1237
; %bb.1236:                             ;   in Loop: Header=BB12_1170 Depth=3
	v_mov_b32_e32 v0, 1
	buffer_wbinvl1_vol
.LBB12_1237:                            ;   in Loop: Header=BB12_1170 Depth=3
	s_or_b64 exec, exec, s[44:45]
.LBB12_1238:                            ;   in Loop: Header=BB12_1170 Depth=3
	s_or_b64 exec, exec, s[28:29]
	v_cmp_ne_u32_e32 vcc, 0, v0
	s_xor_b64 s[28:29], s[12:13], -1
	s_and_b64 s[44:45], vcc, s[28:29]
	s_and_saveexec_b64 s[28:29], s[44:45]
	s_cbranch_execz .LBB12_1240
; %bb.1239:                             ;   in Loop: Header=BB12_1170 Depth=3
	buffer_load_dword v0, off, s[0:3], s33 offset:428 ; 4-byte Folded Reload
	buffer_load_dword v1, off, s[0:3], s33 offset:432 ; 4-byte Folded Reload
	v_mov_b32_e32 v2, 1
	s_waitcnt vmcnt(0)
	flat_store_dword v[0:1], v2
.LBB12_1240:                            ;   in Loop: Header=BB12_1170 Depth=3
	s_or_b64 exec, exec, s[28:29]
	buffer_load_dword v0, off, s[0:3], s33 offset:156 ; 4-byte Folded Reload
	s_waitcnt vmcnt(0)
	v_and_b32_e32 v0, 48, v0
	v_cmp_ne_u32_e32 vcc, 0, v0
	s_and_saveexec_b64 s[28:29], vcc
	s_cbranch_execz .LBB12_1169
; %bb.1241:                             ;   in Loop: Header=BB12_1170 Depth=3
	buffer_load_dword v2, off, s[0:3], s33 offset:256 ; 4-byte Folded Reload
	buffer_load_dword v3, off, s[0:3], s33 offset:260 ; 4-byte Folded Reload
	;; [unrolled: 1-line block ×4, first 2 shown]
	s_waitcnt vmcnt(0)
	v_add_co_u32_e32 v2, vcc, 2, v2
	v_addc_co_u32_e32 v3, vcc, 0, v3, vcc
	buffer_store_dword v2, off, s[0:3], s33 offset:256 ; 4-byte Folded Spill
	s_nop 0
	buffer_store_dword v3, off, s[0:3], s33 offset:260 ; 4-byte Folded Spill
	flat_store_dwordx2 v[0:1], v[2:3]
	s_branch .LBB12_1169
.LBB12_1242:                            ;   in Loop: Header=BB12_47 Depth=1
	buffer_load_dword v4, off, s[0:3], s33 offset:564 ; 4-byte Folded Reload
	buffer_load_dword v5, off, s[0:3], s33 offset:568 ; 4-byte Folded Reload
	v_mov_b32_e32 v51, 0
	s_waitcnt vmcnt(0)
	v_mul_lo_u32 v3, v4, s53
	v_mul_lo_u32 v2, v5, s52
	v_mad_u64_u32 v[0:1], s[28:29], v4, s52, 0
	v_add3_u32 v1, v1, v3, v2
	buffer_load_dword v2, off, s[0:3], s33 offset:556 ; 4-byte Folded Reload
	buffer_load_dword v3, off, s[0:3], s33 offset:560 ; 4-byte Folded Reload
	s_waitcnt vmcnt(0)
	v_sub_co_u32_e32 v2, vcc, v2, v0
	v_subb_co_u32_e32 v3, vcc, v3, v1, vcc
	v_cmp_lt_i64_e32 vcc, v[4:5], v[2:3]
	v_cndmask_b32_e32 v3, v2, v4, vcc
	v_max_i32_e32 v48, 0, v3
	v_add_u32_e32 v4, 31, v48
	v_lshrrev_b32_e32 v4, 1, v4
	v_and_b32_e32 v4, 0x3ffffff0, v4
	v_cmp_lt_i32_e32 vcc, 0, v3
	v_mov_b32_e32 v2, 0
	v_max_i32_e32 v49, s70, v4
	s_and_b64 s[28:29], s[74:75], vcc
	s_and_saveexec_b64 s[78:79], s[28:29]
	s_cbranch_execz .LBB12_2872
; %bb.1243:                             ;   in Loop: Header=BB12_47 Depth=1
	buffer_load_dword v2, off, s[0:3], s33 offset:472 ; 4-byte Folded Reload
	buffer_load_dword v3, off, s[0:3], s33 offset:476 ; 4-byte Folded Reload
	s_mov_b32 s47, 1
	s_mov_b64 s[90:91], -1
	v_mov_b32_e32 v51, 0
	s_mov_b64 s[88:89], 0
	s_waitcnt vmcnt(0)
	v_add_co_u32_e32 v0, vcc, v0, v2
	v_addc_co_u32_e32 v1, vcc, v1, v3, vcc
	v_lshlrev_b64 v[0:1], 1, v[0:1]
	buffer_store_dword v0, off, s[0:3], s33 offset:576 ; 4-byte Folded Spill
	s_nop 0
	buffer_store_dword v1, off, s[0:3], s33 offset:580 ; 4-byte Folded Spill
	buffer_store_dword v48, off, s[0:3], s33 offset:592 ; 4-byte Folded Spill
	s_branch .LBB12_1245
.LBB12_1244:                            ;   in Loop: Header=BB12_1245 Depth=2
	s_or_b64 exec, exec, s[28:29]
	v_add_u32_e32 v51, v49, v51
	v_cmp_ge_i32_e32 vcc, v51, v48
	s_xor_b64 s[28:29], s[90:91], -1
	s_or_b64 s[28:29], s[28:29], vcc
	s_and_b64 s[28:29], exec, s[28:29]
	s_or_b64 s[88:89], s[28:29], s[88:89]
	s_mov_b64 s[90:91], 0
	v_mov_b32_e32 v2, s47
	s_mov_b32 s47, 2
	s_andn2_b64 exec, exec, s[88:89]
	s_cbranch_execz .LBB12_2947
.LBB12_1245:                            ;   Parent Loop BB12_47 Depth=1
                                        ; =>  This Loop Header: Depth=2
                                        ;       Child Loop BB12_1253 Depth 3
                                        ;       Child Loop BB12_1281 Depth 3
	;; [unrolled: 1-line block ×5, first 2 shown]
                                        ;         Child Loop BB12_1724 Depth 4
                                        ;         Child Loop BB12_1759 Depth 4
	;; [unrolled: 1-line block ×4, first 2 shown]
                                        ;       Child Loop BB12_1835 Depth 3
                                        ;       Child Loop BB12_1843 Depth 3
	;; [unrolled: 1-line block ×3, first 2 shown]
                                        ;         Child Loop BB12_2049 Depth 4
                                        ;         Child Loop BB12_2056 Depth 4
	;; [unrolled: 1-line block ×4, first 2 shown]
                                        ;       Child Loop BB12_2075 Depth 3
                                        ;       Child Loop BB12_2087 Depth 3
	;; [unrolled: 1-line block ×3, first 2 shown]
                                        ;         Child Loop BB12_2488 Depth 4
                                        ;         Child Loop BB12_2525 Depth 4
                                        ;       Child Loop BB12_2602 Depth 3
                                        ;       Child Loop BB12_2805 Depth 3
                                        ;         Child Loop BB12_2806 Depth 4
                                        ;         Child Loop BB12_2815 Depth 4
                                        ;       Child Loop BB12_2834 Depth 3
                                        ;       Child Loop BB12_2857 Depth 3
	s_and_saveexec_b64 s[28:29], s[4:5]
	s_cbranch_execz .LBB12_1247
; %bb.1246:                             ;   in Loop: Header=BB12_1245 Depth=2
	s_trap 2
	ds_read2_b64 v[0:3], v0 offset1:1
	buffer_load_dword v6, off, s[0:3], s33 offset:576 ; 4-byte Folded Reload
	buffer_load_dword v7, off, s[0:3], s33 offset:580 ; 4-byte Folded Reload
	v_ashrrev_i32_e32 v52, 31, v51
	s_waitcnt vmcnt(0) lgkmcnt(0)
	v_add_co_u32_e32 v4, vcc, v0, v6
	v_addc_co_u32_e32 v5, vcc, v1, v7, vcc
	v_lshlrev_b64 v[0:1], 1, v[51:52]
	v_add_co_u32_e32 v4, vcc, v4, v0
	v_addc_co_u32_e32 v5, vcc, v5, v1, vcc
	v_add_co_u32_e32 v2, vcc, v2, v6
	v_addc_co_u32_e32 v3, vcc, v3, v7, vcc
	;; [unrolled: 2-line block ×3, first 2 shown]
	ds_write_b64 v0, v[2:3]
	ds_read_b64 v[2:3], v0
	ds_write_b64 v0, v[4:5]
	s_waitcnt lgkmcnt(1)
	v_add_co_u32_e32 v4, vcc, v2, v6
	v_addc_co_u32_e32 v5, vcc, v3, v7, vcc
	v_add_co_u32_e32 v0, vcc, v4, v0
	v_addc_co_u32_e32 v1, vcc, v5, v1, vcc
	v_cmp_ne_u64_e32 vcc, 0, v[2:3]
	v_cndmask_b32_e32 v1, 0, v1, vcc
	v_cndmask_b32_e32 v0, 0, v0, vcc
	ds_write_b64 v0, v[0:1]
.LBB12_1247:                            ;   in Loop: Header=BB12_1245 Depth=2
	s_or_b64 exec, exec, s[28:29]
	v_sub_u32_e32 v0, v48, v51
	v_min_i32_e32 v49, v49, v0
	buffer_load_dword v0, off, s[0:3], s33 offset:156 ; 4-byte Folded Reload
	s_waitcnt vmcnt(0)
	v_and_b32_e32 v0, 12, v0
	v_cmp_ne_u32_e32 vcc, 0, v0
	s_and_saveexec_b64 s[40:41], vcc
	s_cbranch_execz .LBB12_1273
; %bb.1248:                             ;   in Loop: Header=BB12_1245 Depth=2
	buffer_load_dword v0, off, s[0:3], s33 offset:156 ; 4-byte Folded Reload
	s_waitcnt vmcnt(0)
	v_and_b32_e32 v6, 8, v0
	buffer_load_dword v0, off, s[0:3], s33 offset:136 ; 4-byte Folded Reload
	buffer_load_dword v1, off, s[0:3], s33 offset:140 ; 4-byte Folded Reload
	s_waitcnt vmcnt(0)
	v_add_co_u32_e32 v2, vcc, v0, v6
	v_addc_co_u32_e32 v3, vcc, 0, v1, vcc
	buffer_load_dword v0, off, s[0:3], s33 offset:256 ; 4-byte Folded Reload
	buffer_load_dword v1, off, s[0:3], s33 offset:260 ; 4-byte Folded Reload
	s_waitcnt vmcnt(0)
	v_add_co_u32_e32 v0, vcc, 2, v0
	v_addc_co_u32_e32 v1, vcc, 0, v1, vcc
	v_cmp_lt_u64_e32 vcc, v[2:3], v[0:1]
	s_and_saveexec_b64 s[42:43], vcc
	s_cbranch_execz .LBB12_1260
; %bb.1249:                             ;   in Loop: Header=BB12_1245 Depth=2
	buffer_load_dword v2, off, s[0:3], s33 offset:156 ; 4-byte Folded Reload
	s_mov_b32 s9, 0
	s_mov_b64 s[44:45], 0
                                        ; implicit-def: $sgpr92_sgpr93
                                        ; implicit-def: $sgpr94_sgpr95
                                        ; implicit-def: $sgpr30_sgpr31
	s_waitcnt vmcnt(0)
	v_and_b32_e32 v2, 64, v2
	v_cmp_eq_u32_e32 vcc, 0, v2
	s_branch .LBB12_1253
.LBB12_1250:                            ;   in Loop: Header=BB12_1253 Depth=3
	buffer_load_dword v3, off, s[0:3], s33 offset:136 ; 4-byte Folded Reload
	buffer_load_dword v4, off, s[0:3], s33 offset:140 ; 4-byte Folded Reload
	s_or_b64 s[38:39], s[38:39], exec
	s_waitcnt vmcnt(1)
	v_add_co_u32_e64 v3, s[28:29], v3, v6
	s_waitcnt vmcnt(0)
	v_addc_co_u32_e64 v4, s[28:29], 0, v4, s[28:29]
	v_cmp_ge_u64_e64 s[28:29], v[3:4], v[0:1]
	s_orn2_b64 s[36:37], s[28:29], exec
.LBB12_1251:                            ;   in Loop: Header=BB12_1253 Depth=3
	s_or_b64 exec, exec, s[50:51]
	s_andn2_b64 s[28:29], s[30:31], exec
	s_and_b64 s[30:31], s[38:39], exec
	s_or_b64 s[30:31], s[28:29], s[30:31]
	s_andn2_b64 s[28:29], s[94:95], exec
	s_and_b64 s[94:95], s[36:37], exec
	s_or_b64 s[94:95], s[28:29], s[94:95]
.LBB12_1252:                            ;   in Loop: Header=BB12_1253 Depth=3
	s_or_b64 exec, exec, s[34:35]
	s_and_b64 s[28:29], exec, s[94:95]
	s_or_b64 s[44:45], s[28:29], s[44:45]
	s_andn2_b64 s[28:29], s[92:93], exec
	s_and_b64 s[92:93], s[30:31], exec
	s_or_b64 s[92:93], s[28:29], s[92:93]
	s_andn2_b64 exec, exec, s[44:45]
	s_cbranch_execz .LBB12_1257
.LBB12_1253:                            ;   Parent Loop BB12_47 Depth=1
                                        ;     Parent Loop BB12_1245 Depth=2
                                        ; =>    This Inner Loop Header: Depth=3
	s_sleep 1
	buffer_load_dword v2, off, s[0:3], s33 offset:144 ; 4-byte Folded Reload
	buffer_load_dword v3, off, s[0:3], s33 offset:148 ; 4-byte Folded Reload
	s_or_b64 s[30:31], s[30:31], exec
	s_or_b64 s[94:95], s[94:95], exec
	s_waitcnt vmcnt(0)
	flat_load_dwordx2 v[2:3], v[2:3] glc
	s_waitcnt vmcnt(0) lgkmcnt(0)
	buffer_store_dword v2, off, s[0:3], s33 offset:136 ; 4-byte Folded Spill
	s_nop 0
	buffer_store_dword v3, off, s[0:3], s33 offset:140 ; 4-byte Folded Spill
                                        ; implicit-def: $vgpr2
	s_and_saveexec_b64 s[34:35], vcc
	s_cbranch_execz .LBB12_1252
; %bb.1254:                             ;   in Loop: Header=BB12_1253 Depth=3
	s_cmpk_lt_i32 s9, 0x270f
	s_cselect_b64 s[48:49], -1, 0
	s_cmpk_gt_i32 s9, 0x270e
	s_mov_b64 s[36:37], -1
	s_cbranch_scc0 .LBB12_1256
; %bb.1255:                             ;   in Loop: Header=BB12_1253 Depth=3
	s_trap 2
	ds_read_b64 v[2:3], v0
	s_andn2_b64 s[48:49], s[48:49], exec
	s_mov_b32 s9, 0
	s_mov_b64 s[38:39], 0
	s_waitcnt vmcnt(0) lgkmcnt(0)
	flat_load_dword v2, v[2:3] glc
	s_waitcnt vmcnt(0) lgkmcnt(0)
	buffer_wbinvl1_vol
	v_cmp_eq_u32_e64 s[28:29], 0, v2
	s_and_b64 s[28:29], s[28:29], exec
	s_or_b64 s[48:49], s[48:49], s[28:29]
	s_and_saveexec_b64 s[50:51], s[48:49]
	s_cbranch_execz .LBB12_1251
	s_branch .LBB12_1250
.LBB12_1256:                            ;   in Loop: Header=BB12_1253 Depth=3
	s_add_i32 s9, s9, 1
	s_mov_b64 s[38:39], -1
                                        ; implicit-def: $vgpr2
	s_and_saveexec_b64 s[50:51], s[48:49]
	s_cbranch_execz .LBB12_1251
	s_branch .LBB12_1250
.LBB12_1257:                            ;   in Loop: Header=BB12_1245 Depth=2
	s_or_b64 exec, exec, s[44:45]
	s_xor_b64 s[28:29], s[92:93], -1
	s_and_saveexec_b64 s[44:45], s[28:29]
	s_xor_b64 s[28:29], exec, s[44:45]
	s_cbranch_execz .LBB12_1259
; %bb.1258:                             ;   in Loop: Header=BB12_1245 Depth=2
	ds_write_b32 v0, v2
	s_trap 2
	buffer_load_dword v2, off, s[0:3], s33 offset:156 ; 4-byte Folded Reload
	s_waitcnt vmcnt(0)
	v_or_b32_e32 v2, 64, v2
	buffer_store_dword v2, off, s[0:3], s33 offset:156 ; 4-byte Folded Spill
.LBB12_1259:                            ;   in Loop: Header=BB12_1245 Depth=2
	s_or_b64 exec, exec, s[28:29]
.LBB12_1260:                            ;   in Loop: Header=BB12_1245 Depth=2
	s_or_b64 exec, exec, s[42:43]
	;;#ASMSTART
	s_wakeup
	;;#ASMEND
	buffer_load_dword v2, off, s[0:3], s33 offset:156 ; 4-byte Folded Reload
	s_waitcnt vmcnt(0)
	v_and_b32_e32 v2, 0x108, v2
	v_cmp_ne_u32_e32 vcc, s97, v2
	buffer_load_dword v2, off, s[0:3], s33 offset:256 ; 4-byte Folded Reload
	buffer_load_dword v3, off, s[0:3], s33 offset:260 ; 4-byte Folded Reload
	s_waitcnt vmcnt(0)
	v_and_b32_e32 v7, 7, v2
	s_and_saveexec_b64 s[28:29], vcc
	s_xor_b64 s[28:29], exec, s[28:29]
                                        ; implicit-def: $vgpr8
	s_cbranch_execz .LBB12_1262
; %bb.1261:                             ;   in Loop: Header=BB12_1245 Depth=2
	buffer_load_dword v2, off, s[0:3], s33 offset:128 ; 4-byte Folded Reload
	buffer_load_dword v3, off, s[0:3], s33 offset:132 ; 4-byte Folded Reload
	s_waitcnt vmcnt(0)
	v_mov_b32_e32 v8, v2
.LBB12_1262:                            ;   in Loop: Header=BB12_1245 Depth=2
	s_andn2_saveexec_b64 s[28:29], s[28:29]
	s_cbranch_execz .LBB12_1264
; %bb.1263:                             ;   in Loop: Header=BB12_1245 Depth=2
	buffer_load_dword v2, off, s[0:3], s33 offset:412 ; 4-byte Folded Reload
	buffer_load_dword v3, off, s[0:3], s33 offset:416 ; 4-byte Folded Reload
	;; [unrolled: 1-line block ×6, first 2 shown]
	v_ashrrev_i32_e32 v50, 31, v49
	s_waitcnt vmcnt(0)
	v_lshlrev_b64 v[4:5], 1, v[49:50]
	v_mad_u64_u32 v[2:3], s[42:43], v7, 24, v[2:3]
	flat_store_dwordx2 v[2:3], v[4:5] offset:8
.LBB12_1264:                            ;   in Loop: Header=BB12_1245 Depth=2
	s_or_b64 exec, exec, s[28:29]
	buffer_load_dword v2, off, s[0:3], s33 offset:156 ; 4-byte Folded Reload
	s_mov_b64 s[28:29], -1
	s_waitcnt vmcnt(0)
	v_and_b32_e32 v2, 0x100, v2
	v_cmp_ne_u32_e32 vcc, 0, v2
                                        ; implicit-def: $vgpr2_vgpr3
	s_and_saveexec_b64 s[42:43], vcc
	s_cbranch_execz .LBB12_1268
; %bb.1265:                             ;   in Loop: Header=BB12_1245 Depth=2
	buffer_load_dword v2, off, s[0:3], s33 offset:412 ; 4-byte Folded Reload
	buffer_load_dword v3, off, s[0:3], s33 offset:416 ; 4-byte Folded Reload
	;; [unrolled: 1-line block ×4, first 2 shown]
	s_waitcnt vmcnt(0)
	v_mad_u64_u32 v[4:5], s[28:29], v7, 24, v[2:3]
	v_mov_b32_e32 v2, v5
	v_mad_u64_u32 v[2:3], s[28:29], v8, 24, v[2:3]
	v_mov_b32_e32 v5, v2
	flat_load_dword v2, v[4:5]
	s_waitcnt vmcnt(0) lgkmcnt(0)
	v_cmp_ne_u32_e32 vcc, 1, v2
	v_cmp_eq_u32_e64 s[28:29], 1, v2
                                        ; implicit-def: $vgpr2_vgpr3
	s_and_saveexec_b64 s[44:45], s[28:29]
	s_cbranch_execz .LBB12_1267
; %bb.1266:                             ;   in Loop: Header=BB12_1245 Depth=2
	flat_load_dword v2, v[4:5] offset:4 glc
	s_waitcnt vmcnt(0) lgkmcnt(0)
	v_ashrrev_i32_e32 v3, 31, v2
	v_lshrrev_b64 v[2:3], 1, v[2:3]
.LBB12_1267:                            ;   in Loop: Header=BB12_1245 Depth=2
	s_or_b64 exec, exec, s[44:45]
	s_orn2_b64 s[28:29], vcc, exec
.LBB12_1268:                            ;   in Loop: Header=BB12_1245 Depth=2
	s_or_b64 exec, exec, s[42:43]
	s_and_saveexec_b64 s[42:43], s[28:29]
	s_cbranch_execz .LBB12_1270
; %bb.1269:                             ;   in Loop: Header=BB12_1245 Depth=2
	buffer_load_dword v2, off, s[0:3], s33 offset:436 ; 4-byte Folded Reload
	buffer_load_dword v3, off, s[0:3], s33 offset:440 ; 4-byte Folded Reload
	s_waitcnt vmcnt(0)
	v_mul_lo_u32 v4, v8, v2
	v_mul_lo_u32 v5, v7, v3
	v_mad_u64_u32 v[2:3], s[28:29], v7, v2, 0
	v_add3_u32 v3, v3, v5, v4
.LBB12_1270:                            ;   in Loop: Header=BB12_1245 Depth=2
	s_or_b64 exec, exec, s[42:43]
	v_cmp_eq_u32_e32 vcc, 0, v6
	v_mov_b32_e32 v4, 0x90
	v_mov_b32_e32 v5, 0xd0
	v_cndmask_b32_e32 v4, v5, v4, vcc
	buffer_load_dword v5, off, s[0:3], s33 offset:404 ; 4-byte Folded Reload
	buffer_load_dword v6, off, s[0:3], s33 offset:408 ; 4-byte Folded Reload
	v_lshlrev_b64 v[2:3], 1, v[2:3]
	v_add_u32_e32 v4, v0, v4
	s_waitcnt vmcnt(0)
	v_add_co_u32_e32 v2, vcc, v5, v2
	v_addc_co_u32_e32 v3, vcc, v6, v3, vcc
	ds_write_b64 v4, v[2:3] offset:584
	buffer_load_dword v2, off, s[0:3], s33 offset:156 ; 4-byte Folded Reload
	s_waitcnt vmcnt(0)
	v_and_b32_e32 v2, 0x2000, v2
	v_cmp_ne_u32_e32 vcc, 0, v2
	s_and_saveexec_b64 s[28:29], vcc
	s_cbranch_execz .LBB12_1272
; %bb.1271:                             ;   in Loop: Header=BB12_1245 Depth=2
	ds_read_b64 v[2:3], v0 offset:872
	s_waitcnt lgkmcnt(0)
	v_add_co_u32_e32 v2, vcc, 1, v2
	v_addc_co_u32_e32 v3, vcc, 0, v3, vcc
	ds_write_b64 v0, v[2:3] offset:872
.LBB12_1272:                            ;   in Loop: Header=BB12_1245 Depth=2
	s_or_b64 exec, exec, s[28:29]
	buffer_store_dword v0, off, s[0:3], s33 offset:256 ; 4-byte Folded Spill
	s_nop 0
	buffer_store_dword v1, off, s[0:3], s33 offset:260 ; 4-byte Folded Spill
.LBB12_1273:                            ;   in Loop: Header=BB12_1245 Depth=2
	s_or_b64 exec, exec, s[40:41]
	s_and_saveexec_b64 s[28:29], s[10:11]
	s_cbranch_execz .LBB12_1292
; %bb.1274:                             ;   in Loop: Header=BB12_1245 Depth=2
	s_and_saveexec_b64 s[40:41], s[58:59]
	s_xor_b64 s[40:41], exec, s[40:41]
	s_cbranch_execz .LBB12_1289
; %bb.1275:                             ;   in Loop: Header=BB12_1245 Depth=2
	s_and_saveexec_b64 s[42:43], s[16:17]
	s_cbranch_execz .LBB12_1288
; %bb.1276:                             ;   in Loop: Header=BB12_1245 Depth=2
	s_mov_b64 s[92:93], exec
	v_mbcnt_lo_u32_b32 v0, s92, 0
	v_mbcnt_hi_u32_b32 v0, s93, v0
	v_cmp_eq_u32_e32 vcc, 0, v0
	s_waitcnt vmcnt(0) lgkmcnt(0)
	buffer_wbinvl1_vol
	s_and_saveexec_b64 s[44:45], vcc
	s_cbranch_execz .LBB12_1278
; %bb.1277:                             ;   in Loop: Header=BB12_1245 Depth=2
	buffer_load_dword v1, off, s[0:3], s33 offset:128 ; 4-byte Folded Reload
	buffer_load_dword v2, off, s[0:3], s33 offset:132 ; 4-byte Folded Reload
	s_bcnt1_i32_b64 s9, s[92:93]
	v_mov_b32_e32 v0, s9
	s_waitcnt vmcnt(1)
	ds_add_u64 v0, v[0:1]
	s_trap 2
.LBB12_1278:                            ;   in Loop: Header=BB12_1245 Depth=2
	s_or_b64 exec, exec, s[44:45]
	s_trap 2
	ds_read_b64 v[0:1], v0
	s_waitcnt lgkmcnt(0)
	buffer_load_dword v2, off, s[0:3], s33 offset:152 ; 4-byte Folded Reload
	buffer_load_dword v3, off, s[0:3], s33 offset:160 ; 4-byte Folded Reload
	;; [unrolled: 1-line block ×3, first 2 shown]
	s_waitcnt vmcnt(1)
	v_add_co_u32_e32 v3, vcc, v3, v2
	s_waitcnt vmcnt(0)
	v_addc_co_u32_e32 v4, vcc, 0, v4, vcc
	buffer_store_dword v3, off, s[0:3], s33 offset:160 ; 4-byte Folded Spill
	s_nop 0
	buffer_store_dword v4, off, s[0:3], s33 offset:164 ; 4-byte Folded Spill
	v_cmp_lt_u64_e32 vcc, v[0:1], v[3:4]
	s_and_saveexec_b64 s[44:45], vcc
	s_cbranch_execz .LBB12_1287
; %bb.1279:                             ;   in Loop: Header=BB12_1245 Depth=2
	s_mov_b32 s9, 0
	s_mov_b64 s[92:93], 0
                                        ; implicit-def: $sgpr94_sgpr95
                                        ; implicit-def: $sgpr30_sgpr31
	s_branch .LBB12_1281
.LBB12_1280:                            ;   in Loop: Header=BB12_1281 Depth=3
	s_or_b64 exec, exec, s[36:37]
	s_and_b64 vcc, exec, vcc
	s_or_b64 s[92:93], vcc, s[92:93]
	s_andn2_b64 s[94:95], s[94:95], exec
	s_and_b64 vcc, s[30:31], exec
	s_or_b64 s[94:95], s[94:95], vcc
	s_andn2_b64 exec, exec, s[92:93]
	s_cbranch_execz .LBB12_1285
.LBB12_1281:                            ;   Parent Loop BB12_47 Depth=1
                                        ;     Parent Loop BB12_1245 Depth=2
                                        ; =>    This Inner Loop Header: Depth=3
	s_add_i32 s9, s9, 1
	s_cmpk_lg_i32 s9, 0x2710
	s_cselect_b64 s[34:35], -1, 0
	s_and_b64 vcc, exec, s[34:35]
	s_cbranch_vccz .LBB12_1283
; %bb.1282:                             ;   in Loop: Header=BB12_1281 Depth=3
	s_mov_b64 vcc, -1
	s_or_b64 s[30:31], s[30:31], exec
	s_and_saveexec_b64 s[36:37], s[34:35]
	s_cbranch_execz .LBB12_1280
	s_branch .LBB12_1284
.LBB12_1283:                            ;   in Loop: Header=BB12_1281 Depth=3
	s_trap 2
	ds_read_b64 v[0:1], v0
	s_andn2_b64 s[34:35], s[34:35], exec
	s_mov_b32 s9, 0
	s_waitcnt vmcnt(0) lgkmcnt(0)
	flat_load_dword v0, v[0:1] glc
	s_waitcnt vmcnt(0) lgkmcnt(0)
	buffer_wbinvl1_vol
	v_cmp_eq_u32_e32 vcc, 0, v0
	s_and_b64 vcc, vcc, exec
	s_or_b64 s[34:35], s[34:35], vcc
	s_mov_b64 vcc, -1
	s_or_b64 s[30:31], s[30:31], exec
	s_and_saveexec_b64 s[36:37], s[34:35]
	s_cbranch_execz .LBB12_1280
.LBB12_1284:                            ;   in Loop: Header=BB12_1281 Depth=3
	s_sleep 1
	s_trap 2
	ds_read_b64 v[0:1], v0
	s_waitcnt lgkmcnt(0)
	buffer_load_dword v2, off, s[0:3], s33 offset:160 ; 4-byte Folded Reload
	buffer_load_dword v3, off, s[0:3], s33 offset:164 ; 4-byte Folded Reload
	s_andn2_b64 s[30:31], s[30:31], exec
	s_waitcnt vmcnt(0)
	v_cmp_ge_u64_e32 vcc, v[0:1], v[2:3]
	s_orn2_b64 vcc, vcc, exec
	s_branch .LBB12_1280
.LBB12_1285:                            ;   in Loop: Header=BB12_1245 Depth=2
	s_or_b64 exec, exec, s[92:93]
	s_and_saveexec_b64 s[92:93], s[94:95]
	s_xor_b64 s[92:93], exec, s[92:93]
	s_cbranch_execz .LBB12_1287
; %bb.1286:                             ;   in Loop: Header=BB12_1245 Depth=2
	v_mov_b32_e32 v0, 1
	ds_write_b32 v0, v0
	s_trap 2
.LBB12_1287:                            ;   in Loop: Header=BB12_1245 Depth=2
	s_or_b64 exec, exec, s[44:45]
	;;#ASMSTART
	s_wakeup
	;;#ASMEND
.LBB12_1288:                            ;   in Loop: Header=BB12_1245 Depth=2
	s_or_b64 exec, exec, s[42:43]
.LBB12_1289:                            ;   in Loop: Header=BB12_1245 Depth=2
	s_andn2_saveexec_b64 s[40:41], s[40:41]
	s_cbranch_execz .LBB12_1291
; %bb.1290:                             ;   in Loop: Header=BB12_1245 Depth=2
	s_waitcnt vmcnt(0) lgkmcnt(0)
	buffer_wbinvl1_vol
	s_barrier
.LBB12_1291:                            ;   in Loop: Header=BB12_1245 Depth=2
	s_or_b64 exec, exec, s[40:41]
.LBB12_1292:                            ;   in Loop: Header=BB12_1245 Depth=2
	s_or_b64 exec, exec, s[28:29]
	s_trap 2
	buffer_load_dword v1, off, s[0:3], s33 offset:156 ; 4-byte Folded Reload
	ds_read_b32 v0, v0
	s_xor_b64 s[28:29], s[6:7], -1
	s_waitcnt vmcnt(0)
	v_and_b32_e32 v1, 0x4000, v1
	v_cmp_ne_u32_e32 vcc, 0, v1
	s_and_b64 s[40:41], s[28:29], vcc
	s_and_saveexec_b64 s[28:29], s[40:41]
	s_cbranch_execz .LBB12_1311
; %bb.1293:                             ;   in Loop: Header=BB12_1245 Depth=2
	s_and_saveexec_b64 s[40:41], s[58:59]
	s_xor_b64 s[40:41], exec, s[40:41]
	s_cbranch_execz .LBB12_1308
; %bb.1294:                             ;   in Loop: Header=BB12_1245 Depth=2
	s_and_saveexec_b64 s[42:43], s[16:17]
	s_cbranch_execz .LBB12_1307
; %bb.1295:                             ;   in Loop: Header=BB12_1245 Depth=2
	s_mov_b64 s[92:93], exec
	v_mbcnt_lo_u32_b32 v1, s92, 0
	v_mbcnt_hi_u32_b32 v1, s93, v1
	v_cmp_eq_u32_e32 vcc, 0, v1
	s_waitcnt lgkmcnt(0)
	buffer_wbinvl1_vol
	s_and_saveexec_b64 s[44:45], vcc
	s_cbranch_execz .LBB12_1297
; %bb.1296:                             ;   in Loop: Header=BB12_1245 Depth=2
	buffer_load_dword v2, off, s[0:3], s33 offset:128 ; 4-byte Folded Reload
	buffer_load_dword v3, off, s[0:3], s33 offset:132 ; 4-byte Folded Reload
	s_bcnt1_i32_b64 s9, s[92:93]
	v_mov_b32_e32 v1, s9
	s_waitcnt vmcnt(1)
	ds_add_u64 v0, v[1:2]
	s_trap 2
.LBB12_1297:                            ;   in Loop: Header=BB12_1245 Depth=2
	s_or_b64 exec, exec, s[44:45]
	s_trap 2
	ds_read_b64 v[1:2], v0
	s_waitcnt lgkmcnt(0)
	buffer_load_dword v3, off, s[0:3], s33 offset:152 ; 4-byte Folded Reload
	buffer_load_dword v4, off, s[0:3], s33 offset:160 ; 4-byte Folded Reload
	;; [unrolled: 1-line block ×3, first 2 shown]
	s_waitcnt vmcnt(1)
	v_add_co_u32_e32 v4, vcc, v4, v3
	s_waitcnt vmcnt(0)
	v_addc_co_u32_e32 v5, vcc, 0, v5, vcc
	buffer_store_dword v4, off, s[0:3], s33 offset:160 ; 4-byte Folded Spill
	s_nop 0
	buffer_store_dword v5, off, s[0:3], s33 offset:164 ; 4-byte Folded Spill
	v_cmp_lt_u64_e32 vcc, v[1:2], v[4:5]
	s_and_saveexec_b64 s[44:45], vcc
	s_cbranch_execz .LBB12_1306
; %bb.1298:                             ;   in Loop: Header=BB12_1245 Depth=2
	s_mov_b32 s9, 0
	s_mov_b64 s[92:93], 0
                                        ; implicit-def: $sgpr94_sgpr95
                                        ; implicit-def: $sgpr30_sgpr31
	s_branch .LBB12_1300
.LBB12_1299:                            ;   in Loop: Header=BB12_1300 Depth=3
	s_or_b64 exec, exec, s[36:37]
	s_and_b64 vcc, exec, vcc
	s_or_b64 s[92:93], vcc, s[92:93]
	s_andn2_b64 s[94:95], s[94:95], exec
	s_and_b64 vcc, s[30:31], exec
	s_or_b64 s[94:95], s[94:95], vcc
	s_andn2_b64 exec, exec, s[92:93]
	s_cbranch_execz .LBB12_1304
.LBB12_1300:                            ;   Parent Loop BB12_47 Depth=1
                                        ;     Parent Loop BB12_1245 Depth=2
                                        ; =>    This Inner Loop Header: Depth=3
	s_add_i32 s9, s9, 1
	s_cmpk_lg_i32 s9, 0x2710
	s_cselect_b64 s[34:35], -1, 0
	s_and_b64 vcc, exec, s[34:35]
	s_cbranch_vccz .LBB12_1302
; %bb.1301:                             ;   in Loop: Header=BB12_1300 Depth=3
	s_mov_b64 vcc, -1
	s_or_b64 s[30:31], s[30:31], exec
	s_and_saveexec_b64 s[36:37], s[34:35]
	s_cbranch_execz .LBB12_1299
	s_branch .LBB12_1303
.LBB12_1302:                            ;   in Loop: Header=BB12_1300 Depth=3
	s_trap 2
	ds_read_b64 v[1:2], v0
	s_andn2_b64 s[34:35], s[34:35], exec
	s_mov_b32 s9, 0
	s_waitcnt vmcnt(0) lgkmcnt(0)
	flat_load_dword v1, v[1:2] glc
	s_waitcnt vmcnt(0) lgkmcnt(0)
	buffer_wbinvl1_vol
	v_cmp_eq_u32_e32 vcc, 0, v1
	s_and_b64 vcc, vcc, exec
	s_or_b64 s[34:35], s[34:35], vcc
	s_mov_b64 vcc, -1
	s_or_b64 s[30:31], s[30:31], exec
	s_and_saveexec_b64 s[36:37], s[34:35]
	s_cbranch_execz .LBB12_1299
.LBB12_1303:                            ;   in Loop: Header=BB12_1300 Depth=3
	s_sleep 1
	s_trap 2
	ds_read_b64 v[1:2], v0
	s_waitcnt lgkmcnt(0)
	buffer_load_dword v3, off, s[0:3], s33 offset:160 ; 4-byte Folded Reload
	buffer_load_dword v4, off, s[0:3], s33 offset:164 ; 4-byte Folded Reload
	s_andn2_b64 s[30:31], s[30:31], exec
	s_waitcnt vmcnt(0)
	v_cmp_ge_u64_e32 vcc, v[1:2], v[3:4]
	s_orn2_b64 vcc, vcc, exec
	s_branch .LBB12_1299
.LBB12_1304:                            ;   in Loop: Header=BB12_1245 Depth=2
	s_or_b64 exec, exec, s[92:93]
	s_and_saveexec_b64 s[92:93], s[94:95]
	s_xor_b64 s[92:93], exec, s[92:93]
	s_cbranch_execz .LBB12_1306
; %bb.1305:                             ;   in Loop: Header=BB12_1245 Depth=2
	v_mov_b32_e32 v1, 1
	ds_write_b32 v0, v1
	s_trap 2
.LBB12_1306:                            ;   in Loop: Header=BB12_1245 Depth=2
	s_or_b64 exec, exec, s[44:45]
	;;#ASMSTART
	s_wakeup
	;;#ASMEND
.LBB12_1307:                            ;   in Loop: Header=BB12_1245 Depth=2
	s_or_b64 exec, exec, s[42:43]
.LBB12_1308:                            ;   in Loop: Header=BB12_1245 Depth=2
	s_andn2_saveexec_b64 s[40:41], s[40:41]
	s_cbranch_execz .LBB12_1310
; %bb.1309:                             ;   in Loop: Header=BB12_1245 Depth=2
	s_waitcnt vmcnt(0) lgkmcnt(0)
	buffer_wbinvl1_vol
	s_barrier
.LBB12_1310:                            ;   in Loop: Header=BB12_1245 Depth=2
	s_or_b64 exec, exec, s[40:41]
.LBB12_1311:                            ;   in Loop: Header=BB12_1245 Depth=2
	s_or_b64 exec, exec, s[28:29]
	s_trap 2
	s_waitcnt lgkmcnt(0)
	ds_read_b64 v[1:2], v0
	s_waitcnt lgkmcnt(0)
	buffer_store_dword v1, off, s[0:3], s33 offset:500 ; 4-byte Folded Spill
	s_nop 0
	buffer_store_dword v2, off, s[0:3], s33 offset:504 ; 4-byte Folded Spill
	v_cmp_eq_u64_e32 vcc, 0, v[1:2]
	s_cbranch_vccnz .LBB12_1585
; %bb.1312:                             ;   in Loop: Header=BB12_1245 Depth=2
	s_trap 2
	ds_read_b64 v[52:53], v0
	s_waitcnt lgkmcnt(0)
	v_cmp_eq_u64_e32 vcc, 0, v[52:53]
	s_cbranch_vccnz .LBB12_1585
; %bb.1313:                             ;   in Loop: Header=BB12_1245 Depth=2
	s_trap 2
	ds_read_b64 v[31:32], v0
	v_cmp_eq_u32_e32 vcc, 0, v0
	v_cndmask_b32_e32 v54, 0, v49, vcc
	v_lshlrev_b32_e32 v50, 1, v54
	s_mov_b64 s[28:29], -1
	s_waitcnt lgkmcnt(0)
	v_cmp_ne_u64_e32 vcc, 0, v[31:32]
	v_readfirstlane_b32 s77, v31
	s_cbranch_vccz .LBB12_2077
; %bb.1314:                             ;   in Loop: Header=BB12_1245 Depth=2
	s_and_saveexec_b64 s[40:41], s[22:23]
	s_cbranch_execz .LBB12_1316
; %bb.1315:                             ;   in Loop: Header=BB12_1245 Depth=2
	ds_read_b32 v0, v0 offset:720
	s_waitcnt lgkmcnt(0)
	v_and_b32_e32 v0, 15, v0
	v_cmp_eq_u32_e32 vcc, 0, v0
	s_orn2_b64 s[28:29], vcc, exec
.LBB12_1316:                            ;   in Loop: Header=BB12_1245 Depth=2
	s_or_b64 exec, exec, s[40:41]
	s_and_saveexec_b64 s[40:41], s[22:23]
	s_cbranch_execz .LBB12_1318
; %bb.1317:                             ;   in Loop: Header=BB12_1245 Depth=2
	ds_read_b32 v0, v0 offset:784
	s_waitcnt lgkmcnt(0)
	v_and_b32_e32 v0, 15, v0
	v_cmp_eq_u32_e32 vcc, 0, v0
	s_and_b64 s[42:43], s[28:29], vcc
	s_andn2_b64 s[28:29], s[28:29], exec
	s_and_b64 s[42:43], s[42:43], exec
	s_or_b64 s[28:29], s[28:29], s[42:43]
.LBB12_1318:                            ;   in Loop: Header=BB12_1245 Depth=2
	s_or_b64 exec, exec, s[40:41]
	s_xor_b64 s[28:29], s[28:29], -1
	v_cndmask_b32_e64 v0, 0, 1, s[28:29]
	s_mov_b64 s[40:41], -1
	v_cmp_ne_u32_e32 vcc, 0, v0
	s_cbranch_vccz .LBB12_1586
; %bb.1319:                             ;   in Loop: Header=BB12_1245 Depth=2
	s_and_b32 s65, s77, 1
	s_mov_b64 s[92:93], -1
	v_mov_b32_e32 v4, 0
	s_cbranch_execnz .LBB12_1587
.LBB12_1320:                            ;   in Loop: Header=BB12_1245 Depth=2
	v_ashrrev_i32_e32 v0, 31, v50
	v_lshrrev_b32_e32 v0, 20, v0
	v_add_u32_e32 v0, v50, v0
	v_ashrrev_i32_e32 v1, 12, v0
	buffer_load_dword v0, off, s[0:3], s33 offset:488 ; 4-byte Folded Reload
	s_and_b32 s65, s77, 1
	buffer_store_dword v1, off, s[0:3], s33 offset:596 ; 4-byte Folded Spill
	s_mov_b64 s[28:29], 0
                                        ; implicit-def: $vgpr56_vgpr57
                                        ; implicit-def: $vgpr36_vgpr37
                                        ; implicit-def: $vgpr24_vgpr25
	s_waitcnt vmcnt(1)
	v_sub_u32_e32 v2, v1, v0
	buffer_load_dword v0, off, s[0:3], s33 offset:480 ; 4-byte Folded Reload
	s_waitcnt vmcnt(0)
	v_add_co_u32_e32 v10, vcc, v52, v0
	v_addc_co_u32_e32 v11, vcc, 0, v53, vcc
	v_add_co_u32_e32 v0, vcc, v31, v0
	buffer_store_dword v31, off, s[0:3], s33 offset:584 ; 4-byte Folded Spill
	s_nop 0
	buffer_store_dword v32, off, s[0:3], s33 offset:588 ; 4-byte Folded Spill
	buffer_store_dword v2, off, s[0:3], s33 offset:284 ; 4-byte Folded Spill
	v_addc_co_u32_e32 v1, vcc, 0, v32, vcc
	v_cmp_lt_i32_e32 vcc, 0, v2
                                        ; implicit-def: $vgpr2_vgpr3
	buffer_store_dword v2, off, s[0:3], s33 offset:168 ; 4-byte Folded Spill
	s_nop 0
	buffer_store_dword v3, off, s[0:3], s33 offset:172 ; 4-byte Folded Spill
	buffer_store_dword v4, off, s[0:3], s33 offset:176 ; 4-byte Folded Spill
	buffer_store_dword v5, off, s[0:3], s33 offset:180 ; 4-byte Folded Spill
                                        ; implicit-def: $vgpr2_vgpr3
	buffer_store_dword v2, off, s[0:3], s33 offset:240 ; 4-byte Folded Spill
	s_nop 0
	buffer_store_dword v3, off, s[0:3], s33 offset:244 ; 4-byte Folded Spill
	buffer_store_dword v4, off, s[0:3], s33 offset:248 ; 4-byte Folded Spill
	buffer_store_dword v5, off, s[0:3], s33 offset:252 ; 4-byte Folded Spill
	;; [unrolled: 6-line block ×5, first 2 shown]
	s_and_saveexec_b64 s[40:41], vcc
	s_cbranch_execz .LBB12_1589
; %bb.1321:                             ;   in Loop: Header=BB12_1245 Depth=2
	buffer_store_dword v50, off, s[0:3], s33 offset:544 ; 4-byte Folded Spill
	buffer_store_dword v52, off, s[0:3], s33 offset:536 ; 4-byte Folded Spill
	s_nop 0
	buffer_store_dword v53, off, s[0:3], s33 offset:540 ; 4-byte Folded Spill
	buffer_store_dword v54, off, s[0:3], s33 offset:572 ; 4-byte Folded Spill
	;; [unrolled: 1-line block ×3, first 2 shown]
	s_nop 0
	buffer_store_dword v52, off, s[0:3], s33 offset:520 ; 4-byte Folded Spill
	buffer_store_dword v49, off, s[0:3], s33 offset:508 ; 4-byte Folded Spill
	s_nop 0
	buffer_store_dword v50, off, s[0:3], s33 offset:512 ; 4-byte Folded Spill
	s_trap 2
	buffer_load_dword v4, off, s[0:3], s33 offset:480 ; 4-byte Folded Reload
	ds_read_b64 v[2:3], v0
	s_and_b32 s9, 0xffff, s65
	s_cmp_eq_u32 s9, 0
	s_mov_b64 s[94:95], 0
	s_mov_b64 s[42:43], 0
	s_cselect_b64 s[28:29], -1, 0
                                        ; implicit-def: $sgpr44_sgpr45
                                        ; implicit-def: $vgpr56_vgpr57
                                        ; implicit-def: $vgpr36_vgpr37
                                        ; implicit-def: $vgpr24_vgpr25
	s_waitcnt vmcnt(0) lgkmcnt(0)
	v_add_co_u32_e32 v20, vcc, v2, v4
	v_addc_co_u32_e32 v21, vcc, 0, v3, vcc
	buffer_load_dword v2, off, s[0:3], s33 offset:500 ; 4-byte Folded Reload
	buffer_load_dword v3, off, s[0:3], s33 offset:504 ; 4-byte Folded Reload
	s_waitcnt vmcnt(1)
	v_add_co_u32_e32 v22, vcc, v2, v4
	s_waitcnt vmcnt(0)
	v_addc_co_u32_e32 v23, vcc, 0, v3, vcc
                                        ; implicit-def: $vgpr2_vgpr3
	buffer_store_dword v2, off, s[0:3], s33 offset:168 ; 4-byte Folded Spill
	s_nop 0
	buffer_store_dword v3, off, s[0:3], s33 offset:172 ; 4-byte Folded Spill
	buffer_store_dword v4, off, s[0:3], s33 offset:176 ; 4-byte Folded Spill
	buffer_store_dword v5, off, s[0:3], s33 offset:180 ; 4-byte Folded Spill
                                        ; implicit-def: $vgpr2_vgpr3
	buffer_store_dword v2, off, s[0:3], s33 offset:240 ; 4-byte Folded Spill
	s_nop 0
	buffer_store_dword v3, off, s[0:3], s33 offset:244 ; 4-byte Folded Spill
	buffer_store_dword v4, off, s[0:3], s33 offset:248 ; 4-byte Folded Spill
	buffer_store_dword v5, off, s[0:3], s33 offset:252 ; 4-byte Folded Spill
	;; [unrolled: 6-line block ×5, first 2 shown]
	s_branch .LBB12_1323
.LBB12_1322:                            ;   in Loop: Header=BB12_1323 Depth=3
	s_or_b64 exec, exec, s[30:31]
	buffer_load_dword v2, off, s[0:3], s33 offset:284 ; 4-byte Folded Reload
	s_waitcnt vmcnt(0)
	v_cmp_gt_i32_e32 vcc, 1, v2
	s_or_b64 s[42:43], vcc, s[42:43]
	s_andn2_b64 s[44:45], s[44:45], exec
	s_and_b64 vcc, s[94:95], exec
	s_or_b64 s[44:45], s[44:45], vcc
	s_andn2_b64 exec, exec, s[42:43]
	s_cbranch_execz .LBB12_1588
.LBB12_1323:                            ;   Parent Loop BB12_47 Depth=1
                                        ;     Parent Loop BB12_1245 Depth=2
                                        ; =>    This Inner Loop Header: Depth=3
	global_load_dwordx4 v[28:31], v[22:23], off glc slc
	global_load_dwordx4 v[2:5], v[22:23], off offset:1024 glc slc
	global_load_dwordx4 v[40:43], v[22:23], off offset:2048 glc slc
	;; [unrolled: 1-line block ×3, first 2 shown]
	global_load_dwordx4 v[16:19], v[20:21], off glc slc
	global_load_dwordx4 v[6:9], v[20:21], off offset:1024 glc slc
	global_load_dwordx4 v[44:47], v[20:21], off offset:2048 glc slc
	;; [unrolled: 1-line block ×3, first 2 shown]
	s_and_saveexec_b64 s[30:31], s[94:95]
	s_cbranch_execz .LBB12_1453
; %bb.1324:                             ;   in Loop: Header=BB12_1323 Depth=3
	buffer_load_dword v12, off, s[0:3], s33 offset:240 ; 4-byte Folded Reload
	buffer_load_dword v13, off, s[0:3], s33 offset:244 ; 4-byte Folded Reload
	;; [unrolled: 1-line block ×4, first 2 shown]
	v_lshlrev_b32_e32 v32, 16, v56
	v_max_f32_e32 v32, v32, v32
	s_waitcnt vmcnt(3)
	v_lshlrev_b32_e32 v33, 16, v12
	v_max_f32_e32 v33, v33, v33
	v_min_f32_e32 v34, v32, v33
	v_max_f32_e32 v32, v32, v33
	v_cndmask_b32_e64 v32, v32, v34, s[28:29]
	v_and_b32_e32 v33, 0x7f800000, v32
	v_cmp_ne_u32_e32 vcc, s56, v33
                                        ; implicit-def: $vgpr12
                                        ; kill: killed $vgpr12
	s_and_saveexec_b64 s[94:95], vcc
	s_xor_b64 s[94:95], exec, s[94:95]
	s_cbranch_execz .LBB12_1326
; %bb.1325:                             ;   in Loop: Header=BB12_1323 Depth=3
	v_bfe_u32 v33, v32, 16, 1
	v_add3_u32 v12, v32, v33, s57
	buffer_store_dword v12, off, s[0:3], s33 offset:292 ; 4-byte Folded Spill
                                        ; implicit-def: $vgpr32
.LBB12_1326:                            ;   in Loop: Header=BB12_1323 Depth=3
	s_andn2_saveexec_b64 s[94:95], s[94:95]
	s_cbranch_execz .LBB12_1328
; %bb.1327:                             ;   in Loop: Header=BB12_1323 Depth=3
	buffer_load_dword v34, off, s[0:3], s33 offset:128 ; 4-byte Folded Reload
	buffer_load_dword v35, off, s[0:3], s33 offset:132 ; 4-byte Folded Reload
	v_or_b32_e32 v33, 0x10000, v32
	s_waitcnt vmcnt(1)
	v_cmp_eq_u32_sdwa vcc, v32, v34 src0_sel:WORD_0 src1_sel:DWORD
	v_cndmask_b32_e32 v12, v33, v32, vcc
	buffer_store_dword v12, off, s[0:3], s33 offset:292 ; 4-byte Folded Spill
.LBB12_1328:                            ;   in Loop: Header=BB12_1323 Depth=3
	s_or_b64 exec, exec, s[94:95]
	buffer_load_dword v12, off, s[0:3], s33 offset:240 ; 4-byte Folded Reload
	buffer_load_dword v13, off, s[0:3], s33 offset:244 ; 4-byte Folded Reload
	;; [unrolled: 1-line block ×4, first 2 shown]
	v_and_b32_e32 v32, 0xffff0000, v56
	v_max_f32_e32 v32, v32, v32
	s_waitcnt vmcnt(3)
	v_and_b32_e32 v33, 0xffff0000, v12
	v_max_f32_e32 v33, v33, v33
	v_min_f32_e32 v34, v32, v33
	v_max_f32_e32 v32, v32, v33
	v_cndmask_b32_e64 v32, v32, v34, s[28:29]
	v_and_b32_e32 v33, 0x7f800000, v32
	v_cmp_ne_u32_e32 vcc, s56, v33
                                        ; implicit-def: $vgpr12
                                        ; kill: killed $vgpr12
	s_and_saveexec_b64 s[94:95], vcc
	s_xor_b64 s[94:95], exec, s[94:95]
	s_cbranch_execz .LBB12_1330
; %bb.1329:                             ;   in Loop: Header=BB12_1323 Depth=3
	v_bfe_u32 v33, v32, 16, 1
	v_add3_u32 v12, v32, v33, s57
	buffer_store_dword v12, off, s[0:3], s33 offset:300 ; 4-byte Folded Spill
                                        ; implicit-def: $vgpr32
.LBB12_1330:                            ;   in Loop: Header=BB12_1323 Depth=3
	s_andn2_saveexec_b64 s[94:95], s[94:95]
	s_cbranch_execz .LBB12_1332
; %bb.1331:                             ;   in Loop: Header=BB12_1323 Depth=3
	buffer_load_dword v34, off, s[0:3], s33 offset:128 ; 4-byte Folded Reload
	buffer_load_dword v35, off, s[0:3], s33 offset:132 ; 4-byte Folded Reload
	v_or_b32_e32 v33, 0x10000, v32
	s_waitcnt vmcnt(1)
	v_cmp_eq_u32_sdwa vcc, v32, v34 src0_sel:WORD_0 src1_sel:DWORD
	v_cndmask_b32_e32 v12, v33, v32, vcc
	buffer_store_dword v12, off, s[0:3], s33 offset:300 ; 4-byte Folded Spill
.LBB12_1332:                            ;   in Loop: Header=BB12_1323 Depth=3
	s_or_b64 exec, exec, s[94:95]
	buffer_load_dword v12, off, s[0:3], s33 offset:240 ; 4-byte Folded Reload
	buffer_load_dword v13, off, s[0:3], s33 offset:244 ; 4-byte Folded Reload
	;; [unrolled: 1-line block ×4, first 2 shown]
	v_lshlrev_b32_e32 v32, 16, v57
	v_max_f32_e32 v32, v32, v32
                                        ; implicit-def: $vgpr12
                                        ; kill: killed $vgpr12
	s_waitcnt vmcnt(2)
	v_lshlrev_b32_e32 v33, 16, v13
	v_max_f32_e32 v33, v33, v33
	v_min_f32_e32 v34, v32, v33
	v_max_f32_e32 v32, v32, v33
	v_cndmask_b32_e64 v32, v32, v34, s[28:29]
	v_and_b32_e32 v33, 0x7f800000, v32
	v_cmp_ne_u32_e32 vcc, s56, v33
	s_and_saveexec_b64 s[94:95], vcc
	s_xor_b64 s[94:95], exec, s[94:95]
	s_cbranch_execz .LBB12_1334
; %bb.1333:                             ;   in Loop: Header=BB12_1323 Depth=3
	v_bfe_u32 v33, v32, 16, 1
	v_add3_u32 v12, v32, v33, s57
	buffer_store_dword v12, off, s[0:3], s33 offset:308 ; 4-byte Folded Spill
                                        ; implicit-def: $vgpr32
.LBB12_1334:                            ;   in Loop: Header=BB12_1323 Depth=3
	s_andn2_saveexec_b64 s[94:95], s[94:95]
	s_cbranch_execz .LBB12_1336
; %bb.1335:                             ;   in Loop: Header=BB12_1323 Depth=3
	buffer_load_dword v34, off, s[0:3], s33 offset:128 ; 4-byte Folded Reload
	buffer_load_dword v35, off, s[0:3], s33 offset:132 ; 4-byte Folded Reload
	v_or_b32_e32 v33, 0x10000, v32
	s_waitcnt vmcnt(1)
	v_cmp_eq_u32_sdwa vcc, v32, v34 src0_sel:WORD_0 src1_sel:DWORD
	v_cndmask_b32_e32 v12, v33, v32, vcc
	buffer_store_dword v12, off, s[0:3], s33 offset:308 ; 4-byte Folded Spill
.LBB12_1336:                            ;   in Loop: Header=BB12_1323 Depth=3
	s_or_b64 exec, exec, s[94:95]
	buffer_load_dword v12, off, s[0:3], s33 offset:240 ; 4-byte Folded Reload
	buffer_load_dword v13, off, s[0:3], s33 offset:244 ; 4-byte Folded Reload
	;; [unrolled: 1-line block ×4, first 2 shown]
	v_and_b32_e32 v32, 0xffff0000, v57
	v_max_f32_e32 v32, v32, v32
                                        ; implicit-def: $vgpr12
                                        ; kill: killed $vgpr12
	s_waitcnt vmcnt(2)
	v_and_b32_e32 v33, 0xffff0000, v13
	v_max_f32_e32 v33, v33, v33
	v_min_f32_e32 v34, v32, v33
	v_max_f32_e32 v32, v32, v33
	v_cndmask_b32_e64 v32, v32, v34, s[28:29]
	v_and_b32_e32 v33, 0x7f800000, v32
	v_cmp_ne_u32_e32 vcc, s56, v33
	s_and_saveexec_b64 s[94:95], vcc
	s_xor_b64 s[94:95], exec, s[94:95]
	s_cbranch_execz .LBB12_1338
; %bb.1337:                             ;   in Loop: Header=BB12_1323 Depth=3
	v_bfe_u32 v33, v32, 16, 1
	v_add3_u32 v12, v32, v33, s57
	buffer_store_dword v12, off, s[0:3], s33 offset:352 ; 4-byte Folded Spill
                                        ; implicit-def: $vgpr32
.LBB12_1338:                            ;   in Loop: Header=BB12_1323 Depth=3
	s_andn2_saveexec_b64 s[94:95], s[94:95]
	s_cbranch_execz .LBB12_1340
; %bb.1339:                             ;   in Loop: Header=BB12_1323 Depth=3
	buffer_load_dword v34, off, s[0:3], s33 offset:128 ; 4-byte Folded Reload
	buffer_load_dword v35, off, s[0:3], s33 offset:132 ; 4-byte Folded Reload
	v_or_b32_e32 v33, 0x10000, v32
	s_waitcnt vmcnt(1)
	v_cmp_eq_u32_sdwa vcc, v32, v34 src0_sel:WORD_0 src1_sel:DWORD
	v_cndmask_b32_e32 v12, v33, v32, vcc
	buffer_store_dword v12, off, s[0:3], s33 offset:352 ; 4-byte Folded Spill
.LBB12_1340:                            ;   in Loop: Header=BB12_1323 Depth=3
	s_or_b64 exec, exec, s[94:95]
	buffer_load_dword v12, off, s[0:3], s33 offset:240 ; 4-byte Folded Reload
	buffer_load_dword v13, off, s[0:3], s33 offset:244 ; 4-byte Folded Reload
	;; [unrolled: 1-line block ×4, first 2 shown]
	v_lshlrev_b32_e32 v32, 16, v58
	v_max_f32_e32 v32, v32, v32
                                        ; implicit-def: $vgpr12
                                        ; kill: killed $vgpr12
	s_waitcnt vmcnt(1)
	v_lshlrev_b32_e32 v33, 16, v14
	v_max_f32_e32 v33, v33, v33
	v_min_f32_e32 v34, v32, v33
	v_max_f32_e32 v32, v32, v33
	v_cndmask_b32_e64 v32, v32, v34, s[28:29]
	v_and_b32_e32 v33, 0x7f800000, v32
	v_cmp_ne_u32_e32 vcc, s56, v33
	s_and_saveexec_b64 s[94:95], vcc
	s_xor_b64 s[94:95], exec, s[94:95]
	s_cbranch_execz .LBB12_1342
; %bb.1341:                             ;   in Loop: Header=BB12_1323 Depth=3
	v_bfe_u32 v33, v32, 16, 1
	v_add3_u32 v12, v32, v33, s57
	buffer_store_dword v12, off, s[0:3], s33 offset:360 ; 4-byte Folded Spill
                                        ; implicit-def: $vgpr32
.LBB12_1342:                            ;   in Loop: Header=BB12_1323 Depth=3
	s_andn2_saveexec_b64 s[94:95], s[94:95]
	s_cbranch_execz .LBB12_1344
; %bb.1343:                             ;   in Loop: Header=BB12_1323 Depth=3
	buffer_load_dword v34, off, s[0:3], s33 offset:128 ; 4-byte Folded Reload
	buffer_load_dword v35, off, s[0:3], s33 offset:132 ; 4-byte Folded Reload
	v_or_b32_e32 v33, 0x10000, v32
	s_waitcnt vmcnt(1)
	v_cmp_eq_u32_sdwa vcc, v32, v34 src0_sel:WORD_0 src1_sel:DWORD
	v_cndmask_b32_e32 v12, v33, v32, vcc
	buffer_store_dword v12, off, s[0:3], s33 offset:360 ; 4-byte Folded Spill
.LBB12_1344:                            ;   in Loop: Header=BB12_1323 Depth=3
	s_or_b64 exec, exec, s[94:95]
	buffer_load_dword v12, off, s[0:3], s33 offset:240 ; 4-byte Folded Reload
	buffer_load_dword v13, off, s[0:3], s33 offset:244 ; 4-byte Folded Reload
	buffer_load_dword v14, off, s[0:3], s33 offset:248 ; 4-byte Folded Reload
	buffer_load_dword v15, off, s[0:3], s33 offset:252 ; 4-byte Folded Reload
	v_and_b32_e32 v32, 0xffff0000, v58
	v_max_f32_e32 v32, v32, v32
                                        ; implicit-def: $vgpr12
                                        ; kill: killed $vgpr12
	s_waitcnt vmcnt(1)
	v_and_b32_e32 v33, 0xffff0000, v14
	v_max_f32_e32 v33, v33, v33
	v_min_f32_e32 v34, v32, v33
	v_max_f32_e32 v32, v32, v33
	v_cndmask_b32_e64 v32, v32, v34, s[28:29]
	v_and_b32_e32 v33, 0x7f800000, v32
	v_cmp_ne_u32_e32 vcc, s56, v33
	s_and_saveexec_b64 s[94:95], vcc
	s_xor_b64 s[94:95], exec, s[94:95]
	s_cbranch_execz .LBB12_1346
; %bb.1345:                             ;   in Loop: Header=BB12_1323 Depth=3
	v_bfe_u32 v33, v32, 16, 1
	v_add3_u32 v12, v32, v33, s57
	buffer_store_dword v12, off, s[0:3], s33 offset:368 ; 4-byte Folded Spill
                                        ; implicit-def: $vgpr32
.LBB12_1346:                            ;   in Loop: Header=BB12_1323 Depth=3
	s_andn2_saveexec_b64 s[94:95], s[94:95]
	s_cbranch_execz .LBB12_1348
; %bb.1347:                             ;   in Loop: Header=BB12_1323 Depth=3
	buffer_load_dword v34, off, s[0:3], s33 offset:128 ; 4-byte Folded Reload
	buffer_load_dword v35, off, s[0:3], s33 offset:132 ; 4-byte Folded Reload
	v_or_b32_e32 v33, 0x10000, v32
	s_waitcnt vmcnt(1)
	v_cmp_eq_u32_sdwa vcc, v32, v34 src0_sel:WORD_0 src1_sel:DWORD
	v_cndmask_b32_e32 v12, v33, v32, vcc
	buffer_store_dword v12, off, s[0:3], s33 offset:368 ; 4-byte Folded Spill
.LBB12_1348:                            ;   in Loop: Header=BB12_1323 Depth=3
	s_or_b64 exec, exec, s[94:95]
	buffer_load_dword v12, off, s[0:3], s33 offset:240 ; 4-byte Folded Reload
	buffer_load_dword v13, off, s[0:3], s33 offset:244 ; 4-byte Folded Reload
	;; [unrolled: 1-line block ×4, first 2 shown]
	v_lshlrev_b32_e32 v32, 16, v59
	v_max_f32_e32 v32, v32, v32
                                        ; implicit-def: $vgpr12
                                        ; kill: killed $vgpr12
	s_waitcnt vmcnt(0)
	v_lshlrev_b32_e32 v33, 16, v15
	v_max_f32_e32 v33, v33, v33
	v_min_f32_e32 v34, v32, v33
	v_max_f32_e32 v32, v32, v33
	v_cndmask_b32_e64 v32, v32, v34, s[28:29]
	v_and_b32_e32 v33, 0x7f800000, v32
	v_cmp_ne_u32_e32 vcc, s56, v33
	s_and_saveexec_b64 s[94:95], vcc
	s_xor_b64 s[94:95], exec, s[94:95]
	s_cbranch_execz .LBB12_1350
; %bb.1349:                             ;   in Loop: Header=BB12_1323 Depth=3
	v_bfe_u32 v33, v32, 16, 1
	v_add3_u32 v12, v32, v33, s57
	buffer_store_dword v12, off, s[0:3], s33 offset:376 ; 4-byte Folded Spill
                                        ; implicit-def: $vgpr32
.LBB12_1350:                            ;   in Loop: Header=BB12_1323 Depth=3
	s_andn2_saveexec_b64 s[94:95], s[94:95]
	s_cbranch_execz .LBB12_1352
; %bb.1351:                             ;   in Loop: Header=BB12_1323 Depth=3
	buffer_load_dword v34, off, s[0:3], s33 offset:128 ; 4-byte Folded Reload
	buffer_load_dword v35, off, s[0:3], s33 offset:132 ; 4-byte Folded Reload
	v_or_b32_e32 v33, 0x10000, v32
	s_waitcnt vmcnt(1)
	v_cmp_eq_u32_sdwa vcc, v32, v34 src0_sel:WORD_0 src1_sel:DWORD
	v_cndmask_b32_e32 v12, v33, v32, vcc
	buffer_store_dword v12, off, s[0:3], s33 offset:376 ; 4-byte Folded Spill
.LBB12_1352:                            ;   in Loop: Header=BB12_1323 Depth=3
	s_or_b64 exec, exec, s[94:95]
	buffer_load_dword v12, off, s[0:3], s33 offset:240 ; 4-byte Folded Reload
	buffer_load_dword v13, off, s[0:3], s33 offset:244 ; 4-byte Folded Reload
	;; [unrolled: 1-line block ×4, first 2 shown]
	v_and_b32_e32 v32, 0xffff0000, v59
	v_max_f32_e32 v32, v32, v32
                                        ; implicit-def: $vgpr12
                                        ; kill: killed $vgpr12
	s_waitcnt vmcnt(0)
	v_and_b32_e32 v33, 0xffff0000, v15
	v_max_f32_e32 v33, v33, v33
	v_min_f32_e32 v34, v32, v33
	v_max_f32_e32 v32, v32, v33
	v_cndmask_b32_e64 v32, v32, v34, s[28:29]
	v_and_b32_e32 v33, 0x7f800000, v32
	v_cmp_ne_u32_e32 vcc, s56, v33
	s_and_saveexec_b64 s[94:95], vcc
	s_xor_b64 s[94:95], exec, s[94:95]
	s_cbranch_execz .LBB12_1354
; %bb.1353:                             ;   in Loop: Header=BB12_1323 Depth=3
	v_bfe_u32 v33, v32, 16, 1
	v_add3_u32 v12, v32, v33, s57
	buffer_store_dword v12, off, s[0:3], s33 offset:380 ; 4-byte Folded Spill
                                        ; implicit-def: $vgpr32
.LBB12_1354:                            ;   in Loop: Header=BB12_1323 Depth=3
	s_andn2_saveexec_b64 s[94:95], s[94:95]
	s_cbranch_execz .LBB12_1356
; %bb.1355:                             ;   in Loop: Header=BB12_1323 Depth=3
	buffer_load_dword v34, off, s[0:3], s33 offset:128 ; 4-byte Folded Reload
	buffer_load_dword v35, off, s[0:3], s33 offset:132 ; 4-byte Folded Reload
	v_or_b32_e32 v33, 0x10000, v32
	s_waitcnt vmcnt(1)
	v_cmp_eq_u32_sdwa vcc, v32, v34 src0_sel:WORD_0 src1_sel:DWORD
	v_cndmask_b32_e32 v12, v33, v32, vcc
	buffer_store_dword v12, off, s[0:3], s33 offset:380 ; 4-byte Folded Spill
.LBB12_1356:                            ;   in Loop: Header=BB12_1323 Depth=3
	s_or_b64 exec, exec, s[94:95]
	buffer_load_dword v56, off, s[0:3], s33 offset:216 ; 4-byte Folded Reload
	buffer_load_dword v57, off, s[0:3], s33 offset:220 ; 4-byte Folded Reload
	;; [unrolled: 1-line block ×4, first 2 shown]
	v_lshlrev_b32_e32 v32, 16, v36
	v_max_f32_e32 v32, v32, v32
                                        ; implicit-def: $vgpr12
                                        ; kill: killed $vgpr12
	s_waitcnt vmcnt(3)
	v_lshlrev_b32_e32 v33, 16, v56
	v_max_f32_e32 v33, v33, v33
	v_min_f32_e32 v34, v32, v33
	v_max_f32_e32 v32, v32, v33
	v_cndmask_b32_e64 v32, v32, v34, s[28:29]
	v_and_b32_e32 v33, 0x7f800000, v32
	v_cmp_ne_u32_e32 vcc, s56, v33
	s_and_saveexec_b64 s[94:95], vcc
	s_xor_b64 s[94:95], exec, s[94:95]
	s_cbranch_execz .LBB12_1358
; %bb.1357:                             ;   in Loop: Header=BB12_1323 Depth=3
	v_bfe_u32 v33, v32, 16, 1
	v_add3_u32 v12, v32, v33, s57
	buffer_store_dword v12, off, s[0:3], s33 offset:384 ; 4-byte Folded Spill
                                        ; implicit-def: $vgpr32
.LBB12_1358:                            ;   in Loop: Header=BB12_1323 Depth=3
	s_andn2_saveexec_b64 s[94:95], s[94:95]
	s_cbranch_execz .LBB12_1360
; %bb.1359:                             ;   in Loop: Header=BB12_1323 Depth=3
	buffer_load_dword v34, off, s[0:3], s33 offset:128 ; 4-byte Folded Reload
	buffer_load_dword v35, off, s[0:3], s33 offset:132 ; 4-byte Folded Reload
	v_or_b32_e32 v33, 0x10000, v32
	s_waitcnt vmcnt(1)
	v_cmp_eq_u32_sdwa vcc, v32, v34 src0_sel:WORD_0 src1_sel:DWORD
	v_cndmask_b32_e32 v12, v33, v32, vcc
	buffer_store_dword v12, off, s[0:3], s33 offset:384 ; 4-byte Folded Spill
.LBB12_1360:                            ;   in Loop: Header=BB12_1323 Depth=3
	s_or_b64 exec, exec, s[94:95]
	v_and_b32_e32 v32, 0xffff0000, v36
	buffer_load_dword v33, off, s[0:3], s33 offset:216 ; 4-byte Folded Reload
	buffer_load_dword v34, off, s[0:3], s33 offset:220 ; 4-byte Folded Reload
	;; [unrolled: 1-line block ×4, first 2 shown]
	v_max_f32_e32 v32, v32, v32
                                        ; implicit-def: $vgpr12
                                        ; kill: killed $vgpr12
	s_waitcnt vmcnt(3)
	v_and_b32_e32 v33, 0xffff0000, v33
	v_max_f32_e32 v33, v33, v33
	s_waitcnt vmcnt(2)
	v_min_f32_e32 v34, v32, v33
	v_max_f32_e32 v32, v32, v33
	v_cndmask_b32_e64 v32, v32, v34, s[28:29]
	v_and_b32_e32 v33, 0x7f800000, v32
	v_cmp_ne_u32_e32 vcc, s56, v33
	s_and_saveexec_b64 s[94:95], vcc
	s_xor_b64 s[94:95], exec, s[94:95]
	s_cbranch_execz .LBB12_1362
; %bb.1361:                             ;   in Loop: Header=BB12_1323 Depth=3
	v_bfe_u32 v33, v32, 16, 1
	v_add3_u32 v12, v32, v33, s57
	buffer_store_dword v12, off, s[0:3], s33 offset:388 ; 4-byte Folded Spill
                                        ; implicit-def: $vgpr32
.LBB12_1362:                            ;   in Loop: Header=BB12_1323 Depth=3
	s_andn2_saveexec_b64 s[94:95], s[94:95]
	s_cbranch_execz .LBB12_1364
; %bb.1363:                             ;   in Loop: Header=BB12_1323 Depth=3
	buffer_load_dword v34, off, s[0:3], s33 offset:128 ; 4-byte Folded Reload
	buffer_load_dword v35, off, s[0:3], s33 offset:132 ; 4-byte Folded Reload
	v_or_b32_e32 v33, 0x10000, v32
	s_waitcnt vmcnt(1)
	v_cmp_eq_u32_sdwa vcc, v32, v34 src0_sel:WORD_0 src1_sel:DWORD
	v_cndmask_b32_e32 v12, v33, v32, vcc
	buffer_store_dword v12, off, s[0:3], s33 offset:388 ; 4-byte Folded Spill
.LBB12_1364:                            ;   in Loop: Header=BB12_1323 Depth=3
	s_or_b64 exec, exec, s[94:95]
	buffer_load_dword v33, off, s[0:3], s33 offset:216 ; 4-byte Folded Reload
	buffer_load_dword v34, off, s[0:3], s33 offset:220 ; 4-byte Folded Reload
	;; [unrolled: 1-line block ×4, first 2 shown]
	v_lshlrev_b32_e32 v32, 16, v37
	v_max_f32_e32 v32, v32, v32
                                        ; implicit-def: $vgpr12
                                        ; kill: killed $vgpr12
	s_waitcnt vmcnt(2)
	v_lshlrev_b32_e32 v33, 16, v34
	v_max_f32_e32 v33, v33, v33
	v_min_f32_e32 v34, v32, v33
	v_max_f32_e32 v32, v32, v33
	v_cndmask_b32_e64 v32, v32, v34, s[28:29]
	v_and_b32_e32 v33, 0x7f800000, v32
	v_cmp_ne_u32_e32 vcc, s56, v33
	s_and_saveexec_b64 s[94:95], vcc
	s_xor_b64 s[94:95], exec, s[94:95]
	s_cbranch_execz .LBB12_1366
; %bb.1365:                             ;   in Loop: Header=BB12_1323 Depth=3
	v_bfe_u32 v33, v32, 16, 1
	v_add3_u32 v12, v32, v33, s57
	buffer_store_dword v12, off, s[0:3], s33 offset:392 ; 4-byte Folded Spill
                                        ; implicit-def: $vgpr32
.LBB12_1366:                            ;   in Loop: Header=BB12_1323 Depth=3
	s_andn2_saveexec_b64 s[94:95], s[94:95]
	s_cbranch_execz .LBB12_1368
; %bb.1367:                             ;   in Loop: Header=BB12_1323 Depth=3
	buffer_load_dword v34, off, s[0:3], s33 offset:128 ; 4-byte Folded Reload
	buffer_load_dword v35, off, s[0:3], s33 offset:132 ; 4-byte Folded Reload
	v_or_b32_e32 v33, 0x10000, v32
	s_waitcnt vmcnt(1)
	v_cmp_eq_u32_sdwa vcc, v32, v34 src0_sel:WORD_0 src1_sel:DWORD
	v_cndmask_b32_e32 v12, v33, v32, vcc
	buffer_store_dword v12, off, s[0:3], s33 offset:392 ; 4-byte Folded Spill
.LBB12_1368:                            ;   in Loop: Header=BB12_1323 Depth=3
	s_or_b64 exec, exec, s[94:95]
	buffer_load_dword v33, off, s[0:3], s33 offset:216 ; 4-byte Folded Reload
	buffer_load_dword v34, off, s[0:3], s33 offset:220 ; 4-byte Folded Reload
	buffer_load_dword v35, off, s[0:3], s33 offset:224 ; 4-byte Folded Reload
	buffer_load_dword v36, off, s[0:3], s33 offset:228 ; 4-byte Folded Reload
	v_and_b32_e32 v32, 0xffff0000, v37
	v_max_f32_e32 v32, v32, v32
                                        ; implicit-def: $vgpr12
                                        ; kill: killed $vgpr12
	s_waitcnt vmcnt(2)
	v_and_b32_e32 v33, 0xffff0000, v34
	v_max_f32_e32 v33, v33, v33
	v_min_f32_e32 v34, v32, v33
	v_max_f32_e32 v32, v32, v33
	v_cndmask_b32_e64 v32, v32, v34, s[28:29]
	v_and_b32_e32 v33, 0x7f800000, v32
	v_cmp_ne_u32_e32 vcc, s56, v33
	s_and_saveexec_b64 s[94:95], vcc
	s_xor_b64 s[94:95], exec, s[94:95]
	s_cbranch_execz .LBB12_1370
; %bb.1369:                             ;   in Loop: Header=BB12_1323 Depth=3
	v_bfe_u32 v33, v32, 16, 1
	v_add3_u32 v12, v32, v33, s57
	buffer_store_dword v12, off, s[0:3], s33 offset:452 ; 4-byte Folded Spill
                                        ; implicit-def: $vgpr32
.LBB12_1370:                            ;   in Loop: Header=BB12_1323 Depth=3
	s_andn2_saveexec_b64 s[94:95], s[94:95]
	s_cbranch_execz .LBB12_1372
; %bb.1371:                             ;   in Loop: Header=BB12_1323 Depth=3
	buffer_load_dword v34, off, s[0:3], s33 offset:128 ; 4-byte Folded Reload
	buffer_load_dword v35, off, s[0:3], s33 offset:132 ; 4-byte Folded Reload
	v_or_b32_e32 v33, 0x10000, v32
	s_waitcnt vmcnt(1)
	v_cmp_eq_u32_sdwa vcc, v32, v34 src0_sel:WORD_0 src1_sel:DWORD
	v_cndmask_b32_e32 v12, v33, v32, vcc
	buffer_store_dword v12, off, s[0:3], s33 offset:452 ; 4-byte Folded Spill
.LBB12_1372:                            ;   in Loop: Header=BB12_1323 Depth=3
	s_or_b64 exec, exec, s[94:95]
	buffer_load_dword v33, off, s[0:3], s33 offset:216 ; 4-byte Folded Reload
	buffer_load_dword v34, off, s[0:3], s33 offset:220 ; 4-byte Folded Reload
	;; [unrolled: 1-line block ×4, first 2 shown]
	v_lshlrev_b32_e32 v32, 16, v38
	v_max_f32_e32 v32, v32, v32
                                        ; implicit-def: $vgpr12
                                        ; kill: killed $vgpr12
	s_waitcnt vmcnt(1)
	v_lshlrev_b32_e32 v33, 16, v35
	v_max_f32_e32 v33, v33, v33
	v_min_f32_e32 v34, v32, v33
	v_max_f32_e32 v32, v32, v33
	v_cndmask_b32_e64 v32, v32, v34, s[28:29]
	v_and_b32_e32 v33, 0x7f800000, v32
	v_cmp_ne_u32_e32 vcc, s56, v33
	s_and_saveexec_b64 s[94:95], vcc
	s_xor_b64 s[94:95], exec, s[94:95]
	s_cbranch_execz .LBB12_1374
; %bb.1373:                             ;   in Loop: Header=BB12_1323 Depth=3
	v_bfe_u32 v33, v32, 16, 1
	v_add3_u32 v12, v32, v33, s57
	buffer_store_dword v12, off, s[0:3], s33 offset:460 ; 4-byte Folded Spill
                                        ; implicit-def: $vgpr32
.LBB12_1374:                            ;   in Loop: Header=BB12_1323 Depth=3
	s_andn2_saveexec_b64 s[94:95], s[94:95]
	s_cbranch_execz .LBB12_1376
; %bb.1375:                             ;   in Loop: Header=BB12_1323 Depth=3
	buffer_load_dword v34, off, s[0:3], s33 offset:128 ; 4-byte Folded Reload
	buffer_load_dword v35, off, s[0:3], s33 offset:132 ; 4-byte Folded Reload
	v_or_b32_e32 v33, 0x10000, v32
	s_waitcnt vmcnt(1)
	v_cmp_eq_u32_sdwa vcc, v32, v34 src0_sel:WORD_0 src1_sel:DWORD
	v_cndmask_b32_e32 v12, v33, v32, vcc
	buffer_store_dword v12, off, s[0:3], s33 offset:460 ; 4-byte Folded Spill
.LBB12_1376:                            ;   in Loop: Header=BB12_1323 Depth=3
	s_or_b64 exec, exec, s[94:95]
	buffer_load_dword v33, off, s[0:3], s33 offset:216 ; 4-byte Folded Reload
	buffer_load_dword v34, off, s[0:3], s33 offset:220 ; 4-byte Folded Reload
	;; [unrolled: 1-line block ×4, first 2 shown]
	v_and_b32_e32 v32, 0xffff0000, v38
	v_max_f32_e32 v32, v32, v32
                                        ; implicit-def: $vgpr12
                                        ; kill: killed $vgpr12
	s_waitcnt vmcnt(1)
	v_and_b32_e32 v33, 0xffff0000, v35
	v_max_f32_e32 v33, v33, v33
	v_min_f32_e32 v34, v32, v33
	v_max_f32_e32 v32, v32, v33
	v_cndmask_b32_e64 v32, v32, v34, s[28:29]
	v_and_b32_e32 v33, 0x7f800000, v32
	v_cmp_ne_u32_e32 vcc, s56, v33
	s_and_saveexec_b64 s[94:95], vcc
	s_xor_b64 s[94:95], exec, s[94:95]
	s_cbranch_execz .LBB12_1378
; %bb.1377:                             ;   in Loop: Header=BB12_1323 Depth=3
	v_bfe_u32 v33, v32, 16, 1
	v_add3_u32 v12, v32, v33, s57
	buffer_store_dword v12, off, s[0:3], s33 offset:468 ; 4-byte Folded Spill
                                        ; implicit-def: $vgpr32
.LBB12_1378:                            ;   in Loop: Header=BB12_1323 Depth=3
	s_andn2_saveexec_b64 s[94:95], s[94:95]
	s_cbranch_execz .LBB12_1380
; %bb.1379:                             ;   in Loop: Header=BB12_1323 Depth=3
	buffer_load_dword v34, off, s[0:3], s33 offset:128 ; 4-byte Folded Reload
	buffer_load_dword v35, off, s[0:3], s33 offset:132 ; 4-byte Folded Reload
	v_or_b32_e32 v33, 0x10000, v32
	s_waitcnt vmcnt(1)
	v_cmp_eq_u32_sdwa vcc, v32, v34 src0_sel:WORD_0 src1_sel:DWORD
	v_cndmask_b32_e32 v12, v33, v32, vcc
	buffer_store_dword v12, off, s[0:3], s33 offset:468 ; 4-byte Folded Spill
.LBB12_1380:                            ;   in Loop: Header=BB12_1323 Depth=3
	s_or_b64 exec, exec, s[94:95]
	buffer_load_dword v33, off, s[0:3], s33 offset:216 ; 4-byte Folded Reload
	buffer_load_dword v34, off, s[0:3], s33 offset:220 ; 4-byte Folded Reload
	buffer_load_dword v35, off, s[0:3], s33 offset:224 ; 4-byte Folded Reload
	buffer_load_dword v36, off, s[0:3], s33 offset:228 ; 4-byte Folded Reload
	v_lshlrev_b32_e32 v32, 16, v39
	v_max_f32_e32 v32, v32, v32
                                        ; implicit-def: $vgpr12
                                        ; kill: killed $vgpr12
	s_waitcnt vmcnt(0)
	v_lshlrev_b32_e32 v33, 16, v36
	v_max_f32_e32 v33, v33, v33
	v_min_f32_e32 v34, v32, v33
	v_max_f32_e32 v32, v32, v33
	v_cndmask_b32_e64 v32, v32, v34, s[28:29]
	v_and_b32_e32 v33, 0x7f800000, v32
	v_cmp_ne_u32_e32 vcc, s56, v33
	s_and_saveexec_b64 s[94:95], vcc
	s_xor_b64 s[94:95], exec, s[94:95]
	s_cbranch_execz .LBB12_1382
; %bb.1381:                             ;   in Loop: Header=BB12_1323 Depth=3
	v_bfe_u32 v33, v32, 16, 1
	v_add3_u32 v12, v32, v33, s57
	buffer_store_dword v12, off, s[0:3], s33 offset:492 ; 4-byte Folded Spill
                                        ; implicit-def: $vgpr32
.LBB12_1382:                            ;   in Loop: Header=BB12_1323 Depth=3
	s_andn2_saveexec_b64 s[94:95], s[94:95]
	s_cbranch_execz .LBB12_1384
; %bb.1383:                             ;   in Loop: Header=BB12_1323 Depth=3
	buffer_load_dword v34, off, s[0:3], s33 offset:128 ; 4-byte Folded Reload
	buffer_load_dword v35, off, s[0:3], s33 offset:132 ; 4-byte Folded Reload
	v_or_b32_e32 v33, 0x10000, v32
	s_waitcnt vmcnt(1)
	v_cmp_eq_u32_sdwa vcc, v32, v34 src0_sel:WORD_0 src1_sel:DWORD
	v_cndmask_b32_e32 v12, v33, v32, vcc
	buffer_store_dword v12, off, s[0:3], s33 offset:492 ; 4-byte Folded Spill
.LBB12_1384:                            ;   in Loop: Header=BB12_1323 Depth=3
	s_or_b64 exec, exec, s[94:95]
	buffer_load_dword v33, off, s[0:3], s33 offset:216 ; 4-byte Folded Reload
	buffer_load_dword v34, off, s[0:3], s33 offset:220 ; 4-byte Folded Reload
	;; [unrolled: 1-line block ×4, first 2 shown]
	v_and_b32_e32 v32, 0xffff0000, v39
	v_max_f32_e32 v32, v32, v32
                                        ; implicit-def: $vgpr39
	s_waitcnt vmcnt(0)
	v_and_b32_e32 v33, 0xffff0000, v36
	v_max_f32_e32 v33, v33, v33
	v_min_f32_e32 v34, v32, v33
	v_max_f32_e32 v32, v32, v33
	v_cndmask_b32_e64 v32, v32, v34, s[28:29]
	v_and_b32_e32 v33, 0x7f800000, v32
	v_cmp_ne_u32_e32 vcc, s56, v33
	s_and_saveexec_b64 s[94:95], vcc
	s_xor_b64 s[94:95], exec, s[94:95]
; %bb.1385:                             ;   in Loop: Header=BB12_1323 Depth=3
	v_bfe_u32 v33, v32, 16, 1
	v_add3_u32 v39, v32, v33, s57
                                        ; implicit-def: $vgpr32
; %bb.1386:                             ;   in Loop: Header=BB12_1323 Depth=3
	s_andn2_saveexec_b64 s[94:95], s[94:95]
	s_cbranch_execz .LBB12_1388
; %bb.1387:                             ;   in Loop: Header=BB12_1323 Depth=3
	buffer_load_dword v34, off, s[0:3], s33 offset:128 ; 4-byte Folded Reload
	buffer_load_dword v35, off, s[0:3], s33 offset:132 ; 4-byte Folded Reload
	v_or_b32_e32 v33, 0x10000, v32
	s_waitcnt vmcnt(1)
	v_cmp_eq_u32_sdwa vcc, v32, v34 src0_sel:WORD_0 src1_sel:DWORD
	v_cndmask_b32_e32 v39, v33, v32, vcc
.LBB12_1388:                            ;   in Loop: Header=BB12_1323 Depth=3
	s_or_b64 exec, exec, s[94:95]
	buffer_load_dword v33, off, s[0:3], s33 offset:200 ; 4-byte Folded Reload
	buffer_load_dword v34, off, s[0:3], s33 offset:204 ; 4-byte Folded Reload
	;; [unrolled: 1-line block ×4, first 2 shown]
	v_lshlrev_b32_e32 v32, 16, v24
	v_max_f32_e32 v32, v32, v32
                                        ; implicit-def: $vgpr59
	s_waitcnt vmcnt(3)
	v_lshlrev_b32_e32 v33, 16, v33
	v_max_f32_e32 v33, v33, v33
	s_waitcnt vmcnt(2)
	v_min_f32_e32 v34, v32, v33
	v_max_f32_e32 v32, v32, v33
	v_cndmask_b32_e64 v32, v32, v34, s[28:29]
	v_and_b32_e32 v33, 0x7f800000, v32
	v_cmp_ne_u32_e32 vcc, s56, v33
	s_and_saveexec_b64 s[94:95], vcc
	s_xor_b64 s[94:95], exec, s[94:95]
; %bb.1389:                             ;   in Loop: Header=BB12_1323 Depth=3
	v_bfe_u32 v33, v32, 16, 1
	v_add3_u32 v59, v32, v33, s57
                                        ; implicit-def: $vgpr32
; %bb.1390:                             ;   in Loop: Header=BB12_1323 Depth=3
	s_andn2_saveexec_b64 s[94:95], s[94:95]
	s_cbranch_execz .LBB12_1392
; %bb.1391:                             ;   in Loop: Header=BB12_1323 Depth=3
	buffer_load_dword v34, off, s[0:3], s33 offset:128 ; 4-byte Folded Reload
	buffer_load_dword v35, off, s[0:3], s33 offset:132 ; 4-byte Folded Reload
	v_or_b32_e32 v33, 0x10000, v32
	s_waitcnt vmcnt(1)
	v_cmp_eq_u32_sdwa vcc, v32, v34 src0_sel:WORD_0 src1_sel:DWORD
	v_cndmask_b32_e32 v59, v33, v32, vcc
.LBB12_1392:                            ;   in Loop: Header=BB12_1323 Depth=3
	s_or_b64 exec, exec, s[94:95]
	buffer_load_dword v32, off, s[0:3], s33 offset:200 ; 4-byte Folded Reload
	buffer_load_dword v33, off, s[0:3], s33 offset:204 ; 4-byte Folded Reload
	;; [unrolled: 1-line block ×4, first 2 shown]
	v_and_b32_e32 v24, 0xffff0000, v24
	v_max_f32_e32 v24, v24, v24
	s_waitcnt vmcnt(3)
	v_and_b32_e32 v32, 0xffff0000, v32
	v_max_f32_e32 v32, v32, v32
	s_waitcnt vmcnt(2)
	v_min_f32_e32 v33, v24, v32
	v_max_f32_e32 v24, v24, v32
	v_cndmask_b32_e64 v32, v24, v33, s[28:29]
	v_and_b32_e32 v24, 0x7f800000, v32
	v_cmp_ne_u32_e32 vcc, s56, v24
                                        ; implicit-def: $vgpr24
	s_and_saveexec_b64 s[94:95], vcc
	s_xor_b64 s[94:95], exec, s[94:95]
; %bb.1393:                             ;   in Loop: Header=BB12_1323 Depth=3
	v_bfe_u32 v24, v32, 16, 1
	v_add3_u32 v24, v32, v24, s57
                                        ; implicit-def: $vgpr32
; %bb.1394:                             ;   in Loop: Header=BB12_1323 Depth=3
	s_andn2_saveexec_b64 s[94:95], s[94:95]
	s_cbranch_execz .LBB12_1396
; %bb.1395:                             ;   in Loop: Header=BB12_1323 Depth=3
	buffer_load_dword v33, off, s[0:3], s33 offset:128 ; 4-byte Folded Reload
	buffer_load_dword v34, off, s[0:3], s33 offset:132 ; 4-byte Folded Reload
	v_or_b32_e32 v24, 0x10000, v32
	s_waitcnt vmcnt(1)
	v_cmp_eq_u32_sdwa vcc, v32, v33 src0_sel:WORD_0 src1_sel:DWORD
	v_cndmask_b32_e32 v24, v24, v32, vcc
.LBB12_1396:                            ;   in Loop: Header=BB12_1323 Depth=3
	s_or_b64 exec, exec, s[94:95]
	buffer_load_dword v33, off, s[0:3], s33 offset:200 ; 4-byte Folded Reload
	buffer_load_dword v34, off, s[0:3], s33 offset:204 ; 4-byte Folded Reload
	;; [unrolled: 1-line block ×4, first 2 shown]
	v_lshlrev_b32_e32 v32, 16, v25
	v_max_f32_e32 v32, v32, v32
                                        ; implicit-def: $vgpr56
	s_waitcnt vmcnt(2)
	v_lshlrev_b32_e32 v33, 16, v34
	v_max_f32_e32 v33, v33, v33
	v_min_f32_e32 v34, v32, v33
	v_max_f32_e32 v32, v32, v33
	v_cndmask_b32_e64 v32, v32, v34, s[28:29]
	v_and_b32_e32 v33, 0x7f800000, v32
	v_cmp_ne_u32_e32 vcc, s56, v33
	s_and_saveexec_b64 s[94:95], vcc
	s_xor_b64 s[94:95], exec, s[94:95]
; %bb.1397:                             ;   in Loop: Header=BB12_1323 Depth=3
	v_bfe_u32 v33, v32, 16, 1
	v_add3_u32 v56, v32, v33, s57
                                        ; implicit-def: $vgpr32
; %bb.1398:                             ;   in Loop: Header=BB12_1323 Depth=3
	s_andn2_saveexec_b64 s[94:95], s[94:95]
	s_cbranch_execz .LBB12_1400
; %bb.1399:                             ;   in Loop: Header=BB12_1323 Depth=3
	buffer_load_dword v34, off, s[0:3], s33 offset:128 ; 4-byte Folded Reload
	buffer_load_dword v35, off, s[0:3], s33 offset:132 ; 4-byte Folded Reload
	v_or_b32_e32 v33, 0x10000, v32
	s_waitcnt vmcnt(1)
	v_cmp_eq_u32_sdwa vcc, v32, v34 src0_sel:WORD_0 src1_sel:DWORD
	v_cndmask_b32_e32 v56, v33, v32, vcc
.LBB12_1400:                            ;   in Loop: Header=BB12_1323 Depth=3
	s_or_b64 exec, exec, s[94:95]
	buffer_load_dword v32, off, s[0:3], s33 offset:200 ; 4-byte Folded Reload
	buffer_load_dword v33, off, s[0:3], s33 offset:204 ; 4-byte Folded Reload
	buffer_load_dword v34, off, s[0:3], s33 offset:208 ; 4-byte Folded Reload
	buffer_load_dword v35, off, s[0:3], s33 offset:212 ; 4-byte Folded Reload
	v_and_b32_e32 v25, 0xffff0000, v25
	v_max_f32_e32 v25, v25, v25
	s_waitcnt vmcnt(2)
	v_and_b32_e32 v32, 0xffff0000, v33
	v_max_f32_e32 v32, v32, v32
	v_min_f32_e32 v33, v25, v32
	v_max_f32_e32 v25, v25, v32
	v_cndmask_b32_e64 v32, v25, v33, s[28:29]
	v_and_b32_e32 v25, 0x7f800000, v32
	v_cmp_ne_u32_e32 vcc, s56, v25
                                        ; implicit-def: $vgpr25
	s_and_saveexec_b64 s[94:95], vcc
	s_xor_b64 s[94:95], exec, s[94:95]
; %bb.1401:                             ;   in Loop: Header=BB12_1323 Depth=3
	v_bfe_u32 v25, v32, 16, 1
	v_add3_u32 v25, v32, v25, s57
                                        ; implicit-def: $vgpr32
; %bb.1402:                             ;   in Loop: Header=BB12_1323 Depth=3
	s_andn2_saveexec_b64 s[94:95], s[94:95]
	s_cbranch_execz .LBB12_1404
; %bb.1403:                             ;   in Loop: Header=BB12_1323 Depth=3
	buffer_load_dword v33, off, s[0:3], s33 offset:128 ; 4-byte Folded Reload
	buffer_load_dword v34, off, s[0:3], s33 offset:132 ; 4-byte Folded Reload
	v_or_b32_e32 v25, 0x10000, v32
	s_waitcnt vmcnt(1)
	v_cmp_eq_u32_sdwa vcc, v32, v33 src0_sel:WORD_0 src1_sel:DWORD
	v_cndmask_b32_e32 v25, v25, v32, vcc
.LBB12_1404:                            ;   in Loop: Header=BB12_1323 Depth=3
	s_or_b64 exec, exec, s[94:95]
	buffer_load_dword v33, off, s[0:3], s33 offset:200 ; 4-byte Folded Reload
	buffer_load_dword v34, off, s[0:3], s33 offset:204 ; 4-byte Folded Reload
	;; [unrolled: 1-line block ×4, first 2 shown]
	v_lshlrev_b32_e32 v32, 16, v26
	v_max_f32_e32 v32, v32, v32
                                        ; implicit-def: $vgpr58
	s_waitcnt vmcnt(1)
	v_lshlrev_b32_e32 v33, 16, v35
	v_max_f32_e32 v33, v33, v33
	v_min_f32_e32 v34, v32, v33
	v_max_f32_e32 v32, v32, v33
	v_cndmask_b32_e64 v32, v32, v34, s[28:29]
	v_and_b32_e32 v33, 0x7f800000, v32
	v_cmp_ne_u32_e32 vcc, s56, v33
	s_and_saveexec_b64 s[94:95], vcc
	s_xor_b64 s[94:95], exec, s[94:95]
; %bb.1405:                             ;   in Loop: Header=BB12_1323 Depth=3
	v_bfe_u32 v33, v32, 16, 1
	v_add3_u32 v58, v32, v33, s57
                                        ; implicit-def: $vgpr32
; %bb.1406:                             ;   in Loop: Header=BB12_1323 Depth=3
	s_andn2_saveexec_b64 s[94:95], s[94:95]
	s_cbranch_execz .LBB12_1408
; %bb.1407:                             ;   in Loop: Header=BB12_1323 Depth=3
	buffer_load_dword v34, off, s[0:3], s33 offset:128 ; 4-byte Folded Reload
	buffer_load_dword v35, off, s[0:3], s33 offset:132 ; 4-byte Folded Reload
	v_or_b32_e32 v33, 0x10000, v32
	s_waitcnt vmcnt(1)
	v_cmp_eq_u32_sdwa vcc, v32, v34 src0_sel:WORD_0 src1_sel:DWORD
	v_cndmask_b32_e32 v58, v33, v32, vcc
.LBB12_1408:                            ;   in Loop: Header=BB12_1323 Depth=3
	s_or_b64 exec, exec, s[94:95]
	buffer_load_dword v32, off, s[0:3], s33 offset:200 ; 4-byte Folded Reload
	buffer_load_dword v33, off, s[0:3], s33 offset:204 ; 4-byte Folded Reload
	;; [unrolled: 1-line block ×4, first 2 shown]
	v_and_b32_e32 v26, 0xffff0000, v26
	v_max_f32_e32 v26, v26, v26
	s_waitcnt vmcnt(1)
	v_and_b32_e32 v32, 0xffff0000, v34
	v_max_f32_e32 v32, v32, v32
	v_min_f32_e32 v33, v26, v32
	v_max_f32_e32 v26, v26, v32
	v_cndmask_b32_e64 v32, v26, v33, s[28:29]
	v_and_b32_e32 v26, 0x7f800000, v32
	v_cmp_ne_u32_e32 vcc, s56, v26
                                        ; implicit-def: $vgpr26
	s_and_saveexec_b64 s[94:95], vcc
	s_xor_b64 s[94:95], exec, s[94:95]
; %bb.1409:                             ;   in Loop: Header=BB12_1323 Depth=3
	v_bfe_u32 v26, v32, 16, 1
	v_add3_u32 v26, v32, v26, s57
                                        ; implicit-def: $vgpr32
; %bb.1410:                             ;   in Loop: Header=BB12_1323 Depth=3
	s_andn2_saveexec_b64 s[94:95], s[94:95]
	s_cbranch_execz .LBB12_1412
; %bb.1411:                             ;   in Loop: Header=BB12_1323 Depth=3
	buffer_load_dword v33, off, s[0:3], s33 offset:128 ; 4-byte Folded Reload
	buffer_load_dword v34, off, s[0:3], s33 offset:132 ; 4-byte Folded Reload
	v_or_b32_e32 v26, 0x10000, v32
	s_waitcnt vmcnt(1)
	v_cmp_eq_u32_sdwa vcc, v32, v33 src0_sel:WORD_0 src1_sel:DWORD
	v_cndmask_b32_e32 v26, v26, v32, vcc
.LBB12_1412:                            ;   in Loop: Header=BB12_1323 Depth=3
	s_or_b64 exec, exec, s[94:95]
	buffer_load_dword v33, off, s[0:3], s33 offset:200 ; 4-byte Folded Reload
	buffer_load_dword v34, off, s[0:3], s33 offset:204 ; 4-byte Folded Reload
	;; [unrolled: 1-line block ×4, first 2 shown]
	v_lshlrev_b32_e32 v32, 16, v27
	v_max_f32_e32 v32, v32, v32
                                        ; implicit-def: $vgpr57
	s_waitcnt vmcnt(0)
	v_lshlrev_b32_e32 v33, 16, v36
	v_max_f32_e32 v33, v33, v33
	v_min_f32_e32 v34, v32, v33
	v_max_f32_e32 v32, v32, v33
	v_cndmask_b32_e64 v32, v32, v34, s[28:29]
	v_and_b32_e32 v33, 0x7f800000, v32
	v_cmp_ne_u32_e32 vcc, s56, v33
	s_and_saveexec_b64 s[94:95], vcc
	s_xor_b64 s[94:95], exec, s[94:95]
; %bb.1413:                             ;   in Loop: Header=BB12_1323 Depth=3
	v_bfe_u32 v33, v32, 16, 1
	v_add3_u32 v57, v32, v33, s57
                                        ; implicit-def: $vgpr32
; %bb.1414:                             ;   in Loop: Header=BB12_1323 Depth=3
	s_andn2_saveexec_b64 s[94:95], s[94:95]
	s_cbranch_execz .LBB12_1416
; %bb.1415:                             ;   in Loop: Header=BB12_1323 Depth=3
	buffer_load_dword v34, off, s[0:3], s33 offset:128 ; 4-byte Folded Reload
	buffer_load_dword v35, off, s[0:3], s33 offset:132 ; 4-byte Folded Reload
	v_or_b32_e32 v33, 0x10000, v32
	s_waitcnt vmcnt(1)
	v_cmp_eq_u32_sdwa vcc, v32, v34 src0_sel:WORD_0 src1_sel:DWORD
	v_cndmask_b32_e32 v57, v33, v32, vcc
.LBB12_1416:                            ;   in Loop: Header=BB12_1323 Depth=3
	s_or_b64 exec, exec, s[94:95]
	buffer_load_dword v32, off, s[0:3], s33 offset:200 ; 4-byte Folded Reload
	buffer_load_dword v33, off, s[0:3], s33 offset:204 ; 4-byte Folded Reload
	;; [unrolled: 1-line block ×4, first 2 shown]
	v_and_b32_e32 v27, 0xffff0000, v27
	v_max_f32_e32 v27, v27, v27
	s_waitcnt vmcnt(0)
	v_and_b32_e32 v32, 0xffff0000, v35
	v_max_f32_e32 v32, v32, v32
	v_min_f32_e32 v33, v27, v32
	v_max_f32_e32 v27, v27, v32
	v_cndmask_b32_e64 v32, v27, v33, s[28:29]
	v_and_b32_e32 v27, 0x7f800000, v32
	v_cmp_ne_u32_e32 vcc, s56, v27
                                        ; implicit-def: $vgpr27
	s_and_saveexec_b64 s[94:95], vcc
	s_xor_b64 s[94:95], exec, s[94:95]
; %bb.1417:                             ;   in Loop: Header=BB12_1323 Depth=3
	v_bfe_u32 v27, v32, 16, 1
	v_add3_u32 v27, v32, v27, s57
                                        ; implicit-def: $vgpr32
; %bb.1418:                             ;   in Loop: Header=BB12_1323 Depth=3
	s_andn2_saveexec_b64 s[94:95], s[94:95]
	s_cbranch_execz .LBB12_1420
; %bb.1419:                             ;   in Loop: Header=BB12_1323 Depth=3
	buffer_load_dword v33, off, s[0:3], s33 offset:128 ; 4-byte Folded Reload
	buffer_load_dword v34, off, s[0:3], s33 offset:132 ; 4-byte Folded Reload
	v_or_b32_e32 v27, 0x10000, v32
	s_waitcnt vmcnt(1)
	v_cmp_eq_u32_sdwa vcc, v32, v33 src0_sel:WORD_0 src1_sel:DWORD
	v_cndmask_b32_e32 v27, v27, v32, vcc
.LBB12_1420:                            ;   in Loop: Header=BB12_1323 Depth=3
	s_or_b64 exec, exec, s[94:95]
	buffer_load_dword v12, off, s[0:3], s33 offset:168 ; 4-byte Folded Reload
	buffer_load_dword v13, off, s[0:3], s33 offset:172 ; 4-byte Folded Reload
	;; [unrolled: 1-line block ×8, first 2 shown]
                                        ; implicit-def: $vgpr61
	s_waitcnt vmcnt(7)
	v_lshlrev_b32_e32 v32, 16, v12
	s_waitcnt vmcnt(3)
	v_lshlrev_b32_e32 v33, 16, v33
	v_max_f32_e32 v33, v33, v33
	v_max_f32_e32 v32, v32, v32
	s_waitcnt vmcnt(2)
	v_min_f32_e32 v34, v32, v33
	v_max_f32_e32 v32, v32, v33
	v_cndmask_b32_e64 v32, v32, v34, s[28:29]
	v_and_b32_e32 v33, 0x7f800000, v32
	v_cmp_ne_u32_e32 vcc, s56, v33
	s_and_saveexec_b64 s[94:95], vcc
	s_xor_b64 s[94:95], exec, s[94:95]
; %bb.1421:                             ;   in Loop: Header=BB12_1323 Depth=3
	v_bfe_u32 v33, v32, 16, 1
	v_add3_u32 v61, v32, v33, s57
                                        ; implicit-def: $vgpr32
; %bb.1422:                             ;   in Loop: Header=BB12_1323 Depth=3
	s_andn2_saveexec_b64 s[94:95], s[94:95]
	s_cbranch_execz .LBB12_1424
; %bb.1423:                             ;   in Loop: Header=BB12_1323 Depth=3
	buffer_load_dword v34, off, s[0:3], s33 offset:128 ; 4-byte Folded Reload
	buffer_load_dword v35, off, s[0:3], s33 offset:132 ; 4-byte Folded Reload
	v_or_b32_e32 v33, 0x10000, v32
	s_waitcnt vmcnt(1)
	v_cmp_eq_u32_sdwa vcc, v32, v34 src0_sel:WORD_0 src1_sel:DWORD
	v_cndmask_b32_e32 v61, v33, v32, vcc
.LBB12_1424:                            ;   in Loop: Header=BB12_1323 Depth=3
	s_or_b64 exec, exec, s[94:95]
	buffer_load_dword v12, off, s[0:3], s33 offset:168 ; 4-byte Folded Reload
	buffer_load_dword v13, off, s[0:3], s33 offset:172 ; 4-byte Folded Reload
	;; [unrolled: 1-line block ×8, first 2 shown]
	s_waitcnt vmcnt(7)
	v_and_b32_e32 v12, 0xffff0000, v12
	s_waitcnt vmcnt(3)
	v_and_b32_e32 v32, 0xffff0000, v32
	v_max_f32_e32 v32, v32, v32
	v_max_f32_e32 v12, v12, v12
	s_waitcnt vmcnt(2)
	v_min_f32_e32 v33, v12, v32
	v_max_f32_e32 v12, v12, v32
	v_cndmask_b32_e64 v32, v12, v33, s[28:29]
	v_and_b32_e32 v12, 0x7f800000, v32
	v_cmp_ne_u32_e32 vcc, s56, v12
                                        ; implicit-def: $vgpr12
	s_and_saveexec_b64 s[94:95], vcc
	s_xor_b64 s[94:95], exec, s[94:95]
; %bb.1425:                             ;   in Loop: Header=BB12_1323 Depth=3
	v_bfe_u32 v12, v32, 16, 1
	v_add3_u32 v12, v32, v12, s57
                                        ; implicit-def: $vgpr32
; %bb.1426:                             ;   in Loop: Header=BB12_1323 Depth=3
	s_andn2_saveexec_b64 s[94:95], s[94:95]
	s_cbranch_execz .LBB12_1428
; %bb.1427:                             ;   in Loop: Header=BB12_1323 Depth=3
	buffer_load_dword v33, off, s[0:3], s33 offset:128 ; 4-byte Folded Reload
	buffer_load_dword v34, off, s[0:3], s33 offset:132 ; 4-byte Folded Reload
	v_or_b32_e32 v12, 0x10000, v32
	s_waitcnt vmcnt(1)
	v_cmp_eq_u32_sdwa vcc, v32, v33 src0_sel:WORD_0 src1_sel:DWORD
	v_cndmask_b32_e32 v12, v12, v32, vcc
.LBB12_1428:                            ;   in Loop: Header=BB12_1323 Depth=3
	s_or_b64 exec, exec, s[94:95]
	buffer_load_dword v32, off, s[0:3], s33 offset:168 ; 4-byte Folded Reload
	buffer_load_dword v33, off, s[0:3], s33 offset:172 ; 4-byte Folded Reload
	;; [unrolled: 1-line block ×4, first 2 shown]
                                        ; implicit-def: $vgpr60
	s_waitcnt vmcnt(2)
	v_lshlrev_b32_e32 v32, 16, v33
	buffer_load_dword v33, off, s[0:3], s33 offset:184 ; 4-byte Folded Reload
	buffer_load_dword v34, off, s[0:3], s33 offset:188 ; 4-byte Folded Reload
	;; [unrolled: 1-line block ×4, first 2 shown]
	v_max_f32_e32 v32, v32, v32
	s_waitcnt vmcnt(2)
	v_lshlrev_b32_e32 v33, 16, v34
	v_max_f32_e32 v33, v33, v33
	v_min_f32_e32 v34, v32, v33
	v_max_f32_e32 v32, v32, v33
	v_cndmask_b32_e64 v32, v32, v34, s[28:29]
	v_and_b32_e32 v33, 0x7f800000, v32
	v_cmp_ne_u32_e32 vcc, s56, v33
	s_and_saveexec_b64 s[94:95], vcc
	s_xor_b64 s[94:95], exec, s[94:95]
; %bb.1429:                             ;   in Loop: Header=BB12_1323 Depth=3
	v_bfe_u32 v33, v32, 16, 1
	v_add3_u32 v60, v32, v33, s57
                                        ; implicit-def: $vgpr32
; %bb.1430:                             ;   in Loop: Header=BB12_1323 Depth=3
	s_andn2_saveexec_b64 s[94:95], s[94:95]
	s_cbranch_execz .LBB12_1432
; %bb.1431:                             ;   in Loop: Header=BB12_1323 Depth=3
	buffer_load_dword v34, off, s[0:3], s33 offset:128 ; 4-byte Folded Reload
	buffer_load_dword v35, off, s[0:3], s33 offset:132 ; 4-byte Folded Reload
	v_or_b32_e32 v33, 0x10000, v32
	s_waitcnt vmcnt(1)
	v_cmp_eq_u32_sdwa vcc, v32, v34 src0_sel:WORD_0 src1_sel:DWORD
	v_cndmask_b32_e32 v60, v33, v32, vcc
.LBB12_1432:                            ;   in Loop: Header=BB12_1323 Depth=3
	s_or_b64 exec, exec, s[94:95]
	buffer_load_dword v32, off, s[0:3], s33 offset:168 ; 4-byte Folded Reload
	buffer_load_dword v33, off, s[0:3], s33 offset:172 ; 4-byte Folded Reload
	;; [unrolled: 1-line block ×4, first 2 shown]
	s_waitcnt vmcnt(2)
	v_and_b32_e32 v13, 0xffff0000, v33
	buffer_load_dword v32, off, s[0:3], s33 offset:184 ; 4-byte Folded Reload
	buffer_load_dword v33, off, s[0:3], s33 offset:188 ; 4-byte Folded Reload
	;; [unrolled: 1-line block ×4, first 2 shown]
	v_max_f32_e32 v13, v13, v13
	s_waitcnt vmcnt(2)
	v_and_b32_e32 v32, 0xffff0000, v33
	v_max_f32_e32 v32, v32, v32
	v_min_f32_e32 v33, v13, v32
	v_max_f32_e32 v13, v13, v32
	v_cndmask_b32_e64 v32, v13, v33, s[28:29]
	v_and_b32_e32 v13, 0x7f800000, v32
	v_cmp_ne_u32_e32 vcc, s56, v13
                                        ; implicit-def: $vgpr13
	s_and_saveexec_b64 s[94:95], vcc
	s_xor_b64 s[94:95], exec, s[94:95]
; %bb.1433:                             ;   in Loop: Header=BB12_1323 Depth=3
	v_bfe_u32 v13, v32, 16, 1
	v_add3_u32 v13, v32, v13, s57
                                        ; implicit-def: $vgpr32
; %bb.1434:                             ;   in Loop: Header=BB12_1323 Depth=3
	s_andn2_saveexec_b64 s[94:95], s[94:95]
	s_cbranch_execz .LBB12_1436
; %bb.1435:                             ;   in Loop: Header=BB12_1323 Depth=3
	buffer_load_dword v33, off, s[0:3], s33 offset:128 ; 4-byte Folded Reload
	buffer_load_dword v34, off, s[0:3], s33 offset:132 ; 4-byte Folded Reload
	v_or_b32_e32 v13, 0x10000, v32
	s_waitcnt vmcnt(1)
	v_cmp_eq_u32_sdwa vcc, v32, v33 src0_sel:WORD_0 src1_sel:DWORD
	v_cndmask_b32_e32 v13, v13, v32, vcc
.LBB12_1436:                            ;   in Loop: Header=BB12_1323 Depth=3
	s_or_b64 exec, exec, s[94:95]
	buffer_load_dword v32, off, s[0:3], s33 offset:168 ; 4-byte Folded Reload
	buffer_load_dword v33, off, s[0:3], s33 offset:172 ; 4-byte Folded Reload
	;; [unrolled: 1-line block ×4, first 2 shown]
	s_waitcnt vmcnt(1)
	v_lshlrev_b32_e32 v32, 16, v34
	buffer_load_dword v33, off, s[0:3], s33 offset:184 ; 4-byte Folded Reload
	buffer_load_dword v34, off, s[0:3], s33 offset:188 ; 4-byte Folded Reload
	buffer_load_dword v35, off, s[0:3], s33 offset:192 ; 4-byte Folded Reload
	buffer_load_dword v36, off, s[0:3], s33 offset:196 ; 4-byte Folded Reload
	v_max_f32_e32 v32, v32, v32
	s_waitcnt vmcnt(1)
	v_lshlrev_b32_e32 v33, 16, v35
	v_max_f32_e32 v33, v33, v33
	v_min_f32_e32 v34, v32, v33
	v_max_f32_e32 v32, v32, v33
	v_cndmask_b32_e64 v33, v32, v34, s[28:29]
	v_and_b32_e32 v32, 0x7f800000, v33
	v_cmp_ne_u32_e32 vcc, s56, v32
                                        ; implicit-def: $vgpr32
	s_and_saveexec_b64 s[94:95], vcc
	s_xor_b64 s[94:95], exec, s[94:95]
; %bb.1437:                             ;   in Loop: Header=BB12_1323 Depth=3
	v_bfe_u32 v32, v33, 16, 1
	v_add3_u32 v32, v33, v32, s57
                                        ; implicit-def: $vgpr33
; %bb.1438:                             ;   in Loop: Header=BB12_1323 Depth=3
	s_andn2_saveexec_b64 s[94:95], s[94:95]
	s_cbranch_execz .LBB12_1440
; %bb.1439:                             ;   in Loop: Header=BB12_1323 Depth=3
	buffer_load_dword v34, off, s[0:3], s33 offset:128 ; 4-byte Folded Reload
	buffer_load_dword v35, off, s[0:3], s33 offset:132 ; 4-byte Folded Reload
	v_or_b32_e32 v32, 0x10000, v33
	s_waitcnt vmcnt(1)
	v_cmp_eq_u32_sdwa vcc, v33, v34 src0_sel:WORD_0 src1_sel:DWORD
	v_cndmask_b32_e32 v32, v32, v33, vcc
.LBB12_1440:                            ;   in Loop: Header=BB12_1323 Depth=3
	s_or_b64 exec, exec, s[94:95]
	buffer_load_dword v33, off, s[0:3], s33 offset:168 ; 4-byte Folded Reload
	buffer_load_dword v34, off, s[0:3], s33 offset:172 ; 4-byte Folded Reload
	;; [unrolled: 1-line block ×4, first 2 shown]
	s_waitcnt vmcnt(1)
	v_and_b32_e32 v14, 0xffff0000, v35
	buffer_load_dword v33, off, s[0:3], s33 offset:184 ; 4-byte Folded Reload
	buffer_load_dword v34, off, s[0:3], s33 offset:188 ; 4-byte Folded Reload
	;; [unrolled: 1-line block ×4, first 2 shown]
	v_max_f32_e32 v14, v14, v14
	s_waitcnt vmcnt(1)
	v_and_b32_e32 v33, 0xffff0000, v35
	v_max_f32_e32 v33, v33, v33
	v_min_f32_e32 v34, v14, v33
	v_max_f32_e32 v14, v14, v33
	v_cndmask_b32_e64 v33, v14, v34, s[28:29]
	v_and_b32_e32 v14, 0x7f800000, v33
	v_cmp_ne_u32_e32 vcc, s56, v14
                                        ; implicit-def: $vgpr14
	s_and_saveexec_b64 s[94:95], vcc
	s_xor_b64 s[94:95], exec, s[94:95]
; %bb.1441:                             ;   in Loop: Header=BB12_1323 Depth=3
	v_bfe_u32 v14, v33, 16, 1
	v_add3_u32 v14, v33, v14, s57
                                        ; implicit-def: $vgpr33
; %bb.1442:                             ;   in Loop: Header=BB12_1323 Depth=3
	s_andn2_saveexec_b64 s[94:95], s[94:95]
	s_cbranch_execz .LBB12_1444
; %bb.1443:                             ;   in Loop: Header=BB12_1323 Depth=3
	buffer_load_dword v34, off, s[0:3], s33 offset:128 ; 4-byte Folded Reload
	buffer_load_dword v35, off, s[0:3], s33 offset:132 ; 4-byte Folded Reload
	v_or_b32_e32 v14, 0x10000, v33
	s_waitcnt vmcnt(1)
	v_cmp_eq_u32_sdwa vcc, v33, v34 src0_sel:WORD_0 src1_sel:DWORD
	v_cndmask_b32_e32 v14, v14, v33, vcc
.LBB12_1444:                            ;   in Loop: Header=BB12_1323 Depth=3
	s_or_b64 exec, exec, s[94:95]
	buffer_load_dword v33, off, s[0:3], s33 offset:168 ; 4-byte Folded Reload
	buffer_load_dword v34, off, s[0:3], s33 offset:172 ; 4-byte Folded Reload
	;; [unrolled: 1-line block ×4, first 2 shown]
	s_waitcnt vmcnt(0)
	v_lshlrev_b32_e32 v33, 16, v36
	buffer_load_dword v34, off, s[0:3], s33 offset:184 ; 4-byte Folded Reload
	buffer_load_dword v35, off, s[0:3], s33 offset:188 ; 4-byte Folded Reload
	;; [unrolled: 1-line block ×4, first 2 shown]
	v_max_f32_e32 v33, v33, v33
	s_waitcnt vmcnt(0)
	v_lshlrev_b32_e32 v34, 16, v37
	v_max_f32_e32 v34, v34, v34
	v_min_f32_e32 v35, v33, v34
	v_max_f32_e32 v33, v33, v34
	v_cndmask_b32_e64 v34, v33, v35, s[28:29]
	v_and_b32_e32 v33, 0x7f800000, v34
	v_cmp_ne_u32_e32 vcc, s56, v33
                                        ; implicit-def: $vgpr33
	s_and_saveexec_b64 s[94:95], vcc
	s_xor_b64 s[94:95], exec, s[94:95]
; %bb.1445:                             ;   in Loop: Header=BB12_1323 Depth=3
	v_bfe_u32 v33, v34, 16, 1
	v_add3_u32 v33, v34, v33, s57
                                        ; implicit-def: $vgpr34
; %bb.1446:                             ;   in Loop: Header=BB12_1323 Depth=3
	s_andn2_saveexec_b64 s[94:95], s[94:95]
	s_cbranch_execz .LBB12_1448
; %bb.1447:                             ;   in Loop: Header=BB12_1323 Depth=3
	buffer_load_dword v37, off, s[0:3], s33 offset:128 ; 4-byte Folded Reload
	buffer_load_dword v38, off, s[0:3], s33 offset:132 ; 4-byte Folded Reload
	v_or_b32_e32 v33, 0x10000, v34
	s_waitcnt vmcnt(1)
	v_cmp_eq_u32_sdwa vcc, v34, v37 src0_sel:WORD_0 src1_sel:DWORD
	v_cndmask_b32_e32 v33, v33, v34, vcc
.LBB12_1448:                            ;   in Loop: Header=BB12_1323 Depth=3
	s_or_b64 exec, exec, s[94:95]
	buffer_load_dword v34, off, s[0:3], s33 offset:168 ; 4-byte Folded Reload
	buffer_load_dword v35, off, s[0:3], s33 offset:172 ; 4-byte Folded Reload
	;; [unrolled: 1-line block ×4, first 2 shown]
	s_waitcnt vmcnt(0)
	v_and_b32_e32 v15, 0xffff0000, v37
	buffer_load_dword v34, off, s[0:3], s33 offset:184 ; 4-byte Folded Reload
	buffer_load_dword v35, off, s[0:3], s33 offset:188 ; 4-byte Folded Reload
	;; [unrolled: 1-line block ×4, first 2 shown]
	v_max_f32_e32 v15, v15, v15
	s_waitcnt vmcnt(0)
	v_and_b32_e32 v34, 0xffff0000, v37
	v_max_f32_e32 v34, v34, v34
	v_min_f32_e32 v35, v15, v34
	v_max_f32_e32 v15, v15, v34
	v_cndmask_b32_e64 v34, v15, v35, s[28:29]
	v_and_b32_e32 v15, 0x7f800000, v34
	v_cmp_ne_u32_e32 vcc, s56, v15
                                        ; implicit-def: $vgpr15
	s_and_saveexec_b64 s[94:95], vcc
	s_xor_b64 s[94:95], exec, s[94:95]
; %bb.1449:                             ;   in Loop: Header=BB12_1323 Depth=3
	v_bfe_u32 v15, v34, 16, 1
	v_add3_u32 v15, v34, v15, s57
                                        ; implicit-def: $vgpr34
; %bb.1450:                             ;   in Loop: Header=BB12_1323 Depth=3
	s_andn2_saveexec_b64 s[94:95], s[94:95]
	s_cbranch_execz .LBB12_1452
; %bb.1451:                             ;   in Loop: Header=BB12_1323 Depth=3
	buffer_load_dword v37, off, s[0:3], s33 offset:128 ; 4-byte Folded Reload
	buffer_load_dword v38, off, s[0:3], s33 offset:132 ; 4-byte Folded Reload
	v_or_b32_e32 v15, 0x10000, v34
	s_waitcnt vmcnt(1)
	v_cmp_eq_u32_sdwa vcc, v34, v37 src0_sel:WORD_0 src1_sel:DWORD
	v_cndmask_b32_e32 v15, v15, v34, vcc
.LBB12_1452:                            ;   in Loop: Header=BB12_1323 Depth=3
	s_or_b64 exec, exec, s[94:95]
	v_lshrrev_b32_e32 v34, 16, v56
	v_and_or_b32 v25, v25, s46, v34
	v_lshrrev_b32_e32 v34, 16, v59
	v_and_or_b32 v24, v24, s46, v34
	;; [unrolled: 2-line block ×4, first 2 shown]
	buffer_load_dword v34, off, s[0:3], s33 offset:392 ; 4-byte Folded Reload
	buffer_load_dword v35, off, s[0:3], s33 offset:452 ; 4-byte Folded Reload
	v_lshrrev_b32_e32 v32, 16, v32
	v_and_or_b32 v14, v14, s46, v32
	v_lshrrev_b32_e32 v32, 16, v33
	v_and_or_b32 v15, v15, s46, v32
	s_waitcnt vmcnt(1)
	v_lshrrev_b32_e32 v34, 16, v34
	s_waitcnt vmcnt(0)
	v_and_or_b32 v37, v35, s46, v34
	buffer_load_dword v34, off, s[0:3], s33 offset:384 ; 4-byte Folded Reload
	buffer_load_dword v35, off, s[0:3], s33 offset:388 ; 4-byte Folded Reload
	s_waitcnt vmcnt(1)
	v_lshrrev_b32_e32 v34, 16, v34
	s_waitcnt vmcnt(0)
	v_and_or_b32 v36, v35, s46, v34
	buffer_load_dword v34, off, s[0:3], s33 offset:460 ; 4-byte Folded Reload
	buffer_load_dword v35, off, s[0:3], s33 offset:468 ; 4-byte Folded Reload
	;; [unrolled: 6-line block ×3, first 2 shown]
	s_waitcnt vmcnt(1)
	v_lshrrev_b32_e32 v34, 16, v34
	v_and_or_b32 v39, v39, s46, v34
	buffer_load_dword v34, off, s[0:3], s33 offset:308 ; 4-byte Folded Reload
	s_waitcnt vmcnt(0)
	v_lshrrev_b32_e32 v34, 16, v34
	v_and_or_b32 v57, v35, s46, v34
	buffer_load_dword v34, off, s[0:3], s33 offset:292 ; 4-byte Folded Reload
	buffer_load_dword v35, off, s[0:3], s33 offset:300 ; 4-byte Folded Reload
	s_waitcnt vmcnt(1)
	v_lshrrev_b32_e32 v34, 16, v34
	s_waitcnt vmcnt(0)
	v_and_or_b32 v56, v35, s46, v34
	buffer_load_dword v34, off, s[0:3], s33 offset:360 ; 4-byte Folded Reload
	buffer_load_dword v35, off, s[0:3], s33 offset:368 ; 4-byte Folded Reload
	s_waitcnt vmcnt(1)
	v_lshrrev_b32_e32 v34, 16, v34
	s_waitcnt vmcnt(0)
	;; [unrolled: 6-line block ×3, first 2 shown]
	v_and_or_b32 v59, v35, s46, v34
	v_lshrrev_b32_e32 v34, 16, v60
	v_and_or_b32 v13, v13, s46, v34
	v_lshrrev_b32_e32 v34, 16, v61
	v_and_or_b32 v12, v12, s46, v34
	global_store_dwordx4 v[10:11], v[56:59], off glc slc
	global_store_dwordx4 v[10:11], v[36:39], off offset:1024 glc slc
	global_store_dwordx4 v[10:11], v[24:27], off offset:2048 glc slc
	global_store_dwordx4 v[10:11], v[12:15], off offset:3072 glc slc
	global_store_dwordx4 v[0:1], v[56:59], off glc slc
	global_store_dwordx4 v[0:1], v[36:39], off offset:1024 glc slc
	global_store_dwordx4 v[0:1], v[24:27], off offset:2048 glc slc
	buffer_store_dword v12, off, s[0:3], s33 offset:168 ; 4-byte Folded Spill
	s_nop 0
	buffer_store_dword v13, off, s[0:3], s33 offset:172 ; 4-byte Folded Spill
	buffer_store_dword v14, off, s[0:3], s33 offset:176 ; 4-byte Folded Spill
	;; [unrolled: 1-line block ×3, first 2 shown]
	buffer_load_dword v32, off, s[0:3], s33 offset:264 ; 4-byte Folded Reload
	buffer_load_dword v33, off, s[0:3], s33 offset:268 ; 4-byte Folded Reload
	s_waitcnt vmcnt(1)
	v_add_co_u32_e32 v10, vcc, v10, v32
	s_waitcnt vmcnt(0)
	v_addc_co_u32_e32 v11, vcc, v11, v33, vcc
	global_store_dwordx4 v[0:1], v[12:15], off offset:3072 glc slc
	v_add_co_u32_e32 v0, vcc, v0, v32
	v_addc_co_u32_e32 v1, vcc, v1, v33, vcc
.LBB12_1453:                            ;   in Loop: Header=BB12_1323 Depth=3
	s_or_b64 exec, exec, s[30:31]
	buffer_load_dword v32, off, s[0:3], s33 offset:264 ; 4-byte Folded Reload
	buffer_load_dword v33, off, s[0:3], s33 offset:268 ; 4-byte Folded Reload
	s_waitcnt vmcnt(1)
	v_add_co_u32_e32 v22, vcc, v22, v32
	s_waitcnt vmcnt(0)
	v_addc_co_u32_e32 v23, vcc, v23, v33, vcc
	v_add_co_u32_e32 v20, vcc, v20, v32
	v_addc_co_u32_e32 v21, vcc, v21, v33, vcc
	buffer_load_dword v32, off, s[0:3], s33 offset:152 ; 4-byte Folded Reload
	buffer_load_dword v33, off, s[0:3], s33 offset:284 ; 4-byte Folded Reload
	s_waitcnt vmcnt(0)
	v_sub_u32_e32 v33, v33, v32
	v_cmp_lt_i32_e64 s[94:95], 0, v33
	buffer_store_dword v33, off, s[0:3], s33 offset:284 ; 4-byte Folded Spill
	s_and_saveexec_b64 s[30:31], s[94:95]
	s_cbranch_execz .LBB12_1455
; %bb.1454:                             ;   in Loop: Header=BB12_1323 Depth=3
	global_load_dwordx4 v[56:59], v[22:23], off glc slc
	global_load_dwordx4 v[36:39], v[22:23], off offset:1024 glc slc
	global_load_dwordx4 v[24:27], v[22:23], off offset:2048 glc slc
	;; [unrolled: 1-line block ×3, first 2 shown]
	v_add_co_u32_e32 v22, vcc, s81, v22
	v_addc_co_u32_e32 v23, vcc, 0, v23, vcc
	s_waitcnt vmcnt(0)
	buffer_store_dword v12, off, s[0:3], s33 offset:168 ; 4-byte Folded Spill
	s_nop 0
	buffer_store_dword v13, off, s[0:3], s33 offset:172 ; 4-byte Folded Spill
	buffer_store_dword v14, off, s[0:3], s33 offset:176 ; 4-byte Folded Spill
	;; [unrolled: 1-line block ×3, first 2 shown]
	global_load_dwordx4 v[32:35], v[20:21], off glc slc
	s_waitcnt vmcnt(0)
	buffer_store_dword v32, off, s[0:3], s33 offset:240 ; 4-byte Folded Spill
	s_nop 0
	buffer_store_dword v33, off, s[0:3], s33 offset:244 ; 4-byte Folded Spill
	buffer_store_dword v34, off, s[0:3], s33 offset:248 ; 4-byte Folded Spill
	buffer_store_dword v35, off, s[0:3], s33 offset:252 ; 4-byte Folded Spill
	global_load_dwordx4 v[32:35], v[20:21], off offset:1024 glc slc
	s_waitcnt vmcnt(0)
	buffer_store_dword v32, off, s[0:3], s33 offset:216 ; 4-byte Folded Spill
	s_nop 0
	buffer_store_dword v33, off, s[0:3], s33 offset:220 ; 4-byte Folded Spill
	buffer_store_dword v34, off, s[0:3], s33 offset:224 ; 4-byte Folded Spill
	buffer_store_dword v35, off, s[0:3], s33 offset:228 ; 4-byte Folded Spill
	global_load_dwordx4 v[32:35], v[20:21], off offset:2048 glc slc
	s_waitcnt vmcnt(0)
	buffer_store_dword v32, off, s[0:3], s33 offset:200 ; 4-byte Folded Spill
	s_nop 0
	buffer_store_dword v33, off, s[0:3], s33 offset:204 ; 4-byte Folded Spill
	buffer_store_dword v34, off, s[0:3], s33 offset:208 ; 4-byte Folded Spill
	buffer_store_dword v35, off, s[0:3], s33 offset:212 ; 4-byte Folded Spill
	global_load_dwordx4 v[32:35], v[20:21], off offset:3072 glc slc
	v_add_co_u32_e32 v20, vcc, 0x1000, v20
	v_addc_co_u32_e32 v21, vcc, 0, v21, vcc
	s_waitcnt vmcnt(0)
	buffer_store_dword v32, off, s[0:3], s33 offset:184 ; 4-byte Folded Spill
	s_nop 0
	buffer_store_dword v33, off, s[0:3], s33 offset:188 ; 4-byte Folded Spill
	buffer_store_dword v34, off, s[0:3], s33 offset:192 ; 4-byte Folded Spill
	;; [unrolled: 1-line block ×3, first 2 shown]
.LBB12_1455:                            ;   in Loop: Header=BB12_1323 Depth=3
	s_or_b64 exec, exec, s[30:31]
	v_lshlrev_b32_e32 v32, 16, v28
	v_lshlrev_b32_e32 v33, 16, v16
	v_max_f32_e32 v33, v33, v33
	v_max_f32_e32 v32, v32, v32
	v_min_f32_e32 v34, v32, v33
	v_max_f32_e32 v32, v32, v33
	v_cndmask_b32_e64 v32, v32, v34, s[28:29]
	v_and_b32_e32 v33, 0x7f800000, v32
	v_cmp_ne_u32_e32 vcc, s56, v33
                                        ; implicit-def: $vgpr60
	s_and_saveexec_b64 s[30:31], vcc
	s_xor_b64 vcc, exec, s[30:31]
; %bb.1456:                             ;   in Loop: Header=BB12_1323 Depth=3
	v_bfe_u32 v33, v32, 16, 1
	v_add3_u32 v60, v32, v33, s57
                                        ; implicit-def: $vgpr32
; %bb.1457:                             ;   in Loop: Header=BB12_1323 Depth=3
	s_andn2_saveexec_b64 s[30:31], vcc
	s_cbranch_execz .LBB12_1459
; %bb.1458:                             ;   in Loop: Header=BB12_1323 Depth=3
	buffer_load_dword v34, off, s[0:3], s33 offset:128 ; 4-byte Folded Reload
	buffer_load_dword v35, off, s[0:3], s33 offset:132 ; 4-byte Folded Reload
	v_or_b32_e32 v33, 0x10000, v32
	s_waitcnt vmcnt(1)
	v_cmp_eq_u32_sdwa vcc, v32, v34 src0_sel:WORD_0 src1_sel:DWORD
	v_cndmask_b32_e32 v60, v33, v32, vcc
.LBB12_1459:                            ;   in Loop: Header=BB12_1323 Depth=3
	s_or_b64 exec, exec, s[30:31]
	v_and_b32_e32 v28, 0xffff0000, v28
	v_and_b32_e32 v16, 0xffff0000, v16
	v_max_f32_e32 v16, v16, v16
	v_max_f32_e32 v28, v28, v28
	v_min_f32_e32 v32, v28, v16
	v_max_f32_e32 v16, v28, v16
	v_cndmask_b32_e64 v28, v16, v32, s[28:29]
	v_and_b32_e32 v16, 0x7f800000, v28
	v_cmp_ne_u32_e32 vcc, s56, v16
                                        ; implicit-def: $vgpr16
	s_and_saveexec_b64 s[30:31], vcc
	s_xor_b64 vcc, exec, s[30:31]
; %bb.1460:                             ;   in Loop: Header=BB12_1323 Depth=3
	v_bfe_u32 v16, v28, 16, 1
	v_add3_u32 v16, v28, v16, s57
                                        ; implicit-def: $vgpr28
; %bb.1461:                             ;   in Loop: Header=BB12_1323 Depth=3
	s_andn2_saveexec_b64 s[30:31], vcc
	s_cbranch_execz .LBB12_1463
; %bb.1462:                             ;   in Loop: Header=BB12_1323 Depth=3
	buffer_load_dword v32, off, s[0:3], s33 offset:128 ; 4-byte Folded Reload
	buffer_load_dword v33, off, s[0:3], s33 offset:132 ; 4-byte Folded Reload
	v_or_b32_e32 v16, 0x10000, v28
	s_waitcnt vmcnt(1)
	v_cmp_eq_u32_sdwa vcc, v28, v32 src0_sel:WORD_0 src1_sel:DWORD
	v_cndmask_b32_e32 v16, v16, v28, vcc
.LBB12_1463:                            ;   in Loop: Header=BB12_1323 Depth=3
	s_or_b64 exec, exec, s[30:31]
	v_lshlrev_b32_e32 v28, 16, v29
	v_lshlrev_b32_e32 v32, 16, v17
	v_max_f32_e32 v32, v32, v32
	v_max_f32_e32 v28, v28, v28
	s_waitcnt vmcnt(0)
	v_min_f32_e32 v33, v28, v32
	v_max_f32_e32 v28, v28, v32
	v_cndmask_b32_e64 v32, v28, v33, s[28:29]
	v_and_b32_e32 v28, 0x7f800000, v32
	v_cmp_ne_u32_e32 vcc, s56, v28
                                        ; implicit-def: $vgpr28
	s_and_saveexec_b64 s[30:31], vcc
	s_xor_b64 vcc, exec, s[30:31]
; %bb.1464:                             ;   in Loop: Header=BB12_1323 Depth=3
	v_bfe_u32 v28, v32, 16, 1
	v_add3_u32 v28, v32, v28, s57
                                        ; implicit-def: $vgpr32
; %bb.1465:                             ;   in Loop: Header=BB12_1323 Depth=3
	s_andn2_saveexec_b64 s[30:31], vcc
	s_cbranch_execz .LBB12_1467
; %bb.1466:                             ;   in Loop: Header=BB12_1323 Depth=3
	buffer_load_dword v33, off, s[0:3], s33 offset:128 ; 4-byte Folded Reload
	buffer_load_dword v34, off, s[0:3], s33 offset:132 ; 4-byte Folded Reload
	v_or_b32_e32 v28, 0x10000, v32
	s_waitcnt vmcnt(1)
	v_cmp_eq_u32_sdwa vcc, v32, v33 src0_sel:WORD_0 src1_sel:DWORD
	v_cndmask_b32_e32 v28, v28, v32, vcc
.LBB12_1467:                            ;   in Loop: Header=BB12_1323 Depth=3
	s_or_b64 exec, exec, s[30:31]
	v_and_b32_e32 v29, 0xffff0000, v29
	v_and_b32_e32 v17, 0xffff0000, v17
	v_max_f32_e32 v17, v17, v17
	v_max_f32_e32 v29, v29, v29
	v_min_f32_e32 v32, v29, v17
	v_max_f32_e32 v17, v29, v17
	v_cndmask_b32_e64 v29, v17, v32, s[28:29]
	v_and_b32_e32 v17, 0x7f800000, v29
	v_cmp_ne_u32_e32 vcc, s56, v17
                                        ; implicit-def: $vgpr17
	s_and_saveexec_b64 s[30:31], vcc
	s_xor_b64 vcc, exec, s[30:31]
; %bb.1468:                             ;   in Loop: Header=BB12_1323 Depth=3
	v_bfe_u32 v17, v29, 16, 1
	v_add3_u32 v17, v29, v17, s57
                                        ; implicit-def: $vgpr29
; %bb.1469:                             ;   in Loop: Header=BB12_1323 Depth=3
	s_andn2_saveexec_b64 s[30:31], vcc
	s_cbranch_execz .LBB12_1471
; %bb.1470:                             ;   in Loop: Header=BB12_1323 Depth=3
	buffer_load_dword v32, off, s[0:3], s33 offset:128 ; 4-byte Folded Reload
	buffer_load_dword v33, off, s[0:3], s33 offset:132 ; 4-byte Folded Reload
	v_or_b32_e32 v17, 0x10000, v29
	s_waitcnt vmcnt(1)
	v_cmp_eq_u32_sdwa vcc, v29, v32 src0_sel:WORD_0 src1_sel:DWORD
	v_cndmask_b32_e32 v17, v17, v29, vcc
.LBB12_1471:                            ;   in Loop: Header=BB12_1323 Depth=3
	s_or_b64 exec, exec, s[30:31]
	v_lshlrev_b32_e32 v29, 16, v30
	v_lshlrev_b32_e32 v32, 16, v18
	v_max_f32_e32 v32, v32, v32
	v_max_f32_e32 v29, v29, v29
	s_waitcnt vmcnt(0)
	v_min_f32_e32 v33, v29, v32
	v_max_f32_e32 v29, v29, v32
	v_cndmask_b32_e64 v32, v29, v33, s[28:29]
	v_and_b32_e32 v29, 0x7f800000, v32
	v_cmp_ne_u32_e32 vcc, s56, v29
                                        ; implicit-def: $vgpr29
	s_and_saveexec_b64 s[30:31], vcc
	s_xor_b64 vcc, exec, s[30:31]
; %bb.1472:                             ;   in Loop: Header=BB12_1323 Depth=3
	v_bfe_u32 v29, v32, 16, 1
	v_add3_u32 v29, v32, v29, s57
                                        ; implicit-def: $vgpr32
; %bb.1473:                             ;   in Loop: Header=BB12_1323 Depth=3
	s_andn2_saveexec_b64 s[30:31], vcc
	s_cbranch_execz .LBB12_1475
; %bb.1474:                             ;   in Loop: Header=BB12_1323 Depth=3
	buffer_load_dword v33, off, s[0:3], s33 offset:128 ; 4-byte Folded Reload
	buffer_load_dword v34, off, s[0:3], s33 offset:132 ; 4-byte Folded Reload
	v_or_b32_e32 v29, 0x10000, v32
	s_waitcnt vmcnt(1)
	v_cmp_eq_u32_sdwa vcc, v32, v33 src0_sel:WORD_0 src1_sel:DWORD
	v_cndmask_b32_e32 v29, v29, v32, vcc
.LBB12_1475:                            ;   in Loop: Header=BB12_1323 Depth=3
	s_or_b64 exec, exec, s[30:31]
	v_and_b32_e32 v30, 0xffff0000, v30
	v_and_b32_e32 v18, 0xffff0000, v18
	v_max_f32_e32 v18, v18, v18
	v_max_f32_e32 v30, v30, v30
	v_min_f32_e32 v32, v30, v18
	v_max_f32_e32 v18, v30, v18
	v_cndmask_b32_e64 v30, v18, v32, s[28:29]
	v_and_b32_e32 v18, 0x7f800000, v30
	v_cmp_ne_u32_e32 vcc, s56, v18
                                        ; implicit-def: $vgpr18
	s_and_saveexec_b64 s[30:31], vcc
	s_xor_b64 vcc, exec, s[30:31]
; %bb.1476:                             ;   in Loop: Header=BB12_1323 Depth=3
	v_bfe_u32 v18, v30, 16, 1
	v_add3_u32 v18, v30, v18, s57
                                        ; implicit-def: $vgpr30
; %bb.1477:                             ;   in Loop: Header=BB12_1323 Depth=3
	s_andn2_saveexec_b64 s[30:31], vcc
	s_cbranch_execz .LBB12_1479
; %bb.1478:                             ;   in Loop: Header=BB12_1323 Depth=3
	buffer_load_dword v32, off, s[0:3], s33 offset:128 ; 4-byte Folded Reload
	buffer_load_dword v33, off, s[0:3], s33 offset:132 ; 4-byte Folded Reload
	v_or_b32_e32 v18, 0x10000, v30
	s_waitcnt vmcnt(1)
	v_cmp_eq_u32_sdwa vcc, v30, v32 src0_sel:WORD_0 src1_sel:DWORD
	v_cndmask_b32_e32 v18, v18, v30, vcc
.LBB12_1479:                            ;   in Loop: Header=BB12_1323 Depth=3
	s_or_b64 exec, exec, s[30:31]
	v_lshlrev_b32_e32 v30, 16, v31
	v_lshlrev_b32_e32 v32, 16, v19
	v_max_f32_e32 v32, v32, v32
	v_max_f32_e32 v30, v30, v30
	s_waitcnt vmcnt(0)
	v_min_f32_e32 v33, v30, v32
	v_max_f32_e32 v30, v30, v32
	v_cndmask_b32_e64 v32, v30, v33, s[28:29]
	v_and_b32_e32 v30, 0x7f800000, v32
	v_cmp_ne_u32_e32 vcc, s56, v30
                                        ; implicit-def: $vgpr30
	s_and_saveexec_b64 s[30:31], vcc
	s_xor_b64 vcc, exec, s[30:31]
; %bb.1480:                             ;   in Loop: Header=BB12_1323 Depth=3
	v_bfe_u32 v30, v32, 16, 1
	v_add3_u32 v30, v32, v30, s57
                                        ; implicit-def: $vgpr32
; %bb.1481:                             ;   in Loop: Header=BB12_1323 Depth=3
	s_andn2_saveexec_b64 s[30:31], vcc
	s_cbranch_execz .LBB12_1483
; %bb.1482:                             ;   in Loop: Header=BB12_1323 Depth=3
	buffer_load_dword v33, off, s[0:3], s33 offset:128 ; 4-byte Folded Reload
	buffer_load_dword v34, off, s[0:3], s33 offset:132 ; 4-byte Folded Reload
	v_or_b32_e32 v30, 0x10000, v32
	s_waitcnt vmcnt(1)
	v_cmp_eq_u32_sdwa vcc, v32, v33 src0_sel:WORD_0 src1_sel:DWORD
	v_cndmask_b32_e32 v30, v30, v32, vcc
.LBB12_1483:                            ;   in Loop: Header=BB12_1323 Depth=3
	s_or_b64 exec, exec, s[30:31]
	v_and_b32_e32 v31, 0xffff0000, v31
	v_and_b32_e32 v19, 0xffff0000, v19
	v_max_f32_e32 v19, v19, v19
	v_max_f32_e32 v31, v31, v31
	v_min_f32_e32 v32, v31, v19
	v_max_f32_e32 v19, v31, v19
	v_cndmask_b32_e64 v31, v19, v32, s[28:29]
	v_and_b32_e32 v19, 0x7f800000, v31
	v_cmp_ne_u32_e32 vcc, s56, v19
                                        ; implicit-def: $vgpr19
	s_and_saveexec_b64 s[30:31], vcc
	s_xor_b64 vcc, exec, s[30:31]
; %bb.1484:                             ;   in Loop: Header=BB12_1323 Depth=3
	v_bfe_u32 v19, v31, 16, 1
	v_add3_u32 v19, v31, v19, s57
                                        ; implicit-def: $vgpr31
; %bb.1485:                             ;   in Loop: Header=BB12_1323 Depth=3
	s_andn2_saveexec_b64 s[30:31], vcc
	s_cbranch_execz .LBB12_1487
; %bb.1486:                             ;   in Loop: Header=BB12_1323 Depth=3
	buffer_load_dword v32, off, s[0:3], s33 offset:128 ; 4-byte Folded Reload
	buffer_load_dword v33, off, s[0:3], s33 offset:132 ; 4-byte Folded Reload
	v_or_b32_e32 v19, 0x10000, v31
	s_waitcnt vmcnt(1)
	v_cmp_eq_u32_sdwa vcc, v31, v32 src0_sel:WORD_0 src1_sel:DWORD
	v_cndmask_b32_e32 v19, v19, v31, vcc
.LBB12_1487:                            ;   in Loop: Header=BB12_1323 Depth=3
	s_or_b64 exec, exec, s[30:31]
	v_lshlrev_b32_e32 v31, 16, v2
	v_lshlrev_b32_e32 v32, 16, v6
	v_max_f32_e32 v32, v32, v32
	v_max_f32_e32 v31, v31, v31
	s_waitcnt vmcnt(0)
	v_min_f32_e32 v33, v31, v32
	v_max_f32_e32 v31, v31, v32
	v_cndmask_b32_e64 v32, v31, v33, s[28:29]
	v_and_b32_e32 v31, 0x7f800000, v32
	v_cmp_ne_u32_e32 vcc, s56, v31
                                        ; implicit-def: $vgpr31
	s_and_saveexec_b64 s[30:31], vcc
	s_xor_b64 vcc, exec, s[30:31]
; %bb.1488:                             ;   in Loop: Header=BB12_1323 Depth=3
	v_bfe_u32 v31, v32, 16, 1
	v_add3_u32 v31, v32, v31, s57
                                        ; implicit-def: $vgpr32
; %bb.1489:                             ;   in Loop: Header=BB12_1323 Depth=3
	s_andn2_saveexec_b64 s[30:31], vcc
	s_cbranch_execz .LBB12_1491
; %bb.1490:                             ;   in Loop: Header=BB12_1323 Depth=3
	buffer_load_dword v33, off, s[0:3], s33 offset:128 ; 4-byte Folded Reload
	buffer_load_dword v34, off, s[0:3], s33 offset:132 ; 4-byte Folded Reload
	v_or_b32_e32 v31, 0x10000, v32
	s_waitcnt vmcnt(1)
	v_cmp_eq_u32_sdwa vcc, v32, v33 src0_sel:WORD_0 src1_sel:DWORD
	v_cndmask_b32_e32 v31, v31, v32, vcc
.LBB12_1491:                            ;   in Loop: Header=BB12_1323 Depth=3
	s_or_b64 exec, exec, s[30:31]
	v_and_b32_e32 v2, 0xffff0000, v2
	v_and_b32_e32 v6, 0xffff0000, v6
	v_max_f32_e32 v6, v6, v6
	v_max_f32_e32 v2, v2, v2
	v_min_f32_e32 v32, v2, v6
	v_max_f32_e32 v2, v2, v6
	v_cndmask_b32_e64 v6, v2, v32, s[28:29]
	v_and_b32_e32 v2, 0x7f800000, v6
	v_cmp_ne_u32_e32 vcc, s56, v2
                                        ; implicit-def: $vgpr2
	s_and_saveexec_b64 s[30:31], vcc
	s_xor_b64 vcc, exec, s[30:31]
; %bb.1492:                             ;   in Loop: Header=BB12_1323 Depth=3
	v_bfe_u32 v2, v6, 16, 1
	v_add3_u32 v2, v6, v2, s57
                                        ; implicit-def: $vgpr6
; %bb.1493:                             ;   in Loop: Header=BB12_1323 Depth=3
	s_andn2_saveexec_b64 s[30:31], vcc
	s_cbranch_execz .LBB12_1495
; %bb.1494:                             ;   in Loop: Header=BB12_1323 Depth=3
	buffer_load_dword v32, off, s[0:3], s33 offset:128 ; 4-byte Folded Reload
	buffer_load_dword v33, off, s[0:3], s33 offset:132 ; 4-byte Folded Reload
	v_or_b32_e32 v2, 0x10000, v6
	s_waitcnt vmcnt(1)
	v_cmp_eq_u32_sdwa vcc, v6, v32 src0_sel:WORD_0 src1_sel:DWORD
	v_cndmask_b32_e32 v2, v2, v6, vcc
.LBB12_1495:                            ;   in Loop: Header=BB12_1323 Depth=3
	s_or_b64 exec, exec, s[30:31]
	v_lshlrev_b32_e32 v6, 16, v3
	v_lshlrev_b32_e32 v32, 16, v7
	v_max_f32_e32 v32, v32, v32
	v_max_f32_e32 v6, v6, v6
	s_waitcnt vmcnt(0)
	v_min_f32_e32 v33, v6, v32
	v_max_f32_e32 v6, v6, v32
	v_cndmask_b32_e64 v32, v6, v33, s[28:29]
	v_and_b32_e32 v6, 0x7f800000, v32
	v_cmp_ne_u32_e32 vcc, s56, v6
                                        ; implicit-def: $vgpr6
	s_and_saveexec_b64 s[30:31], vcc
	s_xor_b64 vcc, exec, s[30:31]
; %bb.1496:                             ;   in Loop: Header=BB12_1323 Depth=3
	v_bfe_u32 v6, v32, 16, 1
	v_add3_u32 v6, v32, v6, s57
                                        ; implicit-def: $vgpr32
; %bb.1497:                             ;   in Loop: Header=BB12_1323 Depth=3
	s_andn2_saveexec_b64 s[30:31], vcc
	s_cbranch_execz .LBB12_1499
; %bb.1498:                             ;   in Loop: Header=BB12_1323 Depth=3
	buffer_load_dword v33, off, s[0:3], s33 offset:128 ; 4-byte Folded Reload
	buffer_load_dword v34, off, s[0:3], s33 offset:132 ; 4-byte Folded Reload
	v_or_b32_e32 v6, 0x10000, v32
	s_waitcnt vmcnt(1)
	v_cmp_eq_u32_sdwa vcc, v32, v33 src0_sel:WORD_0 src1_sel:DWORD
	v_cndmask_b32_e32 v6, v6, v32, vcc
.LBB12_1499:                            ;   in Loop: Header=BB12_1323 Depth=3
	s_or_b64 exec, exec, s[30:31]
	v_and_b32_e32 v3, 0xffff0000, v3
	v_and_b32_e32 v7, 0xffff0000, v7
	v_max_f32_e32 v7, v7, v7
	v_max_f32_e32 v3, v3, v3
	v_min_f32_e32 v32, v3, v7
	v_max_f32_e32 v3, v3, v7
	v_cndmask_b32_e64 v7, v3, v32, s[28:29]
	v_and_b32_e32 v3, 0x7f800000, v7
	v_cmp_ne_u32_e32 vcc, s56, v3
                                        ; implicit-def: $vgpr3
	s_and_saveexec_b64 s[30:31], vcc
	s_xor_b64 vcc, exec, s[30:31]
; %bb.1500:                             ;   in Loop: Header=BB12_1323 Depth=3
	v_bfe_u32 v3, v7, 16, 1
	v_add3_u32 v3, v7, v3, s57
                                        ; implicit-def: $vgpr7
; %bb.1501:                             ;   in Loop: Header=BB12_1323 Depth=3
	s_andn2_saveexec_b64 s[30:31], vcc
	s_cbranch_execz .LBB12_1503
; %bb.1502:                             ;   in Loop: Header=BB12_1323 Depth=3
	buffer_load_dword v32, off, s[0:3], s33 offset:128 ; 4-byte Folded Reload
	buffer_load_dword v33, off, s[0:3], s33 offset:132 ; 4-byte Folded Reload
	v_or_b32_e32 v3, 0x10000, v7
	s_waitcnt vmcnt(1)
	v_cmp_eq_u32_sdwa vcc, v7, v32 src0_sel:WORD_0 src1_sel:DWORD
	v_cndmask_b32_e32 v3, v3, v7, vcc
.LBB12_1503:                            ;   in Loop: Header=BB12_1323 Depth=3
	s_or_b64 exec, exec, s[30:31]
	v_lshlrev_b32_e32 v7, 16, v4
	v_lshlrev_b32_e32 v32, 16, v8
	v_max_f32_e32 v32, v32, v32
	v_max_f32_e32 v7, v7, v7
	s_waitcnt vmcnt(0)
	v_min_f32_e32 v33, v7, v32
	v_max_f32_e32 v7, v7, v32
	v_cndmask_b32_e64 v32, v7, v33, s[28:29]
	v_and_b32_e32 v7, 0x7f800000, v32
	v_cmp_ne_u32_e32 vcc, s56, v7
                                        ; implicit-def: $vgpr7
	s_and_saveexec_b64 s[30:31], vcc
	s_xor_b64 vcc, exec, s[30:31]
; %bb.1504:                             ;   in Loop: Header=BB12_1323 Depth=3
	v_bfe_u32 v7, v32, 16, 1
	v_add3_u32 v7, v32, v7, s57
                                        ; implicit-def: $vgpr32
; %bb.1505:                             ;   in Loop: Header=BB12_1323 Depth=3
	s_andn2_saveexec_b64 s[30:31], vcc
	s_cbranch_execz .LBB12_1507
; %bb.1506:                             ;   in Loop: Header=BB12_1323 Depth=3
	buffer_load_dword v33, off, s[0:3], s33 offset:128 ; 4-byte Folded Reload
	buffer_load_dword v34, off, s[0:3], s33 offset:132 ; 4-byte Folded Reload
	v_or_b32_e32 v7, 0x10000, v32
	s_waitcnt vmcnt(1)
	v_cmp_eq_u32_sdwa vcc, v32, v33 src0_sel:WORD_0 src1_sel:DWORD
	v_cndmask_b32_e32 v7, v7, v32, vcc
.LBB12_1507:                            ;   in Loop: Header=BB12_1323 Depth=3
	s_or_b64 exec, exec, s[30:31]
	v_and_b32_e32 v4, 0xffff0000, v4
	v_and_b32_e32 v8, 0xffff0000, v8
	v_max_f32_e32 v8, v8, v8
	v_max_f32_e32 v4, v4, v4
	v_min_f32_e32 v32, v4, v8
	v_max_f32_e32 v4, v4, v8
	v_cndmask_b32_e64 v8, v4, v32, s[28:29]
	v_and_b32_e32 v4, 0x7f800000, v8
	v_cmp_ne_u32_e32 vcc, s56, v4
                                        ; implicit-def: $vgpr4
	s_and_saveexec_b64 s[30:31], vcc
	s_xor_b64 vcc, exec, s[30:31]
; %bb.1508:                             ;   in Loop: Header=BB12_1323 Depth=3
	v_bfe_u32 v4, v8, 16, 1
	v_add3_u32 v4, v8, v4, s57
                                        ; implicit-def: $vgpr8
; %bb.1509:                             ;   in Loop: Header=BB12_1323 Depth=3
	s_andn2_saveexec_b64 s[30:31], vcc
	s_cbranch_execz .LBB12_1511
; %bb.1510:                             ;   in Loop: Header=BB12_1323 Depth=3
	buffer_load_dword v32, off, s[0:3], s33 offset:128 ; 4-byte Folded Reload
	buffer_load_dword v33, off, s[0:3], s33 offset:132 ; 4-byte Folded Reload
	v_or_b32_e32 v4, 0x10000, v8
	s_waitcnt vmcnt(1)
	v_cmp_eq_u32_sdwa vcc, v8, v32 src0_sel:WORD_0 src1_sel:DWORD
	v_cndmask_b32_e32 v4, v4, v8, vcc
.LBB12_1511:                            ;   in Loop: Header=BB12_1323 Depth=3
	s_or_b64 exec, exec, s[30:31]
	v_lshlrev_b32_e32 v8, 16, v5
	v_lshlrev_b32_e32 v32, 16, v9
	v_max_f32_e32 v32, v32, v32
	v_max_f32_e32 v8, v8, v8
	s_waitcnt vmcnt(0)
	v_min_f32_e32 v33, v8, v32
	v_max_f32_e32 v8, v8, v32
	v_cndmask_b32_e64 v32, v8, v33, s[28:29]
	v_and_b32_e32 v8, 0x7f800000, v32
	v_cmp_ne_u32_e32 vcc, s56, v8
                                        ; implicit-def: $vgpr8
	s_and_saveexec_b64 s[30:31], vcc
	s_xor_b64 vcc, exec, s[30:31]
; %bb.1512:                             ;   in Loop: Header=BB12_1323 Depth=3
	v_bfe_u32 v8, v32, 16, 1
	v_add3_u32 v8, v32, v8, s57
                                        ; implicit-def: $vgpr32
; %bb.1513:                             ;   in Loop: Header=BB12_1323 Depth=3
	s_andn2_saveexec_b64 s[30:31], vcc
	s_cbranch_execz .LBB12_1515
; %bb.1514:                             ;   in Loop: Header=BB12_1323 Depth=3
	buffer_load_dword v33, off, s[0:3], s33 offset:128 ; 4-byte Folded Reload
	buffer_load_dword v34, off, s[0:3], s33 offset:132 ; 4-byte Folded Reload
	v_or_b32_e32 v8, 0x10000, v32
	s_waitcnt vmcnt(1)
	v_cmp_eq_u32_sdwa vcc, v32, v33 src0_sel:WORD_0 src1_sel:DWORD
	v_cndmask_b32_e32 v8, v8, v32, vcc
.LBB12_1515:                            ;   in Loop: Header=BB12_1323 Depth=3
	s_or_b64 exec, exec, s[30:31]
	v_and_b32_e32 v5, 0xffff0000, v5
	v_and_b32_e32 v9, 0xffff0000, v9
	v_max_f32_e32 v9, v9, v9
	v_max_f32_e32 v5, v5, v5
	v_min_f32_e32 v32, v5, v9
	v_max_f32_e32 v5, v5, v9
	v_cndmask_b32_e64 v9, v5, v32, s[28:29]
	v_and_b32_e32 v5, 0x7f800000, v9
	v_cmp_ne_u32_e32 vcc, s56, v5
                                        ; implicit-def: $vgpr5
	s_and_saveexec_b64 s[30:31], vcc
	s_xor_b64 vcc, exec, s[30:31]
; %bb.1516:                             ;   in Loop: Header=BB12_1323 Depth=3
	v_bfe_u32 v5, v9, 16, 1
	v_add3_u32 v5, v9, v5, s57
                                        ; implicit-def: $vgpr9
; %bb.1517:                             ;   in Loop: Header=BB12_1323 Depth=3
	s_andn2_saveexec_b64 s[30:31], vcc
	s_cbranch_execz .LBB12_1519
; %bb.1518:                             ;   in Loop: Header=BB12_1323 Depth=3
	buffer_load_dword v32, off, s[0:3], s33 offset:128 ; 4-byte Folded Reload
	buffer_load_dword v33, off, s[0:3], s33 offset:132 ; 4-byte Folded Reload
	v_or_b32_e32 v5, 0x10000, v9
	s_waitcnt vmcnt(1)
	v_cmp_eq_u32_sdwa vcc, v9, v32 src0_sel:WORD_0 src1_sel:DWORD
	v_cndmask_b32_e32 v5, v5, v9, vcc
.LBB12_1519:                            ;   in Loop: Header=BB12_1323 Depth=3
	s_or_b64 exec, exec, s[30:31]
	v_lshlrev_b32_e32 v9, 16, v40
	v_lshlrev_b32_e32 v32, 16, v44
	v_max_f32_e32 v32, v32, v32
	v_max_f32_e32 v9, v9, v9
	s_waitcnt vmcnt(0)
	v_min_f32_e32 v33, v9, v32
	v_max_f32_e32 v9, v9, v32
	v_cndmask_b32_e64 v32, v9, v33, s[28:29]
	v_and_b32_e32 v9, 0x7f800000, v32
	v_cmp_ne_u32_e32 vcc, s56, v9
                                        ; implicit-def: $vgpr9
	s_and_saveexec_b64 s[30:31], vcc
	s_xor_b64 vcc, exec, s[30:31]
; %bb.1520:                             ;   in Loop: Header=BB12_1323 Depth=3
	v_bfe_u32 v9, v32, 16, 1
	v_add3_u32 v9, v32, v9, s57
                                        ; implicit-def: $vgpr32
; %bb.1521:                             ;   in Loop: Header=BB12_1323 Depth=3
	s_andn2_saveexec_b64 s[30:31], vcc
	s_cbranch_execz .LBB12_1523
; %bb.1522:                             ;   in Loop: Header=BB12_1323 Depth=3
	buffer_load_dword v33, off, s[0:3], s33 offset:128 ; 4-byte Folded Reload
	buffer_load_dword v34, off, s[0:3], s33 offset:132 ; 4-byte Folded Reload
	v_or_b32_e32 v9, 0x10000, v32
	s_waitcnt vmcnt(1)
	v_cmp_eq_u32_sdwa vcc, v32, v33 src0_sel:WORD_0 src1_sel:DWORD
	v_cndmask_b32_e32 v9, v9, v32, vcc
.LBB12_1523:                            ;   in Loop: Header=BB12_1323 Depth=3
	s_or_b64 exec, exec, s[30:31]
	v_and_b32_e32 v32, 0xffff0000, v40
	v_and_b32_e32 v33, 0xffff0000, v44
	v_max_f32_e32 v33, v33, v33
	v_max_f32_e32 v32, v32, v32
	s_waitcnt vmcnt(0)
	v_min_f32_e32 v34, v32, v33
	v_max_f32_e32 v32, v32, v33
	v_cndmask_b32_e64 v32, v32, v34, s[28:29]
	v_and_b32_e32 v33, 0x7f800000, v32
	v_cmp_ne_u32_e32 vcc, s56, v33
                                        ; implicit-def: $vgpr40
	s_and_saveexec_b64 s[30:31], vcc
	s_xor_b64 vcc, exec, s[30:31]
; %bb.1524:                             ;   in Loop: Header=BB12_1323 Depth=3
	v_bfe_u32 v33, v32, 16, 1
	v_add3_u32 v40, v32, v33, s57
                                        ; implicit-def: $vgpr32
; %bb.1525:                             ;   in Loop: Header=BB12_1323 Depth=3
	s_andn2_saveexec_b64 s[30:31], vcc
	s_cbranch_execz .LBB12_1527
; %bb.1526:                             ;   in Loop: Header=BB12_1323 Depth=3
	buffer_load_dword v34, off, s[0:3], s33 offset:128 ; 4-byte Folded Reload
	buffer_load_dword v35, off, s[0:3], s33 offset:132 ; 4-byte Folded Reload
	v_or_b32_e32 v33, 0x10000, v32
	s_waitcnt vmcnt(1)
	v_cmp_eq_u32_sdwa vcc, v32, v34 src0_sel:WORD_0 src1_sel:DWORD
	v_cndmask_b32_e32 v40, v33, v32, vcc
.LBB12_1527:                            ;   in Loop: Header=BB12_1323 Depth=3
	s_or_b64 exec, exec, s[30:31]
	v_lshlrev_b32_e32 v32, 16, v41
	v_lshlrev_b32_e32 v33, 16, v45
	v_max_f32_e32 v33, v33, v33
	v_max_f32_e32 v32, v32, v32
	v_min_f32_e32 v34, v32, v33
	v_max_f32_e32 v32, v32, v33
	v_cndmask_b32_e64 v32, v32, v34, s[28:29]
	v_and_b32_e32 v33, 0x7f800000, v32
	v_cmp_ne_u32_e32 vcc, s56, v33
                                        ; implicit-def: $vgpr44
	s_and_saveexec_b64 s[30:31], vcc
	s_xor_b64 vcc, exec, s[30:31]
; %bb.1528:                             ;   in Loop: Header=BB12_1323 Depth=3
	v_bfe_u32 v33, v32, 16, 1
	v_add3_u32 v44, v32, v33, s57
                                        ; implicit-def: $vgpr32
; %bb.1529:                             ;   in Loop: Header=BB12_1323 Depth=3
	s_andn2_saveexec_b64 s[30:31], vcc
	s_cbranch_execz .LBB12_1531
; %bb.1530:                             ;   in Loop: Header=BB12_1323 Depth=3
	buffer_load_dword v34, off, s[0:3], s33 offset:128 ; 4-byte Folded Reload
	buffer_load_dword v35, off, s[0:3], s33 offset:132 ; 4-byte Folded Reload
	v_or_b32_e32 v33, 0x10000, v32
	s_waitcnt vmcnt(1)
	v_cmp_eq_u32_sdwa vcc, v32, v34 src0_sel:WORD_0 src1_sel:DWORD
	v_cndmask_b32_e32 v44, v33, v32, vcc
.LBB12_1531:                            ;   in Loop: Header=BB12_1323 Depth=3
	s_or_b64 exec, exec, s[30:31]
	v_and_b32_e32 v32, 0xffff0000, v41
	v_and_b32_e32 v33, 0xffff0000, v45
	v_max_f32_e32 v33, v33, v33
	v_max_f32_e32 v32, v32, v32
	v_min_f32_e32 v34, v32, v33
	v_max_f32_e32 v32, v32, v33
	v_cndmask_b32_e64 v32, v32, v34, s[28:29]
	v_and_b32_e32 v33, 0x7f800000, v32
	v_cmp_ne_u32_e32 vcc, s56, v33
                                        ; implicit-def: $vgpr41
	s_and_saveexec_b64 s[30:31], vcc
	s_xor_b64 vcc, exec, s[30:31]
; %bb.1532:                             ;   in Loop: Header=BB12_1323 Depth=3
	v_bfe_u32 v33, v32, 16, 1
	v_add3_u32 v41, v32, v33, s57
                                        ; implicit-def: $vgpr32
; %bb.1533:                             ;   in Loop: Header=BB12_1323 Depth=3
	s_andn2_saveexec_b64 s[30:31], vcc
	s_cbranch_execz .LBB12_1535
; %bb.1534:                             ;   in Loop: Header=BB12_1323 Depth=3
	buffer_load_dword v34, off, s[0:3], s33 offset:128 ; 4-byte Folded Reload
	buffer_load_dword v35, off, s[0:3], s33 offset:132 ; 4-byte Folded Reload
	v_or_b32_e32 v33, 0x10000, v32
	s_waitcnt vmcnt(1)
	v_cmp_eq_u32_sdwa vcc, v32, v34 src0_sel:WORD_0 src1_sel:DWORD
	v_cndmask_b32_e32 v41, v33, v32, vcc
.LBB12_1535:                            ;   in Loop: Header=BB12_1323 Depth=3
	s_or_b64 exec, exec, s[30:31]
	v_lshlrev_b32_e32 v32, 16, v42
	v_lshlrev_b32_e32 v33, 16, v46
	v_max_f32_e32 v33, v33, v33
	v_max_f32_e32 v32, v32, v32
	v_min_f32_e32 v34, v32, v33
	v_max_f32_e32 v32, v32, v33
	v_cndmask_b32_e64 v32, v32, v34, s[28:29]
	v_and_b32_e32 v33, 0x7f800000, v32
	v_cmp_ne_u32_e32 vcc, s56, v33
                                        ; implicit-def: $vgpr45
	s_and_saveexec_b64 s[30:31], vcc
	s_xor_b64 vcc, exec, s[30:31]
; %bb.1536:                             ;   in Loop: Header=BB12_1323 Depth=3
	v_bfe_u32 v33, v32, 16, 1
	v_add3_u32 v45, v32, v33, s57
                                        ; implicit-def: $vgpr32
; %bb.1537:                             ;   in Loop: Header=BB12_1323 Depth=3
	s_andn2_saveexec_b64 s[30:31], vcc
	s_cbranch_execz .LBB12_1539
; %bb.1538:                             ;   in Loop: Header=BB12_1323 Depth=3
	buffer_load_dword v34, off, s[0:3], s33 offset:128 ; 4-byte Folded Reload
	buffer_load_dword v35, off, s[0:3], s33 offset:132 ; 4-byte Folded Reload
	v_or_b32_e32 v33, 0x10000, v32
	s_waitcnt vmcnt(1)
	v_cmp_eq_u32_sdwa vcc, v32, v34 src0_sel:WORD_0 src1_sel:DWORD
	v_cndmask_b32_e32 v45, v33, v32, vcc
.LBB12_1539:                            ;   in Loop: Header=BB12_1323 Depth=3
	s_or_b64 exec, exec, s[30:31]
	v_and_b32_e32 v32, 0xffff0000, v42
	v_and_b32_e32 v33, 0xffff0000, v46
	v_max_f32_e32 v33, v33, v33
	v_max_f32_e32 v32, v32, v32
	v_min_f32_e32 v34, v32, v33
	v_max_f32_e32 v32, v32, v33
	v_cndmask_b32_e64 v32, v32, v34, s[28:29]
	v_and_b32_e32 v33, 0x7f800000, v32
	v_cmp_ne_u32_e32 vcc, s56, v33
                                        ; implicit-def: $vgpr42
	s_and_saveexec_b64 s[30:31], vcc
	s_xor_b64 vcc, exec, s[30:31]
; %bb.1540:                             ;   in Loop: Header=BB12_1323 Depth=3
	v_bfe_u32 v33, v32, 16, 1
	v_add3_u32 v42, v32, v33, s57
                                        ; implicit-def: $vgpr32
; %bb.1541:                             ;   in Loop: Header=BB12_1323 Depth=3
	s_andn2_saveexec_b64 s[30:31], vcc
	s_cbranch_execz .LBB12_1543
; %bb.1542:                             ;   in Loop: Header=BB12_1323 Depth=3
	buffer_load_dword v34, off, s[0:3], s33 offset:128 ; 4-byte Folded Reload
	buffer_load_dword v35, off, s[0:3], s33 offset:132 ; 4-byte Folded Reload
	v_or_b32_e32 v33, 0x10000, v32
	s_waitcnt vmcnt(1)
	v_cmp_eq_u32_sdwa vcc, v32, v34 src0_sel:WORD_0 src1_sel:DWORD
	v_cndmask_b32_e32 v42, v33, v32, vcc
.LBB12_1543:                            ;   in Loop: Header=BB12_1323 Depth=3
	s_or_b64 exec, exec, s[30:31]
	v_lshlrev_b32_e32 v32, 16, v43
	v_lshlrev_b32_e32 v33, 16, v47
	v_max_f32_e32 v33, v33, v33
	v_max_f32_e32 v32, v32, v32
	v_min_f32_e32 v34, v32, v33
	v_max_f32_e32 v32, v32, v33
	v_cndmask_b32_e64 v32, v32, v34, s[28:29]
	v_and_b32_e32 v33, 0x7f800000, v32
	v_cmp_ne_u32_e32 vcc, s56, v33
                                        ; implicit-def: $vgpr46
	s_and_saveexec_b64 s[30:31], vcc
	s_xor_b64 vcc, exec, s[30:31]
; %bb.1544:                             ;   in Loop: Header=BB12_1323 Depth=3
	v_bfe_u32 v33, v32, 16, 1
	v_add3_u32 v46, v32, v33, s57
                                        ; implicit-def: $vgpr32
; %bb.1545:                             ;   in Loop: Header=BB12_1323 Depth=3
	s_andn2_saveexec_b64 s[30:31], vcc
	s_cbranch_execz .LBB12_1547
; %bb.1546:                             ;   in Loop: Header=BB12_1323 Depth=3
	buffer_load_dword v34, off, s[0:3], s33 offset:128 ; 4-byte Folded Reload
	buffer_load_dword v35, off, s[0:3], s33 offset:132 ; 4-byte Folded Reload
	v_or_b32_e32 v33, 0x10000, v32
	s_waitcnt vmcnt(1)
	v_cmp_eq_u32_sdwa vcc, v32, v34 src0_sel:WORD_0 src1_sel:DWORD
	v_cndmask_b32_e32 v46, v33, v32, vcc
.LBB12_1547:                            ;   in Loop: Header=BB12_1323 Depth=3
	s_or_b64 exec, exec, s[30:31]
	v_and_b32_e32 v32, 0xffff0000, v43
	v_and_b32_e32 v33, 0xffff0000, v47
	v_max_f32_e32 v33, v33, v33
	v_max_f32_e32 v32, v32, v32
	v_min_f32_e32 v34, v32, v33
	v_max_f32_e32 v32, v32, v33
	v_cndmask_b32_e64 v32, v32, v34, s[28:29]
	v_and_b32_e32 v33, 0x7f800000, v32
	v_cmp_ne_u32_e32 vcc, s56, v33
                                        ; implicit-def: $vgpr43
	s_and_saveexec_b64 s[30:31], vcc
	s_xor_b64 vcc, exec, s[30:31]
; %bb.1548:                             ;   in Loop: Header=BB12_1323 Depth=3
	v_bfe_u32 v33, v32, 16, 1
	v_add3_u32 v43, v32, v33, s57
                                        ; implicit-def: $vgpr32
; %bb.1549:                             ;   in Loop: Header=BB12_1323 Depth=3
	s_andn2_saveexec_b64 s[30:31], vcc
	s_cbranch_execz .LBB12_1551
; %bb.1550:                             ;   in Loop: Header=BB12_1323 Depth=3
	buffer_load_dword v34, off, s[0:3], s33 offset:128 ; 4-byte Folded Reload
	buffer_load_dword v35, off, s[0:3], s33 offset:132 ; 4-byte Folded Reload
	v_or_b32_e32 v33, 0x10000, v32
	s_waitcnt vmcnt(1)
	v_cmp_eq_u32_sdwa vcc, v32, v34 src0_sel:WORD_0 src1_sel:DWORD
	v_cndmask_b32_e32 v43, v33, v32, vcc
.LBB12_1551:                            ;   in Loop: Header=BB12_1323 Depth=3
	s_or_b64 exec, exec, s[30:31]
	v_lshlrev_b32_e32 v32, 16, v48
	v_lshlrev_b32_e32 v33, 16, v52
	v_max_f32_e32 v33, v33, v33
	v_max_f32_e32 v32, v32, v32
	v_min_f32_e32 v34, v32, v33
	v_max_f32_e32 v32, v32, v33
	v_cndmask_b32_e64 v32, v32, v34, s[28:29]
	v_and_b32_e32 v33, 0x7f800000, v32
	v_cmp_ne_u32_e32 vcc, s56, v33
                                        ; implicit-def: $vgpr47
	s_and_saveexec_b64 s[30:31], vcc
	s_xor_b64 vcc, exec, s[30:31]
; %bb.1552:                             ;   in Loop: Header=BB12_1323 Depth=3
	v_bfe_u32 v33, v32, 16, 1
	v_add3_u32 v47, v32, v33, s57
                                        ; implicit-def: $vgpr32
; %bb.1553:                             ;   in Loop: Header=BB12_1323 Depth=3
	s_andn2_saveexec_b64 s[30:31], vcc
	s_cbranch_execz .LBB12_1555
; %bb.1554:                             ;   in Loop: Header=BB12_1323 Depth=3
	buffer_load_dword v34, off, s[0:3], s33 offset:128 ; 4-byte Folded Reload
	buffer_load_dword v35, off, s[0:3], s33 offset:132 ; 4-byte Folded Reload
	v_or_b32_e32 v33, 0x10000, v32
	s_waitcnt vmcnt(1)
	v_cmp_eq_u32_sdwa vcc, v32, v34 src0_sel:WORD_0 src1_sel:DWORD
	v_cndmask_b32_e32 v47, v33, v32, vcc
.LBB12_1555:                            ;   in Loop: Header=BB12_1323 Depth=3
	s_or_b64 exec, exec, s[30:31]
	v_and_b32_e32 v32, 0xffff0000, v48
	v_and_b32_e32 v33, 0xffff0000, v52
	v_max_f32_e32 v33, v33, v33
	v_max_f32_e32 v32, v32, v32
	v_min_f32_e32 v34, v32, v33
	v_max_f32_e32 v32, v32, v33
	v_cndmask_b32_e64 v32, v32, v34, s[28:29]
	v_and_b32_e32 v33, 0x7f800000, v32
	v_cmp_ne_u32_e32 vcc, s56, v33
                                        ; implicit-def: $vgpr48
	s_and_saveexec_b64 s[30:31], vcc
	s_xor_b64 vcc, exec, s[30:31]
; %bb.1556:                             ;   in Loop: Header=BB12_1323 Depth=3
	v_bfe_u32 v33, v32, 16, 1
	v_add3_u32 v48, v32, v33, s57
                                        ; implicit-def: $vgpr32
; %bb.1557:                             ;   in Loop: Header=BB12_1323 Depth=3
	s_andn2_saveexec_b64 s[30:31], vcc
	s_cbranch_execz .LBB12_1559
; %bb.1558:                             ;   in Loop: Header=BB12_1323 Depth=3
	buffer_load_dword v34, off, s[0:3], s33 offset:128 ; 4-byte Folded Reload
	buffer_load_dword v35, off, s[0:3], s33 offset:132 ; 4-byte Folded Reload
	v_or_b32_e32 v33, 0x10000, v32
	s_waitcnt vmcnt(1)
	v_cmp_eq_u32_sdwa vcc, v32, v34 src0_sel:WORD_0 src1_sel:DWORD
	v_cndmask_b32_e32 v48, v33, v32, vcc
.LBB12_1559:                            ;   in Loop: Header=BB12_1323 Depth=3
	s_or_b64 exec, exec, s[30:31]
	v_lshlrev_b32_e32 v32, 16, v49
	v_lshlrev_b32_e32 v33, 16, v53
	v_max_f32_e32 v33, v33, v33
	v_max_f32_e32 v32, v32, v32
	v_min_f32_e32 v34, v32, v33
	v_max_f32_e32 v32, v32, v33
	v_cndmask_b32_e64 v32, v32, v34, s[28:29]
	v_and_b32_e32 v33, 0x7f800000, v32
	v_cmp_ne_u32_e32 vcc, s56, v33
                                        ; implicit-def: $vgpr52
	s_and_saveexec_b64 s[30:31], vcc
	s_xor_b64 vcc, exec, s[30:31]
; %bb.1560:                             ;   in Loop: Header=BB12_1323 Depth=3
	v_bfe_u32 v33, v32, 16, 1
	v_add3_u32 v52, v32, v33, s57
                                        ; implicit-def: $vgpr32
; %bb.1561:                             ;   in Loop: Header=BB12_1323 Depth=3
	s_andn2_saveexec_b64 s[30:31], vcc
	s_cbranch_execz .LBB12_1563
; %bb.1562:                             ;   in Loop: Header=BB12_1323 Depth=3
	buffer_load_dword v34, off, s[0:3], s33 offset:128 ; 4-byte Folded Reload
	buffer_load_dword v35, off, s[0:3], s33 offset:132 ; 4-byte Folded Reload
	v_or_b32_e32 v33, 0x10000, v32
	s_waitcnt vmcnt(1)
	v_cmp_eq_u32_sdwa vcc, v32, v34 src0_sel:WORD_0 src1_sel:DWORD
	v_cndmask_b32_e32 v52, v33, v32, vcc
.LBB12_1563:                            ;   in Loop: Header=BB12_1323 Depth=3
	s_or_b64 exec, exec, s[30:31]
	v_and_b32_e32 v32, 0xffff0000, v49
	v_and_b32_e32 v33, 0xffff0000, v53
	v_max_f32_e32 v33, v33, v33
	v_max_f32_e32 v32, v32, v32
	v_min_f32_e32 v34, v32, v33
	v_max_f32_e32 v32, v32, v33
	v_cndmask_b32_e64 v32, v32, v34, s[28:29]
	v_and_b32_e32 v33, 0x7f800000, v32
	v_cmp_ne_u32_e32 vcc, s56, v33
                                        ; implicit-def: $vgpr49
	s_and_saveexec_b64 s[30:31], vcc
	s_xor_b64 vcc, exec, s[30:31]
; %bb.1564:                             ;   in Loop: Header=BB12_1323 Depth=3
	v_bfe_u32 v33, v32, 16, 1
	v_add3_u32 v49, v32, v33, s57
                                        ; implicit-def: $vgpr32
; %bb.1565:                             ;   in Loop: Header=BB12_1323 Depth=3
	s_andn2_saveexec_b64 s[30:31], vcc
	s_cbranch_execz .LBB12_1567
; %bb.1566:                             ;   in Loop: Header=BB12_1323 Depth=3
	buffer_load_dword v34, off, s[0:3], s33 offset:128 ; 4-byte Folded Reload
	buffer_load_dword v35, off, s[0:3], s33 offset:132 ; 4-byte Folded Reload
	v_or_b32_e32 v33, 0x10000, v32
	s_waitcnt vmcnt(1)
	v_cmp_eq_u32_sdwa vcc, v32, v34 src0_sel:WORD_0 src1_sel:DWORD
	v_cndmask_b32_e32 v49, v33, v32, vcc
.LBB12_1567:                            ;   in Loop: Header=BB12_1323 Depth=3
	s_or_b64 exec, exec, s[30:31]
	v_lshlrev_b32_e32 v32, 16, v50
	v_lshlrev_b32_e32 v33, 16, v54
	v_max_f32_e32 v33, v33, v33
	v_max_f32_e32 v32, v32, v32
	v_min_f32_e32 v34, v32, v33
	v_max_f32_e32 v32, v32, v33
	v_cndmask_b32_e64 v33, v32, v34, s[28:29]
	v_and_b32_e32 v32, 0x7f800000, v33
	v_cmp_ne_u32_e32 vcc, s56, v32
                                        ; implicit-def: $vgpr32
	s_and_saveexec_b64 s[30:31], vcc
	s_xor_b64 vcc, exec, s[30:31]
; %bb.1568:                             ;   in Loop: Header=BB12_1323 Depth=3
	v_bfe_u32 v32, v33, 16, 1
	v_add3_u32 v32, v33, v32, s57
                                        ; implicit-def: $vgpr33
; %bb.1569:                             ;   in Loop: Header=BB12_1323 Depth=3
	s_andn2_saveexec_b64 s[30:31], vcc
	s_cbranch_execz .LBB12_1571
; %bb.1570:                             ;   in Loop: Header=BB12_1323 Depth=3
	buffer_load_dword v34, off, s[0:3], s33 offset:128 ; 4-byte Folded Reload
	buffer_load_dword v35, off, s[0:3], s33 offset:132 ; 4-byte Folded Reload
	v_or_b32_e32 v32, 0x10000, v33
	s_waitcnt vmcnt(1)
	v_cmp_eq_u32_sdwa vcc, v33, v34 src0_sel:WORD_0 src1_sel:DWORD
	v_cndmask_b32_e32 v32, v32, v33, vcc
.LBB12_1571:                            ;   in Loop: Header=BB12_1323 Depth=3
	s_or_b64 exec, exec, s[30:31]
	v_and_b32_e32 v33, 0xffff0000, v50
	v_and_b32_e32 v34, 0xffff0000, v54
	v_max_f32_e32 v34, v34, v34
	v_max_f32_e32 v33, v33, v33
	s_waitcnt vmcnt(0)
	v_min_f32_e32 v35, v33, v34
	v_max_f32_e32 v33, v33, v34
	v_cndmask_b32_e64 v34, v33, v35, s[28:29]
	v_and_b32_e32 v33, 0x7f800000, v34
	v_cmp_ne_u32_e32 vcc, s56, v33
                                        ; implicit-def: $vgpr33
	s_and_saveexec_b64 s[30:31], vcc
	s_xor_b64 vcc, exec, s[30:31]
; %bb.1572:                             ;   in Loop: Header=BB12_1323 Depth=3
	v_bfe_u32 v33, v34, 16, 1
	v_add3_u32 v33, v34, v33, s57
                                        ; implicit-def: $vgpr34
; %bb.1573:                             ;   in Loop: Header=BB12_1323 Depth=3
	s_andn2_saveexec_b64 s[30:31], vcc
	s_cbranch_execz .LBB12_1575
; %bb.1574:                             ;   in Loop: Header=BB12_1323 Depth=3
	buffer_load_dword v53, off, s[0:3], s33 offset:128 ; 4-byte Folded Reload
	buffer_load_dword v54, off, s[0:3], s33 offset:132 ; 4-byte Folded Reload
	v_or_b32_e32 v33, 0x10000, v34
	s_waitcnt vmcnt(1)
	v_cmp_eq_u32_sdwa vcc, v34, v53 src0_sel:WORD_0 src1_sel:DWORD
	v_cndmask_b32_e32 v33, v33, v34, vcc
.LBB12_1575:                            ;   in Loop: Header=BB12_1323 Depth=3
	s_or_b64 exec, exec, s[30:31]
	v_lshlrev_b32_e32 v34, 16, v51
	v_lshlrev_b32_e32 v35, 16, v55
	v_max_f32_e32 v35, v35, v35
	v_max_f32_e32 v34, v34, v34
	v_min_f32_e32 v50, v34, v35
	v_max_f32_e32 v34, v34, v35
	v_cndmask_b32_e64 v35, v34, v50, s[28:29]
	v_and_b32_e32 v34, 0x7f800000, v35
	v_cmp_ne_u32_e32 vcc, s56, v34
                                        ; implicit-def: $vgpr34
	s_and_saveexec_b64 s[30:31], vcc
	s_xor_b64 vcc, exec, s[30:31]
; %bb.1576:                             ;   in Loop: Header=BB12_1323 Depth=3
	v_bfe_u32 v34, v35, 16, 1
	v_add3_u32 v34, v35, v34, s57
                                        ; implicit-def: $vgpr35
; %bb.1577:                             ;   in Loop: Header=BB12_1323 Depth=3
	s_andn2_saveexec_b64 s[30:31], vcc
	s_cbranch_execz .LBB12_1579
; %bb.1578:                             ;   in Loop: Header=BB12_1323 Depth=3
	buffer_load_dword v53, off, s[0:3], s33 offset:128 ; 4-byte Folded Reload
	buffer_load_dword v54, off, s[0:3], s33 offset:132 ; 4-byte Folded Reload
	v_or_b32_e32 v34, 0x10000, v35
	s_waitcnt vmcnt(1)
	v_cmp_eq_u32_sdwa vcc, v35, v53 src0_sel:WORD_0 src1_sel:DWORD
	v_cndmask_b32_e32 v34, v34, v35, vcc
.LBB12_1579:                            ;   in Loop: Header=BB12_1323 Depth=3
	s_or_b64 exec, exec, s[30:31]
	v_and_b32_e32 v35, 0xffff0000, v51
	v_and_b32_e32 v50, 0xffff0000, v55
	v_max_f32_e32 v50, v50, v50
	v_max_f32_e32 v35, v35, v35
	v_min_f32_e32 v51, v35, v50
	v_max_f32_e32 v35, v35, v50
	v_cndmask_b32_e64 v50, v35, v51, s[28:29]
	v_and_b32_e32 v35, 0x7f800000, v50
	v_cmp_ne_u32_e32 vcc, s56, v35
                                        ; implicit-def: $vgpr35
	s_and_saveexec_b64 s[30:31], vcc
	s_xor_b64 vcc, exec, s[30:31]
; %bb.1580:                             ;   in Loop: Header=BB12_1323 Depth=3
	v_bfe_u32 v35, v50, 16, 1
	v_add3_u32 v35, v50, v35, s57
                                        ; implicit-def: $vgpr50
; %bb.1581:                             ;   in Loop: Header=BB12_1323 Depth=3
	s_andn2_saveexec_b64 s[30:31], vcc
	s_cbranch_execz .LBB12_1583
; %bb.1582:                             ;   in Loop: Header=BB12_1323 Depth=3
	buffer_load_dword v53, off, s[0:3], s33 offset:128 ; 4-byte Folded Reload
	buffer_load_dword v54, off, s[0:3], s33 offset:132 ; 4-byte Folded Reload
	v_or_b32_e32 v35, 0x10000, v50
	s_waitcnt vmcnt(1)
	v_cmp_eq_u32_sdwa vcc, v50, v53 src0_sel:WORD_0 src1_sel:DWORD
	v_cndmask_b32_e32 v35, v35, v50, vcc
.LBB12_1583:                            ;   in Loop: Header=BB12_1323 Depth=3
	s_or_b64 exec, exec, s[30:31]
	v_lshrrev_b32_e32 v6, 16, v6
	v_and_or_b32 v3, v3, s46, v6
	v_lshrrev_b32_e32 v6, 16, v31
	v_and_or_b32 v2, v2, s46, v6
	v_lshrrev_b32_e32 v6, 16, v7
	v_lshrrev_b32_e32 v9, 16, v9
	v_and_or_b32 v4, v4, s46, v6
	v_lshrrev_b32_e32 v6, 16, v8
	v_and_or_b32 v40, v40, s46, v9
	;; [unrolled: 2-line block ×6, first 2 shown]
	v_and_or_b32 v6, v16, s46, v6
	v_lshrrev_b32_e32 v8, 16, v29
	v_lshrrev_b32_e32 v9, 16, v30
	;; [unrolled: 1-line block ×4, first 2 shown]
	v_and_or_b32 v8, v18, s46, v8
	v_and_or_b32 v9, v19, s46, v9
	v_and_or_b32 v17, v49, s46, v16
	v_lshrrev_b32_e32 v16, 16, v47
	v_lshrrev_b32_e32 v18, 16, v32
	;; [unrolled: 1-line block ×3, first 2 shown]
	v_and_or_b32 v41, v41, s46, v50
	v_and_or_b32 v16, v48, s46, v16
	;; [unrolled: 1-line block ×4, first 2 shown]
	global_store_dwordx4 v[10:11], v[6:9], off glc slc
	global_store_dwordx4 v[10:11], v[2:5], off offset:1024 glc slc
	global_store_dwordx4 v[10:11], v[40:43], off offset:2048 glc slc
	;; [unrolled: 1-line block ×3, first 2 shown]
	v_add_co_u32_e32 v10, vcc, 0x1000, v10
	v_addc_co_u32_e32 v11, vcc, 0, v11, vcc
	global_store_dwordx4 v[0:1], v[6:9], off glc slc
	global_store_dwordx4 v[0:1], v[2:5], off offset:1024 glc slc
	global_store_dwordx4 v[0:1], v[40:43], off offset:2048 glc slc
	;; [unrolled: 1-line block ×3, first 2 shown]
	v_add_co_u32_e32 v0, vcc, 0x1000, v0
	v_addc_co_u32_e32 v1, vcc, 0, v1, vcc
	s_and_saveexec_b64 s[30:31], s[94:95]
	s_cbranch_execz .LBB12_1322
; %bb.1584:                             ;   in Loop: Header=BB12_1323 Depth=3
	buffer_load_dword v2, off, s[0:3], s33 offset:332 ; 4-byte Folded Reload
	buffer_load_dword v3, off, s[0:3], s33 offset:336 ; 4-byte Folded Reload
	s_waitcnt vmcnt(1)
	v_add_co_u32_e32 v10, vcc, v10, v2
	s_waitcnt vmcnt(0)
	v_addc_co_u32_e32 v11, vcc, v11, v3, vcc
	v_add_co_u32_e32 v0, vcc, v0, v2
	v_addc_co_u32_e32 v1, vcc, v1, v3, vcc
	v_add_co_u32_e32 v22, vcc, v22, v2
	;; [unrolled: 2-line block ×3, first 2 shown]
	v_addc_co_u32_e32 v21, vcc, v21, v3, vcc
	buffer_load_dword v2, off, s[0:3], s33 offset:152 ; 4-byte Folded Reload
	buffer_load_dword v3, off, s[0:3], s33 offset:284 ; 4-byte Folded Reload
	s_waitcnt vmcnt(0)
	v_sub_u32_e32 v3, v3, v2
	buffer_store_dword v3, off, s[0:3], s33 offset:284 ; 4-byte Folded Spill
	s_branch .LBB12_1322
.LBB12_1585:                            ;   in Loop: Header=BB12_1245 Depth=2
	s_mov_b64 s[28:29], 0
	s_and_saveexec_b64 s[40:41], s[10:11]
	s_cbranch_execnz .LBB12_2827
	s_branch .LBB12_2845
.LBB12_1586:                            ;   in Loop: Header=BB12_1245 Depth=2
	s_mov_b64 s[92:93], 0
                                        ; implicit-def: $sgpr65
	s_andn2_b64 vcc, exec, s[40:41]
	v_mov_b32_e32 v4, 0
	s_cbranch_vccz .LBB12_1320
.LBB12_1587:                            ;   in Loop: Header=BB12_1245 Depth=2
	buffer_load_dword v2, off, s[0:3], s33 offset:484 ; 4-byte Folded Reload
	v_mov_b32_e32 v5, v50
	v_mov_b32_e32 v8, v41
	s_and_saveexec_b64 s[44:45], s[92:93]
	s_cbranch_execnz .LBB12_1840
	s_branch .LBB12_2076
.LBB12_1588:                            ;   in Loop: Header=BB12_1245 Depth=2
	s_or_b64 exec, exec, s[42:43]
	buffer_load_dword v41, off, s[0:3], s33 offset:524 ; 4-byte Folded Reload
	buffer_load_dword v44, off, s[0:3], s33 offset:528 ; 4-byte Folded Reload
	;; [unrolled: 1-line block ×12, first 2 shown]
	s_and_b64 s[28:29], s[44:45], exec
.LBB12_1589:                            ;   in Loop: Header=BB12_1245 Depth=2
	s_or_b64 exec, exec, s[40:41]
	s_and_saveexec_b64 s[40:41], s[28:29]
	s_cbranch_execz .LBB12_1719
; %bb.1590:                             ;   in Loop: Header=BB12_1245 Depth=2
	buffer_load_dword v3, off, s[0:3], s33 offset:240 ; 4-byte Folded Reload
	buffer_load_dword v4, off, s[0:3], s33 offset:244 ; 4-byte Folded Reload
	;; [unrolled: 1-line block ×4, first 2 shown]
	s_and_b32 s9, 0xffff, s65
	v_lshlrev_b32_e32 v2, 16, v56
	s_cmp_eq_u32 s9, 0
	v_max_f32_e32 v2, v2, v2
	s_cselect_b64 vcc, -1, 0
	s_waitcnt vmcnt(3)
	v_lshlrev_b32_e32 v3, 16, v3
	v_max_f32_e32 v3, v3, v3
	s_waitcnt vmcnt(2)
	v_min_f32_e32 v4, v2, v3
	v_max_f32_e32 v2, v2, v3
	v_cndmask_b32_e32 v3, v2, v4, vcc
	v_and_b32_e32 v2, 0x7f800000, v3
	v_cmp_ne_u32_e64 s[28:29], s56, v2
                                        ; implicit-def: $vgpr2
	s_and_saveexec_b64 s[42:43], s[28:29]
	s_xor_b64 s[28:29], exec, s[42:43]
; %bb.1591:                             ;   in Loop: Header=BB12_1245 Depth=2
	v_bfe_u32 v2, v3, 16, 1
	v_add3_u32 v2, v3, v2, s57
                                        ; implicit-def: $vgpr3
; %bb.1592:                             ;   in Loop: Header=BB12_1245 Depth=2
	s_andn2_saveexec_b64 s[42:43], s[28:29]
	s_cbranch_execz .LBB12_1594
; %bb.1593:                             ;   in Loop: Header=BB12_1245 Depth=2
	buffer_load_dword v4, off, s[0:3], s33 offset:128 ; 4-byte Folded Reload
	buffer_load_dword v5, off, s[0:3], s33 offset:132 ; 4-byte Folded Reload
	v_or_b32_e32 v2, 0x10000, v3
	s_waitcnt vmcnt(1)
	v_cmp_eq_u32_sdwa s[28:29], v3, v4 src0_sel:WORD_0 src1_sel:DWORD
	v_cndmask_b32_e64 v2, v2, v3, s[28:29]
.LBB12_1594:                            ;   in Loop: Header=BB12_1245 Depth=2
	s_or_b64 exec, exec, s[42:43]
	buffer_load_dword v4, off, s[0:3], s33 offset:240 ; 4-byte Folded Reload
	buffer_load_dword v5, off, s[0:3], s33 offset:244 ; 4-byte Folded Reload
	;; [unrolled: 1-line block ×4, first 2 shown]
	v_and_b32_e32 v3, 0xffff0000, v56
	v_max_f32_e32 v3, v3, v3
	s_waitcnt vmcnt(3)
	v_and_b32_e32 v4, 0xffff0000, v4
	v_max_f32_e32 v4, v4, v4
	s_waitcnt vmcnt(2)
	v_min_f32_e32 v5, v3, v4
	v_max_f32_e32 v3, v3, v4
	v_cndmask_b32_e32 v4, v3, v5, vcc
	v_and_b32_e32 v3, 0x7f800000, v4
	v_cmp_ne_u32_e64 s[28:29], s56, v3
                                        ; implicit-def: $vgpr3
	s_and_saveexec_b64 s[42:43], s[28:29]
	s_xor_b64 s[28:29], exec, s[42:43]
; %bb.1595:                             ;   in Loop: Header=BB12_1245 Depth=2
	v_bfe_u32 v3, v4, 16, 1
	v_add3_u32 v3, v4, v3, s57
                                        ; implicit-def: $vgpr4
; %bb.1596:                             ;   in Loop: Header=BB12_1245 Depth=2
	s_andn2_saveexec_b64 s[42:43], s[28:29]
	s_cbranch_execz .LBB12_1598
; %bb.1597:                             ;   in Loop: Header=BB12_1245 Depth=2
	buffer_load_dword v5, off, s[0:3], s33 offset:128 ; 4-byte Folded Reload
	buffer_load_dword v6, off, s[0:3], s33 offset:132 ; 4-byte Folded Reload
	v_or_b32_e32 v3, 0x10000, v4
	s_waitcnt vmcnt(1)
	v_cmp_eq_u32_sdwa s[28:29], v4, v5 src0_sel:WORD_0 src1_sel:DWORD
	v_cndmask_b32_e64 v3, v3, v4, s[28:29]
.LBB12_1598:                            ;   in Loop: Header=BB12_1245 Depth=2
	s_or_b64 exec, exec, s[42:43]
	buffer_load_dword v5, off, s[0:3], s33 offset:240 ; 4-byte Folded Reload
	buffer_load_dword v6, off, s[0:3], s33 offset:244 ; 4-byte Folded Reload
	;; [unrolled: 1-line block ×4, first 2 shown]
	v_lshlrev_b32_e32 v4, 16, v57
	v_max_f32_e32 v4, v4, v4
	s_waitcnt vmcnt(2)
	v_lshlrev_b32_e32 v5, 16, v6
	v_max_f32_e32 v5, v5, v5
	v_min_f32_e32 v6, v4, v5
	v_max_f32_e32 v4, v4, v5
	v_cndmask_b32_e32 v5, v4, v6, vcc
	v_and_b32_e32 v4, 0x7f800000, v5
	v_cmp_ne_u32_e64 s[28:29], s56, v4
                                        ; implicit-def: $vgpr4
	s_and_saveexec_b64 s[42:43], s[28:29]
	s_xor_b64 s[28:29], exec, s[42:43]
; %bb.1599:                             ;   in Loop: Header=BB12_1245 Depth=2
	v_bfe_u32 v4, v5, 16, 1
	v_add3_u32 v4, v5, v4, s57
                                        ; implicit-def: $vgpr5
; %bb.1600:                             ;   in Loop: Header=BB12_1245 Depth=2
	s_andn2_saveexec_b64 s[42:43], s[28:29]
	s_cbranch_execz .LBB12_1602
; %bb.1601:                             ;   in Loop: Header=BB12_1245 Depth=2
	buffer_load_dword v6, off, s[0:3], s33 offset:128 ; 4-byte Folded Reload
	buffer_load_dword v7, off, s[0:3], s33 offset:132 ; 4-byte Folded Reload
	v_or_b32_e32 v4, 0x10000, v5
	s_waitcnt vmcnt(1)
	v_cmp_eq_u32_sdwa s[28:29], v5, v6 src0_sel:WORD_0 src1_sel:DWORD
	v_cndmask_b32_e64 v4, v4, v5, s[28:29]
.LBB12_1602:                            ;   in Loop: Header=BB12_1245 Depth=2
	s_or_b64 exec, exec, s[42:43]
	buffer_load_dword v6, off, s[0:3], s33 offset:240 ; 4-byte Folded Reload
	buffer_load_dword v7, off, s[0:3], s33 offset:244 ; 4-byte Folded Reload
	;; [unrolled: 1-line block ×4, first 2 shown]
	v_and_b32_e32 v5, 0xffff0000, v57
	v_max_f32_e32 v5, v5, v5
	s_waitcnt vmcnt(2)
	v_and_b32_e32 v6, 0xffff0000, v7
	v_max_f32_e32 v6, v6, v6
	v_min_f32_e32 v7, v5, v6
	v_max_f32_e32 v5, v5, v6
	v_cndmask_b32_e32 v6, v5, v7, vcc
	v_and_b32_e32 v5, 0x7f800000, v6
	v_cmp_ne_u32_e64 s[28:29], s56, v5
                                        ; implicit-def: $vgpr5
	s_and_saveexec_b64 s[42:43], s[28:29]
	s_xor_b64 s[28:29], exec, s[42:43]
; %bb.1603:                             ;   in Loop: Header=BB12_1245 Depth=2
	v_bfe_u32 v5, v6, 16, 1
	v_add3_u32 v5, v6, v5, s57
                                        ; implicit-def: $vgpr6
; %bb.1604:                             ;   in Loop: Header=BB12_1245 Depth=2
	s_andn2_saveexec_b64 s[42:43], s[28:29]
	s_cbranch_execz .LBB12_1606
; %bb.1605:                             ;   in Loop: Header=BB12_1245 Depth=2
	buffer_load_dword v7, off, s[0:3], s33 offset:128 ; 4-byte Folded Reload
	buffer_load_dword v8, off, s[0:3], s33 offset:132 ; 4-byte Folded Reload
	v_or_b32_e32 v5, 0x10000, v6
	s_waitcnt vmcnt(1)
	v_cmp_eq_u32_sdwa s[28:29], v6, v7 src0_sel:WORD_0 src1_sel:DWORD
	v_cndmask_b32_e64 v5, v5, v6, s[28:29]
.LBB12_1606:                            ;   in Loop: Header=BB12_1245 Depth=2
	s_or_b64 exec, exec, s[42:43]
	buffer_load_dword v12, off, s[0:3], s33 offset:240 ; 4-byte Folded Reload
	buffer_load_dword v13, off, s[0:3], s33 offset:244 ; 4-byte Folded Reload
	;; [unrolled: 1-line block ×4, first 2 shown]
	v_lshlrev_b32_e32 v6, 16, v58
	v_max_f32_e32 v6, v6, v6
	s_waitcnt vmcnt(1)
	v_lshlrev_b32_e32 v7, 16, v14
	v_max_f32_e32 v7, v7, v7
	v_min_f32_e32 v8, v6, v7
	v_max_f32_e32 v6, v6, v7
	v_cndmask_b32_e32 v7, v6, v8, vcc
	v_and_b32_e32 v6, 0x7f800000, v7
	v_cmp_ne_u32_e64 s[28:29], s56, v6
                                        ; implicit-def: $vgpr6
	s_and_saveexec_b64 s[42:43], s[28:29]
	s_xor_b64 s[28:29], exec, s[42:43]
; %bb.1607:                             ;   in Loop: Header=BB12_1245 Depth=2
	v_bfe_u32 v6, v7, 16, 1
	v_add3_u32 v6, v7, v6, s57
                                        ; implicit-def: $vgpr7
; %bb.1608:                             ;   in Loop: Header=BB12_1245 Depth=2
	s_andn2_saveexec_b64 s[42:43], s[28:29]
	s_cbranch_execz .LBB12_1610
; %bb.1609:                             ;   in Loop: Header=BB12_1245 Depth=2
	buffer_load_dword v8, off, s[0:3], s33 offset:128 ; 4-byte Folded Reload
	buffer_load_dword v9, off, s[0:3], s33 offset:132 ; 4-byte Folded Reload
	v_or_b32_e32 v6, 0x10000, v7
	s_waitcnt vmcnt(1)
	v_cmp_eq_u32_sdwa s[28:29], v7, v8 src0_sel:WORD_0 src1_sel:DWORD
	v_cndmask_b32_e64 v6, v6, v7, s[28:29]
.LBB12_1610:                            ;   in Loop: Header=BB12_1245 Depth=2
	s_or_b64 exec, exec, s[42:43]
	buffer_load_dword v12, off, s[0:3], s33 offset:240 ; 4-byte Folded Reload
	buffer_load_dword v13, off, s[0:3], s33 offset:244 ; 4-byte Folded Reload
	;; [unrolled: 1-line block ×4, first 2 shown]
	v_and_b32_e32 v7, 0xffff0000, v58
	v_max_f32_e32 v7, v7, v7
	s_waitcnt vmcnt(1)
	v_and_b32_e32 v8, 0xffff0000, v14
	v_max_f32_e32 v8, v8, v8
	v_min_f32_e32 v9, v7, v8
	v_max_f32_e32 v7, v7, v8
	v_cndmask_b32_e32 v8, v7, v9, vcc
	v_and_b32_e32 v7, 0x7f800000, v8
	v_cmp_ne_u32_e64 s[28:29], s56, v7
                                        ; implicit-def: $vgpr7
	s_and_saveexec_b64 s[42:43], s[28:29]
	s_xor_b64 s[28:29], exec, s[42:43]
; %bb.1611:                             ;   in Loop: Header=BB12_1245 Depth=2
	v_bfe_u32 v7, v8, 16, 1
	v_add3_u32 v7, v8, v7, s57
                                        ; implicit-def: $vgpr8
; %bb.1612:                             ;   in Loop: Header=BB12_1245 Depth=2
	s_andn2_saveexec_b64 s[42:43], s[28:29]
	s_cbranch_execz .LBB12_1614
; %bb.1613:                             ;   in Loop: Header=BB12_1245 Depth=2
	buffer_load_dword v16, off, s[0:3], s33 offset:128 ; 4-byte Folded Reload
	buffer_load_dword v17, off, s[0:3], s33 offset:132 ; 4-byte Folded Reload
	v_or_b32_e32 v7, 0x10000, v8
	s_waitcnt vmcnt(1)
	v_cmp_eq_u32_sdwa s[28:29], v8, v16 src0_sel:WORD_0 src1_sel:DWORD
	v_cndmask_b32_e64 v7, v7, v8, s[28:29]
.LBB12_1614:                            ;   in Loop: Header=BB12_1245 Depth=2
	s_or_b64 exec, exec, s[42:43]
	buffer_load_dword v12, off, s[0:3], s33 offset:240 ; 4-byte Folded Reload
	buffer_load_dword v13, off, s[0:3], s33 offset:244 ; 4-byte Folded Reload
	;; [unrolled: 1-line block ×4, first 2 shown]
	v_lshlrev_b32_e32 v8, 16, v59
	v_max_f32_e32 v8, v8, v8
	s_waitcnt vmcnt(0)
	v_lshlrev_b32_e32 v9, 16, v15
	v_max_f32_e32 v9, v9, v9
	v_min_f32_e32 v16, v8, v9
	v_max_f32_e32 v8, v8, v9
	v_cndmask_b32_e32 v9, v8, v16, vcc
	v_and_b32_e32 v8, 0x7f800000, v9
	v_cmp_ne_u32_e64 s[28:29], s56, v8
                                        ; implicit-def: $vgpr8
	s_and_saveexec_b64 s[42:43], s[28:29]
	s_xor_b64 s[28:29], exec, s[42:43]
; %bb.1615:                             ;   in Loop: Header=BB12_1245 Depth=2
	v_bfe_u32 v8, v9, 16, 1
	v_add3_u32 v8, v9, v8, s57
                                        ; implicit-def: $vgpr9
; %bb.1616:                             ;   in Loop: Header=BB12_1245 Depth=2
	s_andn2_saveexec_b64 s[42:43], s[28:29]
	s_cbranch_execz .LBB12_1618
; %bb.1617:                             ;   in Loop: Header=BB12_1245 Depth=2
	buffer_load_dword v16, off, s[0:3], s33 offset:128 ; 4-byte Folded Reload
	buffer_load_dword v17, off, s[0:3], s33 offset:132 ; 4-byte Folded Reload
	v_or_b32_e32 v8, 0x10000, v9
	s_waitcnt vmcnt(1)
	v_cmp_eq_u32_sdwa s[28:29], v9, v16 src0_sel:WORD_0 src1_sel:DWORD
	v_cndmask_b32_e64 v8, v8, v9, s[28:29]
.LBB12_1618:                            ;   in Loop: Header=BB12_1245 Depth=2
	s_or_b64 exec, exec, s[42:43]
	buffer_load_dword v12, off, s[0:3], s33 offset:240 ; 4-byte Folded Reload
	buffer_load_dword v13, off, s[0:3], s33 offset:244 ; 4-byte Folded Reload
	;; [unrolled: 1-line block ×4, first 2 shown]
	v_and_b32_e32 v9, 0xffff0000, v59
	v_max_f32_e32 v9, v9, v9
	s_waitcnt vmcnt(0)
	v_and_b32_e32 v16, 0xffff0000, v15
	v_max_f32_e32 v16, v16, v16
	v_min_f32_e32 v17, v9, v16
	v_max_f32_e32 v9, v9, v16
	v_cndmask_b32_e32 v16, v9, v17, vcc
	v_and_b32_e32 v9, 0x7f800000, v16
	v_cmp_ne_u32_e64 s[28:29], s56, v9
                                        ; implicit-def: $vgpr9
	s_and_saveexec_b64 s[42:43], s[28:29]
	s_xor_b64 s[28:29], exec, s[42:43]
; %bb.1619:                             ;   in Loop: Header=BB12_1245 Depth=2
	v_bfe_u32 v9, v16, 16, 1
	v_add3_u32 v9, v16, v9, s57
                                        ; implicit-def: $vgpr16
; %bb.1620:                             ;   in Loop: Header=BB12_1245 Depth=2
	s_andn2_saveexec_b64 s[42:43], s[28:29]
	s_cbranch_execz .LBB12_1622
; %bb.1621:                             ;   in Loop: Header=BB12_1245 Depth=2
	buffer_load_dword v17, off, s[0:3], s33 offset:128 ; 4-byte Folded Reload
	buffer_load_dword v18, off, s[0:3], s33 offset:132 ; 4-byte Folded Reload
	v_or_b32_e32 v9, 0x10000, v16
	s_waitcnt vmcnt(1)
	v_cmp_eq_u32_sdwa s[28:29], v16, v17 src0_sel:WORD_0 src1_sel:DWORD
	v_cndmask_b32_e64 v9, v9, v16, s[28:29]
.LBB12_1622:                            ;   in Loop: Header=BB12_1245 Depth=2
	s_or_b64 exec, exec, s[42:43]
	buffer_load_dword v17, off, s[0:3], s33 offset:216 ; 4-byte Folded Reload
	buffer_load_dword v18, off, s[0:3], s33 offset:220 ; 4-byte Folded Reload
	;; [unrolled: 1-line block ×4, first 2 shown]
	v_lshlrev_b32_e32 v16, 16, v36
	v_max_f32_e32 v16, v16, v16
	s_waitcnt vmcnt(3)
	v_lshlrev_b32_e32 v17, 16, v17
	v_max_f32_e32 v17, v17, v17
	s_waitcnt vmcnt(2)
	v_min_f32_e32 v18, v16, v17
	v_max_f32_e32 v16, v16, v17
	v_cndmask_b32_e32 v17, v16, v18, vcc
	v_and_b32_e32 v16, 0x7f800000, v17
	v_cmp_ne_u32_e64 s[28:29], s56, v16
                                        ; implicit-def: $vgpr16
	s_and_saveexec_b64 s[42:43], s[28:29]
	s_xor_b64 s[28:29], exec, s[42:43]
; %bb.1623:                             ;   in Loop: Header=BB12_1245 Depth=2
	v_bfe_u32 v16, v17, 16, 1
	v_add3_u32 v16, v17, v16, s57
                                        ; implicit-def: $vgpr17
; %bb.1624:                             ;   in Loop: Header=BB12_1245 Depth=2
	s_andn2_saveexec_b64 s[42:43], s[28:29]
	s_cbranch_execz .LBB12_1626
; %bb.1625:                             ;   in Loop: Header=BB12_1245 Depth=2
	buffer_load_dword v18, off, s[0:3], s33 offset:128 ; 4-byte Folded Reload
	buffer_load_dword v19, off, s[0:3], s33 offset:132 ; 4-byte Folded Reload
	v_or_b32_e32 v16, 0x10000, v17
	s_waitcnt vmcnt(1)
	v_cmp_eq_u32_sdwa s[28:29], v17, v18 src0_sel:WORD_0 src1_sel:DWORD
	v_cndmask_b32_e64 v16, v16, v17, s[28:29]
.LBB12_1626:                            ;   in Loop: Header=BB12_1245 Depth=2
	s_or_b64 exec, exec, s[42:43]
	buffer_load_dword v18, off, s[0:3], s33 offset:216 ; 4-byte Folded Reload
	buffer_load_dword v19, off, s[0:3], s33 offset:220 ; 4-byte Folded Reload
	buffer_load_dword v20, off, s[0:3], s33 offset:224 ; 4-byte Folded Reload
	buffer_load_dword v21, off, s[0:3], s33 offset:228 ; 4-byte Folded Reload
	v_and_b32_e32 v17, 0xffff0000, v36
	v_max_f32_e32 v17, v17, v17
	s_waitcnt vmcnt(3)
	v_and_b32_e32 v18, 0xffff0000, v18
	v_max_f32_e32 v18, v18, v18
	s_waitcnt vmcnt(2)
	v_min_f32_e32 v19, v17, v18
	v_max_f32_e32 v17, v17, v18
	v_cndmask_b32_e32 v18, v17, v19, vcc
	v_and_b32_e32 v17, 0x7f800000, v18
	v_cmp_ne_u32_e64 s[28:29], s56, v17
                                        ; implicit-def: $vgpr17
	s_and_saveexec_b64 s[42:43], s[28:29]
	s_xor_b64 s[28:29], exec, s[42:43]
; %bb.1627:                             ;   in Loop: Header=BB12_1245 Depth=2
	v_bfe_u32 v17, v18, 16, 1
	v_add3_u32 v17, v18, v17, s57
                                        ; implicit-def: $vgpr18
; %bb.1628:                             ;   in Loop: Header=BB12_1245 Depth=2
	s_andn2_saveexec_b64 s[42:43], s[28:29]
	s_cbranch_execz .LBB12_1630
; %bb.1629:                             ;   in Loop: Header=BB12_1245 Depth=2
	buffer_load_dword v19, off, s[0:3], s33 offset:128 ; 4-byte Folded Reload
	buffer_load_dword v20, off, s[0:3], s33 offset:132 ; 4-byte Folded Reload
	v_or_b32_e32 v17, 0x10000, v18
	s_waitcnt vmcnt(1)
	v_cmp_eq_u32_sdwa s[28:29], v18, v19 src0_sel:WORD_0 src1_sel:DWORD
	v_cndmask_b32_e64 v17, v17, v18, s[28:29]
.LBB12_1630:                            ;   in Loop: Header=BB12_1245 Depth=2
	s_or_b64 exec, exec, s[42:43]
	buffer_load_dword v19, off, s[0:3], s33 offset:216 ; 4-byte Folded Reload
	buffer_load_dword v20, off, s[0:3], s33 offset:220 ; 4-byte Folded Reload
	;; [unrolled: 1-line block ×4, first 2 shown]
	v_lshlrev_b32_e32 v18, 16, v37
	v_max_f32_e32 v18, v18, v18
	s_waitcnt vmcnt(2)
	v_lshlrev_b32_e32 v19, 16, v20
	v_max_f32_e32 v19, v19, v19
	v_min_f32_e32 v20, v18, v19
	v_max_f32_e32 v18, v18, v19
	v_cndmask_b32_e32 v19, v18, v20, vcc
	v_and_b32_e32 v18, 0x7f800000, v19
	v_cmp_ne_u32_e64 s[28:29], s56, v18
                                        ; implicit-def: $vgpr18
	s_and_saveexec_b64 s[42:43], s[28:29]
	s_xor_b64 s[28:29], exec, s[42:43]
; %bb.1631:                             ;   in Loop: Header=BB12_1245 Depth=2
	v_bfe_u32 v18, v19, 16, 1
	v_add3_u32 v18, v19, v18, s57
                                        ; implicit-def: $vgpr19
; %bb.1632:                             ;   in Loop: Header=BB12_1245 Depth=2
	s_andn2_saveexec_b64 s[42:43], s[28:29]
	s_cbranch_execz .LBB12_1634
; %bb.1633:                             ;   in Loop: Header=BB12_1245 Depth=2
	buffer_load_dword v20, off, s[0:3], s33 offset:128 ; 4-byte Folded Reload
	buffer_load_dword v21, off, s[0:3], s33 offset:132 ; 4-byte Folded Reload
	v_or_b32_e32 v18, 0x10000, v19
	s_waitcnt vmcnt(1)
	v_cmp_eq_u32_sdwa s[28:29], v19, v20 src0_sel:WORD_0 src1_sel:DWORD
	v_cndmask_b32_e64 v18, v18, v19, s[28:29]
.LBB12_1634:                            ;   in Loop: Header=BB12_1245 Depth=2
	s_or_b64 exec, exec, s[42:43]
	buffer_load_dword v20, off, s[0:3], s33 offset:216 ; 4-byte Folded Reload
	buffer_load_dword v21, off, s[0:3], s33 offset:220 ; 4-byte Folded Reload
	;; [unrolled: 1-line block ×4, first 2 shown]
	v_and_b32_e32 v19, 0xffff0000, v37
	v_max_f32_e32 v19, v19, v19
	s_waitcnt vmcnt(2)
	v_and_b32_e32 v20, 0xffff0000, v21
	v_max_f32_e32 v20, v20, v20
	v_min_f32_e32 v21, v19, v20
	v_max_f32_e32 v19, v19, v20
	v_cndmask_b32_e32 v20, v19, v21, vcc
	v_and_b32_e32 v19, 0x7f800000, v20
	v_cmp_ne_u32_e64 s[28:29], s56, v19
                                        ; implicit-def: $vgpr19
	s_and_saveexec_b64 s[42:43], s[28:29]
	s_xor_b64 s[28:29], exec, s[42:43]
; %bb.1635:                             ;   in Loop: Header=BB12_1245 Depth=2
	v_bfe_u32 v19, v20, 16, 1
	v_add3_u32 v19, v20, v19, s57
                                        ; implicit-def: $vgpr20
; %bb.1636:                             ;   in Loop: Header=BB12_1245 Depth=2
	s_andn2_saveexec_b64 s[42:43], s[28:29]
	s_cbranch_execz .LBB12_1638
; %bb.1637:                             ;   in Loop: Header=BB12_1245 Depth=2
	buffer_load_dword v21, off, s[0:3], s33 offset:128 ; 4-byte Folded Reload
	buffer_load_dword v22, off, s[0:3], s33 offset:132 ; 4-byte Folded Reload
	v_or_b32_e32 v19, 0x10000, v20
	s_waitcnt vmcnt(1)
	v_cmp_eq_u32_sdwa s[28:29], v20, v21 src0_sel:WORD_0 src1_sel:DWORD
	v_cndmask_b32_e64 v19, v19, v20, s[28:29]
.LBB12_1638:                            ;   in Loop: Header=BB12_1245 Depth=2
	s_or_b64 exec, exec, s[42:43]
	buffer_load_dword v28, off, s[0:3], s33 offset:216 ; 4-byte Folded Reload
	buffer_load_dword v29, off, s[0:3], s33 offset:220 ; 4-byte Folded Reload
	;; [unrolled: 1-line block ×4, first 2 shown]
	v_lshlrev_b32_e32 v20, 16, v38
	v_max_f32_e32 v20, v20, v20
	s_waitcnt vmcnt(1)
	v_lshlrev_b32_e32 v21, 16, v30
	v_max_f32_e32 v21, v21, v21
	v_min_f32_e32 v22, v20, v21
	v_max_f32_e32 v20, v20, v21
	v_cndmask_b32_e32 v21, v20, v22, vcc
	v_and_b32_e32 v20, 0x7f800000, v21
	v_cmp_ne_u32_e64 s[28:29], s56, v20
                                        ; implicit-def: $vgpr20
	s_and_saveexec_b64 s[42:43], s[28:29]
	s_xor_b64 s[28:29], exec, s[42:43]
; %bb.1639:                             ;   in Loop: Header=BB12_1245 Depth=2
	v_bfe_u32 v20, v21, 16, 1
	v_add3_u32 v20, v21, v20, s57
                                        ; implicit-def: $vgpr21
; %bb.1640:                             ;   in Loop: Header=BB12_1245 Depth=2
	s_andn2_saveexec_b64 s[42:43], s[28:29]
	s_cbranch_execz .LBB12_1642
; %bb.1641:                             ;   in Loop: Header=BB12_1245 Depth=2
	buffer_load_dword v22, off, s[0:3], s33 offset:128 ; 4-byte Folded Reload
	buffer_load_dword v23, off, s[0:3], s33 offset:132 ; 4-byte Folded Reload
	v_or_b32_e32 v20, 0x10000, v21
	s_waitcnt vmcnt(1)
	v_cmp_eq_u32_sdwa s[28:29], v21, v22 src0_sel:WORD_0 src1_sel:DWORD
	v_cndmask_b32_e64 v20, v20, v21, s[28:29]
.LBB12_1642:                            ;   in Loop: Header=BB12_1245 Depth=2
	s_or_b64 exec, exec, s[42:43]
	buffer_load_dword v28, off, s[0:3], s33 offset:216 ; 4-byte Folded Reload
	buffer_load_dword v29, off, s[0:3], s33 offset:220 ; 4-byte Folded Reload
	buffer_load_dword v30, off, s[0:3], s33 offset:224 ; 4-byte Folded Reload
	buffer_load_dword v31, off, s[0:3], s33 offset:228 ; 4-byte Folded Reload
	v_and_b32_e32 v21, 0xffff0000, v38
	v_max_f32_e32 v21, v21, v21
	s_waitcnt vmcnt(1)
	v_and_b32_e32 v22, 0xffff0000, v30
	v_max_f32_e32 v22, v22, v22
	v_min_f32_e32 v23, v21, v22
	v_max_f32_e32 v21, v21, v22
	v_cndmask_b32_e32 v22, v21, v23, vcc
	v_and_b32_e32 v21, 0x7f800000, v22
	v_cmp_ne_u32_e64 s[28:29], s56, v21
                                        ; implicit-def: $vgpr21
	s_and_saveexec_b64 s[42:43], s[28:29]
	s_xor_b64 s[28:29], exec, s[42:43]
; %bb.1643:                             ;   in Loop: Header=BB12_1245 Depth=2
	v_bfe_u32 v21, v22, 16, 1
	v_add3_u32 v21, v22, v21, s57
                                        ; implicit-def: $vgpr22
; %bb.1644:                             ;   in Loop: Header=BB12_1245 Depth=2
	s_andn2_saveexec_b64 s[42:43], s[28:29]
	s_cbranch_execz .LBB12_1646
; %bb.1645:                             ;   in Loop: Header=BB12_1245 Depth=2
	buffer_load_dword v28, off, s[0:3], s33 offset:128 ; 4-byte Folded Reload
	buffer_load_dword v29, off, s[0:3], s33 offset:132 ; 4-byte Folded Reload
	v_or_b32_e32 v21, 0x10000, v22
	s_waitcnt vmcnt(1)
	v_cmp_eq_u32_sdwa s[28:29], v22, v28 src0_sel:WORD_0 src1_sel:DWORD
	v_cndmask_b32_e64 v21, v21, v22, s[28:29]
.LBB12_1646:                            ;   in Loop: Header=BB12_1245 Depth=2
	s_or_b64 exec, exec, s[42:43]
	buffer_load_dword v28, off, s[0:3], s33 offset:216 ; 4-byte Folded Reload
	buffer_load_dword v29, off, s[0:3], s33 offset:220 ; 4-byte Folded Reload
	;; [unrolled: 1-line block ×4, first 2 shown]
	v_lshlrev_b32_e32 v22, 16, v39
	v_max_f32_e32 v22, v22, v22
	s_waitcnt vmcnt(0)
	v_lshlrev_b32_e32 v23, 16, v31
	v_max_f32_e32 v23, v23, v23
	v_min_f32_e32 v28, v22, v23
	v_max_f32_e32 v22, v22, v23
	v_cndmask_b32_e32 v23, v22, v28, vcc
	v_and_b32_e32 v22, 0x7f800000, v23
	v_cmp_ne_u32_e64 s[28:29], s56, v22
                                        ; implicit-def: $vgpr22
	s_and_saveexec_b64 s[42:43], s[28:29]
	s_xor_b64 s[28:29], exec, s[42:43]
; %bb.1647:                             ;   in Loop: Header=BB12_1245 Depth=2
	v_bfe_u32 v22, v23, 16, 1
	v_add3_u32 v22, v23, v22, s57
                                        ; implicit-def: $vgpr23
; %bb.1648:                             ;   in Loop: Header=BB12_1245 Depth=2
	s_andn2_saveexec_b64 s[42:43], s[28:29]
	s_cbranch_execz .LBB12_1650
; %bb.1649:                             ;   in Loop: Header=BB12_1245 Depth=2
	buffer_load_dword v28, off, s[0:3], s33 offset:128 ; 4-byte Folded Reload
	buffer_load_dword v29, off, s[0:3], s33 offset:132 ; 4-byte Folded Reload
	v_or_b32_e32 v22, 0x10000, v23
	s_waitcnt vmcnt(1)
	v_cmp_eq_u32_sdwa s[28:29], v23, v28 src0_sel:WORD_0 src1_sel:DWORD
	v_cndmask_b32_e64 v22, v22, v23, s[28:29]
.LBB12_1650:                            ;   in Loop: Header=BB12_1245 Depth=2
	s_or_b64 exec, exec, s[42:43]
	buffer_load_dword v28, off, s[0:3], s33 offset:216 ; 4-byte Folded Reload
	buffer_load_dword v29, off, s[0:3], s33 offset:220 ; 4-byte Folded Reload
	;; [unrolled: 1-line block ×4, first 2 shown]
	v_and_b32_e32 v23, 0xffff0000, v39
	v_max_f32_e32 v23, v23, v23
	s_waitcnt vmcnt(0)
	v_and_b32_e32 v28, 0xffff0000, v31
	v_max_f32_e32 v28, v28, v28
	v_min_f32_e32 v29, v23, v28
	v_max_f32_e32 v23, v23, v28
	v_cndmask_b32_e32 v28, v23, v29, vcc
	v_and_b32_e32 v23, 0x7f800000, v28
	v_cmp_ne_u32_e64 s[28:29], s56, v23
                                        ; implicit-def: $vgpr23
	s_and_saveexec_b64 s[42:43], s[28:29]
	s_xor_b64 s[28:29], exec, s[42:43]
; %bb.1651:                             ;   in Loop: Header=BB12_1245 Depth=2
	v_bfe_u32 v23, v28, 16, 1
	v_add3_u32 v23, v28, v23, s57
                                        ; implicit-def: $vgpr28
; %bb.1652:                             ;   in Loop: Header=BB12_1245 Depth=2
	s_andn2_saveexec_b64 s[42:43], s[28:29]
	s_cbranch_execz .LBB12_1654
; %bb.1653:                             ;   in Loop: Header=BB12_1245 Depth=2
	buffer_load_dword v29, off, s[0:3], s33 offset:128 ; 4-byte Folded Reload
	buffer_load_dword v30, off, s[0:3], s33 offset:132 ; 4-byte Folded Reload
	v_or_b32_e32 v23, 0x10000, v28
	s_waitcnt vmcnt(1)
	v_cmp_eq_u32_sdwa s[28:29], v28, v29 src0_sel:WORD_0 src1_sel:DWORD
	v_cndmask_b32_e64 v23, v23, v28, s[28:29]
.LBB12_1654:                            ;   in Loop: Header=BB12_1245 Depth=2
	s_or_b64 exec, exec, s[42:43]
	buffer_load_dword v29, off, s[0:3], s33 offset:200 ; 4-byte Folded Reload
	buffer_load_dword v30, off, s[0:3], s33 offset:204 ; 4-byte Folded Reload
	;; [unrolled: 1-line block ×4, first 2 shown]
	v_lshlrev_b32_e32 v28, 16, v24
	v_max_f32_e32 v28, v28, v28
	s_waitcnt vmcnt(3)
	v_lshlrev_b32_e32 v29, 16, v29
	v_max_f32_e32 v29, v29, v29
	s_waitcnt vmcnt(2)
	v_min_f32_e32 v30, v28, v29
	v_max_f32_e32 v28, v28, v29
	v_cndmask_b32_e32 v29, v28, v30, vcc
	v_and_b32_e32 v28, 0x7f800000, v29
	v_cmp_ne_u32_e64 s[28:29], s56, v28
                                        ; implicit-def: $vgpr28
	s_and_saveexec_b64 s[42:43], s[28:29]
	s_xor_b64 s[28:29], exec, s[42:43]
; %bb.1655:                             ;   in Loop: Header=BB12_1245 Depth=2
	v_bfe_u32 v28, v29, 16, 1
	v_add3_u32 v28, v29, v28, s57
                                        ; implicit-def: $vgpr29
; %bb.1656:                             ;   in Loop: Header=BB12_1245 Depth=2
	s_andn2_saveexec_b64 s[42:43], s[28:29]
	s_cbranch_execz .LBB12_1658
; %bb.1657:                             ;   in Loop: Header=BB12_1245 Depth=2
	buffer_load_dword v30, off, s[0:3], s33 offset:128 ; 4-byte Folded Reload
	buffer_load_dword v31, off, s[0:3], s33 offset:132 ; 4-byte Folded Reload
	v_or_b32_e32 v28, 0x10000, v29
	s_waitcnt vmcnt(1)
	v_cmp_eq_u32_sdwa s[28:29], v29, v30 src0_sel:WORD_0 src1_sel:DWORD
	v_cndmask_b32_e64 v28, v28, v29, s[28:29]
.LBB12_1658:                            ;   in Loop: Header=BB12_1245 Depth=2
	s_or_b64 exec, exec, s[42:43]
	buffer_load_dword v29, off, s[0:3], s33 offset:200 ; 4-byte Folded Reload
	buffer_load_dword v30, off, s[0:3], s33 offset:204 ; 4-byte Folded Reload
	;; [unrolled: 1-line block ×4, first 2 shown]
	v_and_b32_e32 v24, 0xffff0000, v24
	v_max_f32_e32 v24, v24, v24
	s_waitcnt vmcnt(3)
	v_and_b32_e32 v29, 0xffff0000, v29
	v_max_f32_e32 v29, v29, v29
	s_waitcnt vmcnt(2)
	v_min_f32_e32 v30, v24, v29
	v_max_f32_e32 v24, v24, v29
	v_cndmask_b32_e32 v29, v24, v30, vcc
	v_and_b32_e32 v24, 0x7f800000, v29
	v_cmp_ne_u32_e64 s[28:29], s56, v24
                                        ; implicit-def: $vgpr24
	s_and_saveexec_b64 s[42:43], s[28:29]
	s_xor_b64 s[28:29], exec, s[42:43]
; %bb.1659:                             ;   in Loop: Header=BB12_1245 Depth=2
	v_bfe_u32 v24, v29, 16, 1
	v_add3_u32 v24, v29, v24, s57
                                        ; implicit-def: $vgpr29
; %bb.1660:                             ;   in Loop: Header=BB12_1245 Depth=2
	s_andn2_saveexec_b64 s[42:43], s[28:29]
	s_cbranch_execz .LBB12_1662
; %bb.1661:                             ;   in Loop: Header=BB12_1245 Depth=2
	buffer_load_dword v30, off, s[0:3], s33 offset:128 ; 4-byte Folded Reload
	buffer_load_dword v31, off, s[0:3], s33 offset:132 ; 4-byte Folded Reload
	v_or_b32_e32 v24, 0x10000, v29
	s_waitcnt vmcnt(1)
	v_cmp_eq_u32_sdwa s[28:29], v29, v30 src0_sel:WORD_0 src1_sel:DWORD
	v_cndmask_b32_e64 v24, v24, v29, s[28:29]
.LBB12_1662:                            ;   in Loop: Header=BB12_1245 Depth=2
	s_or_b64 exec, exec, s[42:43]
	buffer_load_dword v30, off, s[0:3], s33 offset:200 ; 4-byte Folded Reload
	buffer_load_dword v31, off, s[0:3], s33 offset:204 ; 4-byte Folded Reload
	;; [unrolled: 1-line block ×4, first 2 shown]
	v_lshlrev_b32_e32 v29, 16, v25
	v_max_f32_e32 v29, v29, v29
	s_waitcnt vmcnt(2)
	v_lshlrev_b32_e32 v30, 16, v31
	v_max_f32_e32 v30, v30, v30
	v_min_f32_e32 v31, v29, v30
	v_max_f32_e32 v29, v29, v30
	v_cndmask_b32_e32 v30, v29, v31, vcc
	v_and_b32_e32 v29, 0x7f800000, v30
	v_cmp_ne_u32_e64 s[28:29], s56, v29
                                        ; implicit-def: $vgpr29
	s_and_saveexec_b64 s[42:43], s[28:29]
	s_xor_b64 s[28:29], exec, s[42:43]
; %bb.1663:                             ;   in Loop: Header=BB12_1245 Depth=2
	v_bfe_u32 v29, v30, 16, 1
	v_add3_u32 v29, v30, v29, s57
                                        ; implicit-def: $vgpr30
; %bb.1664:                             ;   in Loop: Header=BB12_1245 Depth=2
	s_andn2_saveexec_b64 s[42:43], s[28:29]
	s_cbranch_execz .LBB12_1666
; %bb.1665:                             ;   in Loop: Header=BB12_1245 Depth=2
	buffer_load_dword v31, off, s[0:3], s33 offset:128 ; 4-byte Folded Reload
	buffer_load_dword v32, off, s[0:3], s33 offset:132 ; 4-byte Folded Reload
	v_or_b32_e32 v29, 0x10000, v30
	s_waitcnt vmcnt(1)
	v_cmp_eq_u32_sdwa s[28:29], v30, v31 src0_sel:WORD_0 src1_sel:DWORD
	v_cndmask_b32_e64 v29, v29, v30, s[28:29]
.LBB12_1666:                            ;   in Loop: Header=BB12_1245 Depth=2
	s_or_b64 exec, exec, s[42:43]
	buffer_load_dword v30, off, s[0:3], s33 offset:200 ; 4-byte Folded Reload
	buffer_load_dword v31, off, s[0:3], s33 offset:204 ; 4-byte Folded Reload
	;; [unrolled: 1-line block ×4, first 2 shown]
	v_and_b32_e32 v25, 0xffff0000, v25
	v_max_f32_e32 v25, v25, v25
	s_waitcnt vmcnt(2)
	v_and_b32_e32 v30, 0xffff0000, v31
	v_max_f32_e32 v30, v30, v30
	v_min_f32_e32 v31, v25, v30
	v_max_f32_e32 v25, v25, v30
	v_cndmask_b32_e32 v30, v25, v31, vcc
	v_and_b32_e32 v25, 0x7f800000, v30
	v_cmp_ne_u32_e64 s[28:29], s56, v25
                                        ; implicit-def: $vgpr25
	s_and_saveexec_b64 s[42:43], s[28:29]
	s_xor_b64 s[28:29], exec, s[42:43]
; %bb.1667:                             ;   in Loop: Header=BB12_1245 Depth=2
	v_bfe_u32 v25, v30, 16, 1
	v_add3_u32 v25, v30, v25, s57
                                        ; implicit-def: $vgpr30
; %bb.1668:                             ;   in Loop: Header=BB12_1245 Depth=2
	s_andn2_saveexec_b64 s[42:43], s[28:29]
	s_cbranch_execz .LBB12_1670
; %bb.1669:                             ;   in Loop: Header=BB12_1245 Depth=2
	buffer_load_dword v31, off, s[0:3], s33 offset:128 ; 4-byte Folded Reload
	buffer_load_dword v32, off, s[0:3], s33 offset:132 ; 4-byte Folded Reload
	v_or_b32_e32 v25, 0x10000, v30
	s_waitcnt vmcnt(1)
	v_cmp_eq_u32_sdwa s[28:29], v30, v31 src0_sel:WORD_0 src1_sel:DWORD
	v_cndmask_b32_e64 v25, v25, v30, s[28:29]
.LBB12_1670:                            ;   in Loop: Header=BB12_1245 Depth=2
	s_or_b64 exec, exec, s[42:43]
	buffer_load_dword v31, off, s[0:3], s33 offset:200 ; 4-byte Folded Reload
	buffer_load_dword v32, off, s[0:3], s33 offset:204 ; 4-byte Folded Reload
	;; [unrolled: 1-line block ×4, first 2 shown]
	v_lshlrev_b32_e32 v30, 16, v26
	v_max_f32_e32 v30, v30, v30
	s_waitcnt vmcnt(1)
	v_lshlrev_b32_e32 v31, 16, v33
	v_max_f32_e32 v31, v31, v31
	v_min_f32_e32 v32, v30, v31
	v_max_f32_e32 v30, v30, v31
	v_cndmask_b32_e32 v31, v30, v32, vcc
	v_and_b32_e32 v30, 0x7f800000, v31
	v_cmp_ne_u32_e64 s[28:29], s56, v30
                                        ; implicit-def: $vgpr30
	s_and_saveexec_b64 s[42:43], s[28:29]
	s_xor_b64 s[28:29], exec, s[42:43]
; %bb.1671:                             ;   in Loop: Header=BB12_1245 Depth=2
	v_bfe_u32 v30, v31, 16, 1
	v_add3_u32 v30, v31, v30, s57
                                        ; implicit-def: $vgpr31
; %bb.1672:                             ;   in Loop: Header=BB12_1245 Depth=2
	s_andn2_saveexec_b64 s[42:43], s[28:29]
	s_cbranch_execz .LBB12_1674
; %bb.1673:                             ;   in Loop: Header=BB12_1245 Depth=2
	buffer_load_dword v32, off, s[0:3], s33 offset:128 ; 4-byte Folded Reload
	buffer_load_dword v33, off, s[0:3], s33 offset:132 ; 4-byte Folded Reload
	v_or_b32_e32 v30, 0x10000, v31
	s_waitcnt vmcnt(1)
	v_cmp_eq_u32_sdwa s[28:29], v31, v32 src0_sel:WORD_0 src1_sel:DWORD
	v_cndmask_b32_e64 v30, v30, v31, s[28:29]
.LBB12_1674:                            ;   in Loop: Header=BB12_1245 Depth=2
	s_or_b64 exec, exec, s[42:43]
	buffer_load_dword v31, off, s[0:3], s33 offset:200 ; 4-byte Folded Reload
	buffer_load_dword v32, off, s[0:3], s33 offset:204 ; 4-byte Folded Reload
	buffer_load_dword v33, off, s[0:3], s33 offset:208 ; 4-byte Folded Reload
	buffer_load_dword v34, off, s[0:3], s33 offset:212 ; 4-byte Folded Reload
	v_and_b32_e32 v26, 0xffff0000, v26
	v_max_f32_e32 v26, v26, v26
	s_waitcnt vmcnt(1)
	v_and_b32_e32 v31, 0xffff0000, v33
	v_max_f32_e32 v31, v31, v31
	v_min_f32_e32 v32, v26, v31
	v_max_f32_e32 v26, v26, v31
	v_cndmask_b32_e32 v31, v26, v32, vcc
	v_and_b32_e32 v26, 0x7f800000, v31
	v_cmp_ne_u32_e64 s[28:29], s56, v26
                                        ; implicit-def: $vgpr26
	s_and_saveexec_b64 s[42:43], s[28:29]
	s_xor_b64 s[28:29], exec, s[42:43]
; %bb.1675:                             ;   in Loop: Header=BB12_1245 Depth=2
	v_bfe_u32 v26, v31, 16, 1
	v_add3_u32 v26, v31, v26, s57
                                        ; implicit-def: $vgpr31
; %bb.1676:                             ;   in Loop: Header=BB12_1245 Depth=2
	s_andn2_saveexec_b64 s[42:43], s[28:29]
	s_cbranch_execz .LBB12_1678
; %bb.1677:                             ;   in Loop: Header=BB12_1245 Depth=2
	buffer_load_dword v32, off, s[0:3], s33 offset:128 ; 4-byte Folded Reload
	buffer_load_dword v33, off, s[0:3], s33 offset:132 ; 4-byte Folded Reload
	v_or_b32_e32 v26, 0x10000, v31
	s_waitcnt vmcnt(1)
	v_cmp_eq_u32_sdwa s[28:29], v31, v32 src0_sel:WORD_0 src1_sel:DWORD
	v_cndmask_b32_e64 v26, v26, v31, s[28:29]
.LBB12_1678:                            ;   in Loop: Header=BB12_1245 Depth=2
	s_or_b64 exec, exec, s[42:43]
	buffer_load_dword v32, off, s[0:3], s33 offset:200 ; 4-byte Folded Reload
	buffer_load_dword v33, off, s[0:3], s33 offset:204 ; 4-byte Folded Reload
	buffer_load_dword v34, off, s[0:3], s33 offset:208 ; 4-byte Folded Reload
	buffer_load_dword v35, off, s[0:3], s33 offset:212 ; 4-byte Folded Reload
	v_lshlrev_b32_e32 v31, 16, v27
	v_max_f32_e32 v31, v31, v31
	s_waitcnt vmcnt(0)
	v_lshlrev_b32_e32 v32, 16, v35
	v_max_f32_e32 v32, v32, v32
	v_min_f32_e32 v33, v31, v32
	v_max_f32_e32 v31, v31, v32
	v_cndmask_b32_e32 v32, v31, v33, vcc
	v_and_b32_e32 v31, 0x7f800000, v32
	v_cmp_ne_u32_e64 s[28:29], s56, v31
                                        ; implicit-def: $vgpr31
	s_and_saveexec_b64 s[42:43], s[28:29]
	s_xor_b64 s[28:29], exec, s[42:43]
; %bb.1679:                             ;   in Loop: Header=BB12_1245 Depth=2
	v_bfe_u32 v31, v32, 16, 1
	v_add3_u32 v31, v32, v31, s57
                                        ; implicit-def: $vgpr32
; %bb.1680:                             ;   in Loop: Header=BB12_1245 Depth=2
	s_andn2_saveexec_b64 s[42:43], s[28:29]
	s_cbranch_execz .LBB12_1682
; %bb.1681:                             ;   in Loop: Header=BB12_1245 Depth=2
	buffer_load_dword v33, off, s[0:3], s33 offset:128 ; 4-byte Folded Reload
	buffer_load_dword v34, off, s[0:3], s33 offset:132 ; 4-byte Folded Reload
	v_or_b32_e32 v31, 0x10000, v32
	s_waitcnt vmcnt(1)
	v_cmp_eq_u32_sdwa s[28:29], v32, v33 src0_sel:WORD_0 src1_sel:DWORD
	v_cndmask_b32_e64 v31, v31, v32, s[28:29]
.LBB12_1682:                            ;   in Loop: Header=BB12_1245 Depth=2
	s_or_b64 exec, exec, s[42:43]
	buffer_load_dword v32, off, s[0:3], s33 offset:200 ; 4-byte Folded Reload
	buffer_load_dword v33, off, s[0:3], s33 offset:204 ; 4-byte Folded Reload
	;; [unrolled: 1-line block ×4, first 2 shown]
	v_and_b32_e32 v27, 0xffff0000, v27
	v_max_f32_e32 v27, v27, v27
	s_waitcnt vmcnt(0)
	v_and_b32_e32 v32, 0xffff0000, v35
	v_max_f32_e32 v32, v32, v32
	v_min_f32_e32 v33, v27, v32
	v_max_f32_e32 v27, v27, v32
	v_cndmask_b32_e32 v32, v27, v33, vcc
	v_and_b32_e32 v27, 0x7f800000, v32
	v_cmp_ne_u32_e64 s[28:29], s56, v27
                                        ; implicit-def: $vgpr27
	s_and_saveexec_b64 s[42:43], s[28:29]
	s_xor_b64 s[28:29], exec, s[42:43]
; %bb.1683:                             ;   in Loop: Header=BB12_1245 Depth=2
	v_bfe_u32 v27, v32, 16, 1
	v_add3_u32 v27, v32, v27, s57
                                        ; implicit-def: $vgpr32
; %bb.1684:                             ;   in Loop: Header=BB12_1245 Depth=2
	s_andn2_saveexec_b64 s[42:43], s[28:29]
	s_cbranch_execz .LBB12_1686
; %bb.1685:                             ;   in Loop: Header=BB12_1245 Depth=2
	buffer_load_dword v33, off, s[0:3], s33 offset:128 ; 4-byte Folded Reload
	buffer_load_dword v34, off, s[0:3], s33 offset:132 ; 4-byte Folded Reload
	v_or_b32_e32 v27, 0x10000, v32
	s_waitcnt vmcnt(1)
	v_cmp_eq_u32_sdwa s[28:29], v32, v33 src0_sel:WORD_0 src1_sel:DWORD
	v_cndmask_b32_e64 v27, v27, v32, s[28:29]
.LBB12_1686:                            ;   in Loop: Header=BB12_1245 Depth=2
	s_or_b64 exec, exec, s[42:43]
	buffer_load_dword v12, off, s[0:3], s33 offset:168 ; 4-byte Folded Reload
	buffer_load_dword v13, off, s[0:3], s33 offset:172 ; 4-byte Folded Reload
	buffer_load_dword v14, off, s[0:3], s33 offset:176 ; 4-byte Folded Reload
	buffer_load_dword v15, off, s[0:3], s33 offset:180 ; 4-byte Folded Reload
	buffer_load_dword v33, off, s[0:3], s33 offset:184 ; 4-byte Folded Reload
	buffer_load_dword v34, off, s[0:3], s33 offset:188 ; 4-byte Folded Reload
	buffer_load_dword v35, off, s[0:3], s33 offset:192 ; 4-byte Folded Reload
	buffer_load_dword v36, off, s[0:3], s33 offset:196 ; 4-byte Folded Reload
	s_waitcnt vmcnt(7)
	v_lshlrev_b32_e32 v32, 16, v12
	s_waitcnt vmcnt(3)
	v_lshlrev_b32_e32 v33, 16, v33
	v_max_f32_e32 v33, v33, v33
	v_max_f32_e32 v32, v32, v32
	s_waitcnt vmcnt(2)
	v_min_f32_e32 v34, v32, v33
	v_max_f32_e32 v32, v32, v33
	v_cndmask_b32_e32 v33, v32, v34, vcc
	v_and_b32_e32 v32, 0x7f800000, v33
	v_cmp_ne_u32_e64 s[28:29], s56, v32
                                        ; implicit-def: $vgpr32
	s_and_saveexec_b64 s[42:43], s[28:29]
	s_xor_b64 s[28:29], exec, s[42:43]
; %bb.1687:                             ;   in Loop: Header=BB12_1245 Depth=2
	v_bfe_u32 v32, v33, 16, 1
	v_add3_u32 v32, v33, v32, s57
                                        ; implicit-def: $vgpr33
; %bb.1688:                             ;   in Loop: Header=BB12_1245 Depth=2
	s_andn2_saveexec_b64 s[42:43], s[28:29]
	s_cbranch_execz .LBB12_1690
; %bb.1689:                             ;   in Loop: Header=BB12_1245 Depth=2
	buffer_load_dword v34, off, s[0:3], s33 offset:128 ; 4-byte Folded Reload
	buffer_load_dword v35, off, s[0:3], s33 offset:132 ; 4-byte Folded Reload
	v_or_b32_e32 v32, 0x10000, v33
	s_waitcnt vmcnt(1)
	v_cmp_eq_u32_sdwa s[28:29], v33, v34 src0_sel:WORD_0 src1_sel:DWORD
	v_cndmask_b32_e64 v32, v32, v33, s[28:29]
.LBB12_1690:                            ;   in Loop: Header=BB12_1245 Depth=2
	s_or_b64 exec, exec, s[42:43]
	buffer_load_dword v12, off, s[0:3], s33 offset:168 ; 4-byte Folded Reload
	buffer_load_dword v13, off, s[0:3], s33 offset:172 ; 4-byte Folded Reload
	;; [unrolled: 1-line block ×8, first 2 shown]
	s_waitcnt vmcnt(7)
	v_and_b32_e32 v12, 0xffff0000, v12
	s_waitcnt vmcnt(3)
	v_and_b32_e32 v33, 0xffff0000, v33
	v_max_f32_e32 v33, v33, v33
	v_max_f32_e32 v12, v12, v12
	s_waitcnt vmcnt(2)
	v_min_f32_e32 v34, v12, v33
	v_max_f32_e32 v12, v12, v33
	v_cndmask_b32_e32 v33, v12, v34, vcc
	v_and_b32_e32 v12, 0x7f800000, v33
	v_cmp_ne_u32_e64 s[28:29], s56, v12
                                        ; implicit-def: $vgpr12
	s_and_saveexec_b64 s[42:43], s[28:29]
	s_xor_b64 s[28:29], exec, s[42:43]
; %bb.1691:                             ;   in Loop: Header=BB12_1245 Depth=2
	v_bfe_u32 v12, v33, 16, 1
	v_add3_u32 v12, v33, v12, s57
                                        ; implicit-def: $vgpr33
; %bb.1692:                             ;   in Loop: Header=BB12_1245 Depth=2
	s_andn2_saveexec_b64 s[42:43], s[28:29]
	s_cbranch_execz .LBB12_1694
; %bb.1693:                             ;   in Loop: Header=BB12_1245 Depth=2
	buffer_load_dword v34, off, s[0:3], s33 offset:128 ; 4-byte Folded Reload
	buffer_load_dword v35, off, s[0:3], s33 offset:132 ; 4-byte Folded Reload
	v_or_b32_e32 v12, 0x10000, v33
	s_waitcnt vmcnt(1)
	v_cmp_eq_u32_sdwa s[28:29], v33, v34 src0_sel:WORD_0 src1_sel:DWORD
	v_cndmask_b32_e64 v12, v12, v33, s[28:29]
.LBB12_1694:                            ;   in Loop: Header=BB12_1245 Depth=2
	s_or_b64 exec, exec, s[42:43]
	buffer_load_dword v33, off, s[0:3], s33 offset:168 ; 4-byte Folded Reload
	buffer_load_dword v34, off, s[0:3], s33 offset:172 ; 4-byte Folded Reload
	;; [unrolled: 1-line block ×4, first 2 shown]
	s_waitcnt vmcnt(2)
	v_lshlrev_b32_e32 v33, 16, v34
	buffer_load_dword v34, off, s[0:3], s33 offset:184 ; 4-byte Folded Reload
	buffer_load_dword v35, off, s[0:3], s33 offset:188 ; 4-byte Folded Reload
	;; [unrolled: 1-line block ×4, first 2 shown]
	v_max_f32_e32 v33, v33, v33
	s_waitcnt vmcnt(2)
	v_lshlrev_b32_e32 v34, 16, v35
	v_max_f32_e32 v34, v34, v34
	v_min_f32_e32 v35, v33, v34
	v_max_f32_e32 v33, v33, v34
	v_cndmask_b32_e32 v34, v33, v35, vcc
	v_and_b32_e32 v33, 0x7f800000, v34
	v_cmp_ne_u32_e64 s[28:29], s56, v33
                                        ; implicit-def: $vgpr33
	s_and_saveexec_b64 s[42:43], s[28:29]
	s_xor_b64 s[28:29], exec, s[42:43]
; %bb.1695:                             ;   in Loop: Header=BB12_1245 Depth=2
	v_bfe_u32 v33, v34, 16, 1
	v_add3_u32 v33, v34, v33, s57
                                        ; implicit-def: $vgpr34
; %bb.1696:                             ;   in Loop: Header=BB12_1245 Depth=2
	s_andn2_saveexec_b64 s[42:43], s[28:29]
	s_cbranch_execz .LBB12_1698
; %bb.1697:                             ;   in Loop: Header=BB12_1245 Depth=2
	buffer_load_dword v35, off, s[0:3], s33 offset:128 ; 4-byte Folded Reload
	buffer_load_dword v36, off, s[0:3], s33 offset:132 ; 4-byte Folded Reload
	v_or_b32_e32 v33, 0x10000, v34
	s_waitcnt vmcnt(1)
	v_cmp_eq_u32_sdwa s[28:29], v34, v35 src0_sel:WORD_0 src1_sel:DWORD
	v_cndmask_b32_e64 v33, v33, v34, s[28:29]
.LBB12_1698:                            ;   in Loop: Header=BB12_1245 Depth=2
	s_or_b64 exec, exec, s[42:43]
	buffer_load_dword v34, off, s[0:3], s33 offset:168 ; 4-byte Folded Reload
	buffer_load_dword v35, off, s[0:3], s33 offset:172 ; 4-byte Folded Reload
	;; [unrolled: 1-line block ×4, first 2 shown]
	s_waitcnt vmcnt(2)
	v_and_b32_e32 v13, 0xffff0000, v35
	buffer_load_dword v34, off, s[0:3], s33 offset:184 ; 4-byte Folded Reload
	buffer_load_dword v35, off, s[0:3], s33 offset:188 ; 4-byte Folded Reload
	;; [unrolled: 1-line block ×4, first 2 shown]
	v_max_f32_e32 v13, v13, v13
	s_waitcnt vmcnt(2)
	v_and_b32_e32 v34, 0xffff0000, v35
	v_max_f32_e32 v34, v34, v34
	v_min_f32_e32 v35, v13, v34
	v_max_f32_e32 v13, v13, v34
	v_cndmask_b32_e32 v34, v13, v35, vcc
	v_and_b32_e32 v13, 0x7f800000, v34
	v_cmp_ne_u32_e64 s[28:29], s56, v13
                                        ; implicit-def: $vgpr13
	s_and_saveexec_b64 s[42:43], s[28:29]
	s_xor_b64 s[28:29], exec, s[42:43]
; %bb.1699:                             ;   in Loop: Header=BB12_1245 Depth=2
	v_bfe_u32 v13, v34, 16, 1
	v_add3_u32 v13, v34, v13, s57
                                        ; implicit-def: $vgpr34
; %bb.1700:                             ;   in Loop: Header=BB12_1245 Depth=2
	s_andn2_saveexec_b64 s[42:43], s[28:29]
	s_cbranch_execz .LBB12_1702
; %bb.1701:                             ;   in Loop: Header=BB12_1245 Depth=2
	buffer_load_dword v35, off, s[0:3], s33 offset:128 ; 4-byte Folded Reload
	buffer_load_dword v36, off, s[0:3], s33 offset:132 ; 4-byte Folded Reload
	v_or_b32_e32 v13, 0x10000, v34
	s_waitcnt vmcnt(1)
	v_cmp_eq_u32_sdwa s[28:29], v34, v35 src0_sel:WORD_0 src1_sel:DWORD
	v_cndmask_b32_e64 v13, v13, v34, s[28:29]
.LBB12_1702:                            ;   in Loop: Header=BB12_1245 Depth=2
	s_or_b64 exec, exec, s[42:43]
	buffer_load_dword v34, off, s[0:3], s33 offset:168 ; 4-byte Folded Reload
	buffer_load_dword v35, off, s[0:3], s33 offset:172 ; 4-byte Folded Reload
	buffer_load_dword v36, off, s[0:3], s33 offset:176 ; 4-byte Folded Reload
	buffer_load_dword v37, off, s[0:3], s33 offset:180 ; 4-byte Folded Reload
	s_waitcnt vmcnt(1)
	v_lshlrev_b32_e32 v34, 16, v36
	buffer_load_dword v35, off, s[0:3], s33 offset:184 ; 4-byte Folded Reload
	buffer_load_dword v36, off, s[0:3], s33 offset:188 ; 4-byte Folded Reload
	;; [unrolled: 1-line block ×4, first 2 shown]
	v_max_f32_e32 v34, v34, v34
	s_waitcnt vmcnt(1)
	v_lshlrev_b32_e32 v35, 16, v37
	v_max_f32_e32 v35, v35, v35
	v_min_f32_e32 v36, v34, v35
	v_max_f32_e32 v34, v34, v35
	v_cndmask_b32_e32 v35, v34, v36, vcc
	v_and_b32_e32 v34, 0x7f800000, v35
	v_cmp_ne_u32_e64 s[28:29], s56, v34
                                        ; implicit-def: $vgpr34
	s_and_saveexec_b64 s[42:43], s[28:29]
	s_xor_b64 s[28:29], exec, s[42:43]
; %bb.1703:                             ;   in Loop: Header=BB12_1245 Depth=2
	v_bfe_u32 v34, v35, 16, 1
	v_add3_u32 v34, v35, v34, s57
                                        ; implicit-def: $vgpr35
; %bb.1704:                             ;   in Loop: Header=BB12_1245 Depth=2
	s_andn2_saveexec_b64 s[42:43], s[28:29]
	s_cbranch_execz .LBB12_1706
; %bb.1705:                             ;   in Loop: Header=BB12_1245 Depth=2
	buffer_load_dword v36, off, s[0:3], s33 offset:128 ; 4-byte Folded Reload
	buffer_load_dword v37, off, s[0:3], s33 offset:132 ; 4-byte Folded Reload
	v_or_b32_e32 v34, 0x10000, v35
	s_waitcnt vmcnt(1)
	v_cmp_eq_u32_sdwa s[28:29], v35, v36 src0_sel:WORD_0 src1_sel:DWORD
	v_cndmask_b32_e64 v34, v34, v35, s[28:29]
.LBB12_1706:                            ;   in Loop: Header=BB12_1245 Depth=2
	s_or_b64 exec, exec, s[42:43]
	buffer_load_dword v35, off, s[0:3], s33 offset:168 ; 4-byte Folded Reload
	buffer_load_dword v36, off, s[0:3], s33 offset:172 ; 4-byte Folded Reload
	;; [unrolled: 1-line block ×4, first 2 shown]
	s_waitcnt vmcnt(1)
	v_and_b32_e32 v14, 0xffff0000, v37
	buffer_load_dword v35, off, s[0:3], s33 offset:184 ; 4-byte Folded Reload
	buffer_load_dword v36, off, s[0:3], s33 offset:188 ; 4-byte Folded Reload
	;; [unrolled: 1-line block ×4, first 2 shown]
	v_max_f32_e32 v14, v14, v14
	s_waitcnt vmcnt(1)
	v_and_b32_e32 v35, 0xffff0000, v37
	v_max_f32_e32 v35, v35, v35
	v_min_f32_e32 v36, v14, v35
	v_max_f32_e32 v14, v14, v35
	v_cndmask_b32_e32 v35, v14, v36, vcc
	v_and_b32_e32 v14, 0x7f800000, v35
	v_cmp_ne_u32_e64 s[28:29], s56, v14
                                        ; implicit-def: $vgpr14
	s_and_saveexec_b64 s[42:43], s[28:29]
	s_xor_b64 s[28:29], exec, s[42:43]
; %bb.1707:                             ;   in Loop: Header=BB12_1245 Depth=2
	v_bfe_u32 v14, v35, 16, 1
	v_add3_u32 v14, v35, v14, s57
                                        ; implicit-def: $vgpr35
; %bb.1708:                             ;   in Loop: Header=BB12_1245 Depth=2
	s_andn2_saveexec_b64 s[42:43], s[28:29]
	s_cbranch_execz .LBB12_1710
; %bb.1709:                             ;   in Loop: Header=BB12_1245 Depth=2
	buffer_load_dword v36, off, s[0:3], s33 offset:128 ; 4-byte Folded Reload
	buffer_load_dword v37, off, s[0:3], s33 offset:132 ; 4-byte Folded Reload
	v_or_b32_e32 v14, 0x10000, v35
	s_waitcnt vmcnt(1)
	v_cmp_eq_u32_sdwa s[28:29], v35, v36 src0_sel:WORD_0 src1_sel:DWORD
	v_cndmask_b32_e64 v14, v14, v35, s[28:29]
.LBB12_1710:                            ;   in Loop: Header=BB12_1245 Depth=2
	s_or_b64 exec, exec, s[42:43]
	buffer_load_dword v35, off, s[0:3], s33 offset:168 ; 4-byte Folded Reload
	buffer_load_dword v36, off, s[0:3], s33 offset:172 ; 4-byte Folded Reload
	buffer_load_dword v37, off, s[0:3], s33 offset:176 ; 4-byte Folded Reload
	buffer_load_dword v38, off, s[0:3], s33 offset:180 ; 4-byte Folded Reload
	s_waitcnt vmcnt(0)
	v_lshlrev_b32_e32 v35, 16, v38
	buffer_load_dword v36, off, s[0:3], s33 offset:184 ; 4-byte Folded Reload
	buffer_load_dword v37, off, s[0:3], s33 offset:188 ; 4-byte Folded Reload
	;; [unrolled: 1-line block ×4, first 2 shown]
	v_max_f32_e32 v35, v35, v35
	s_waitcnt vmcnt(0)
	v_lshlrev_b32_e32 v36, 16, v39
	v_max_f32_e32 v36, v36, v36
	v_min_f32_e32 v37, v35, v36
	v_max_f32_e32 v35, v35, v36
	v_cndmask_b32_e32 v36, v35, v37, vcc
	v_and_b32_e32 v35, 0x7f800000, v36
	v_cmp_ne_u32_e64 s[28:29], s56, v35
                                        ; implicit-def: $vgpr35
	s_and_saveexec_b64 s[42:43], s[28:29]
	s_xor_b64 s[28:29], exec, s[42:43]
; %bb.1711:                             ;   in Loop: Header=BB12_1245 Depth=2
	v_bfe_u32 v35, v36, 16, 1
	v_add3_u32 v35, v36, v35, s57
                                        ; implicit-def: $vgpr36
; %bb.1712:                             ;   in Loop: Header=BB12_1245 Depth=2
	s_andn2_saveexec_b64 s[42:43], s[28:29]
	s_cbranch_execz .LBB12_1714
; %bb.1713:                             ;   in Loop: Header=BB12_1245 Depth=2
	buffer_load_dword v37, off, s[0:3], s33 offset:128 ; 4-byte Folded Reload
	buffer_load_dword v38, off, s[0:3], s33 offset:132 ; 4-byte Folded Reload
	v_or_b32_e32 v35, 0x10000, v36
	s_waitcnt vmcnt(1)
	v_cmp_eq_u32_sdwa s[28:29], v36, v37 src0_sel:WORD_0 src1_sel:DWORD
	v_cndmask_b32_e64 v35, v35, v36, s[28:29]
.LBB12_1714:                            ;   in Loop: Header=BB12_1245 Depth=2
	s_or_b64 exec, exec, s[42:43]
	buffer_load_dword v36, off, s[0:3], s33 offset:168 ; 4-byte Folded Reload
	buffer_load_dword v37, off, s[0:3], s33 offset:172 ; 4-byte Folded Reload
	;; [unrolled: 1-line block ×4, first 2 shown]
	s_waitcnt vmcnt(0)
	v_and_b32_e32 v15, 0xffff0000, v39
	buffer_load_dword v36, off, s[0:3], s33 offset:184 ; 4-byte Folded Reload
	buffer_load_dword v37, off, s[0:3], s33 offset:188 ; 4-byte Folded Reload
	;; [unrolled: 1-line block ×4, first 2 shown]
	v_max_f32_e32 v15, v15, v15
	s_waitcnt vmcnt(0)
	v_and_b32_e32 v36, 0xffff0000, v39
	v_max_f32_e32 v36, v36, v36
	v_min_f32_e32 v37, v15, v36
	v_max_f32_e32 v15, v15, v36
	v_cndmask_b32_e32 v36, v15, v37, vcc
	v_and_b32_e32 v15, 0x7f800000, v36
	v_cmp_ne_u32_e32 vcc, s56, v15
                                        ; implicit-def: $vgpr15
	s_and_saveexec_b64 s[28:29], vcc
	s_xor_b64 s[28:29], exec, s[28:29]
; %bb.1715:                             ;   in Loop: Header=BB12_1245 Depth=2
	v_bfe_u32 v15, v36, 16, 1
	v_add3_u32 v15, v36, v15, s57
                                        ; implicit-def: $vgpr36
; %bb.1716:                             ;   in Loop: Header=BB12_1245 Depth=2
	s_andn2_saveexec_b64 s[28:29], s[28:29]
	s_cbranch_execz .LBB12_1718
; %bb.1717:                             ;   in Loop: Header=BB12_1245 Depth=2
	buffer_load_dword v37, off, s[0:3], s33 offset:128 ; 4-byte Folded Reload
	buffer_load_dword v38, off, s[0:3], s33 offset:132 ; 4-byte Folded Reload
	v_or_b32_e32 v15, 0x10000, v36
	s_waitcnt vmcnt(1)
	v_cmp_eq_u32_sdwa vcc, v36, v37 src0_sel:WORD_0 src1_sel:DWORD
	v_cndmask_b32_e32 v15, v15, v36, vcc
.LBB12_1718:                            ;   in Loop: Header=BB12_1245 Depth=2
	s_or_b64 exec, exec, s[28:29]
	v_lshrrev_b32_e32 v2, 16, v2
	v_lshrrev_b32_e32 v4, 16, v4
	v_and_or_b32 v3, v3, s46, v2
	v_lshrrev_b32_e32 v2, 16, v6
	v_and_or_b32 v4, v5, s46, v4
	v_and_or_b32 v5, v7, s46, v2
	v_lshrrev_b32_e32 v2, 16, v8
	v_and_or_b32 v6, v9, s46, v2
	v_lshrrev_b32_e32 v2, 16, v33
	v_lshrrev_b32_e32 v28, 16, v28
	;; [unrolled: 1-line block ×3, first 2 shown]
	v_and_or_b32 v13, v13, s46, v2
	v_lshrrev_b32_e32 v2, 16, v32
	v_and_or_b32 v24, v24, s46, v28
	v_lshrrev_b32_e32 v28, 16, v30
	v_lshrrev_b32_e32 v18, 16, v18
	v_and_or_b32 v17, v17, s46, v16
	v_lshrrev_b32_e32 v16, 16, v20
	v_and_or_b32 v12, v12, s46, v2
	v_lshrrev_b32_e32 v2, 16, v34
	v_lshrrev_b32_e32 v29, 16, v29
	v_and_or_b32 v26, v26, s46, v28
	v_lshrrev_b32_e32 v28, 16, v31
	v_and_or_b32 v18, v19, s46, v18
	v_and_or_b32 v19, v21, s46, v16
	v_lshrrev_b32_e32 v16, 16, v22
	v_and_or_b32 v14, v14, s46, v2
	v_lshrrev_b32_e32 v2, 16, v35
	v_and_or_b32 v25, v25, s46, v29
	v_and_or_b32 v27, v27, s46, v28
	;; [unrolled: 1-line block ×4, first 2 shown]
	global_store_dwordx4 v[10:11], v[3:6], off glc slc
	global_store_dwordx4 v[10:11], v[17:20], off offset:1024 glc slc
	global_store_dwordx4 v[10:11], v[24:27], off offset:2048 glc slc
	;; [unrolled: 1-line block ×3, first 2 shown]
	global_store_dwordx4 v[0:1], v[3:6], off glc slc
	global_store_dwordx4 v[0:1], v[17:20], off offset:1024 glc slc
	global_store_dwordx4 v[0:1], v[24:27], off offset:2048 glc slc
	global_store_dwordx4 v[0:1], v[12:15], off offset:3072 glc slc
.LBB12_1719:                            ;   in Loop: Header=BB12_1245 Depth=2
	s_or_b64 exec, exec, s[40:41]
	buffer_load_dword v0, off, s[0:3], s33 offset:596 ; 4-byte Folded Reload
                                        ; implicit-def: $vgpr5
                                        ; implicit-def: $vgpr4
                                        ; implicit-def: $vgpr2
                                        ; implicit-def: $vgpr8
	s_waitcnt vmcnt(0)
	v_lshlrev_b32_e32 v0, 12, v0
	v_cmp_ne_u32_e32 vcc, v50, v0
	s_mov_b64 s[94:95], exec
	buffer_load_dword v31, off, s[0:3], s33 offset:584 ; 4-byte Folded Reload
	buffer_load_dword v32, off, s[0:3], s33 offset:588 ; 4-byte Folded Reload
	s_and_b64 s[28:29], s[94:95], vcc
	s_mov_b64 exec, s[28:29]
	s_cbranch_execz .LBB12_1839
; %bb.1720:                             ;   in Loop: Header=BB12_1245 Depth=2
	buffer_load_dword v1, off, s[0:3], s33 offset:284 ; 4-byte Folded Reload
	v_sub_u32_e32 v3, v50, v0
	s_mov_b64 s[40:41], 0
	s_waitcnt vmcnt(0)
	v_lshlrev_b32_e32 v1, 6, v1
	v_sub_u32_e32 v1, v41, v1
	v_ashrrev_i32_e32 v2, 31, v1
	v_lshrrev_b32_e32 v2, 26, v2
	v_add_u32_e32 v2, v1, v2
	v_ashrrev_i32_e32 v4, 6, v2
	v_and_b32_e32 v2, 0xffffffc0, v2
	v_sub_u32_e32 v1, v1, v2
	v_lshlrev_b32_e32 v2, 4, v1
	v_lshl_add_u32 v5, v4, 10, v2
	v_add_u32_e32 v2, v5, v0
	v_sub_u32_e32 v13, v3, v5
	v_ashrrev_i32_e32 v5, 31, v3
	v_lshrrev_b32_e32 v5, 22, v5
	v_add_u32_e32 v5, v3, v5
	v_and_b32_e32 v6, 0xfffffc00, v5
	v_sub_u32_e32 v7, v3, v6
	v_ashrrev_i32_e32 v8, 10, v5
	v_cmp_lt_i32_e64 s[28:29], 15, v7
	v_addc_co_u32_e64 v5, vcc, 0, v8, s[28:29]
	v_ashrrev_i32_e32 v3, 31, v2
	v_add_co_u32_e32 v8, vcc, v2, v52
	v_addc_co_u32_e32 v9, vcc, v3, v53, vcc
	v_add_co_u32_e32 v10, vcc, v2, v31
	v_addc_co_u32_e32 v12, vcc, v3, v32, vcc
	v_sub_u32_e32 v11, v5, v4
	v_cmp_lt_i32_e32 vcc, 15, v13
	s_and_saveexec_b64 s[30:31], vcc
	s_cbranch_execz .LBB12_1801
; %bb.1721:                             ;   in Loop: Header=BB12_1245 Depth=2
	s_trap 2
	ds_read_b64 v[4:5], v0
	buffer_load_dword v14, off, s[0:3], s33 offset:500 ; 4-byte Folded Reload
	buffer_load_dword v15, off, s[0:3], s33 offset:504 ; 4-byte Folded Reload
	s_and_b32 s9, 0xffff, s65
	s_cmp_eq_u32 s9, 0
	s_mov_b64 s[38:39], 0
	s_mov_b64 s[34:35], 0
	s_cselect_b64 s[40:41], -1, 0
                                        ; implicit-def: $sgpr36_sgpr37
	s_waitcnt vmcnt(1)
	v_add_co_u32_e32 v14, vcc, v2, v14
	s_waitcnt vmcnt(0)
	v_addc_co_u32_e32 v15, vcc, v3, v15, vcc
	s_waitcnt lgkmcnt(0)
	v_add_co_u32_e32 v16, vcc, v4, v2
	v_addc_co_u32_e32 v17, vcc, v5, v3, vcc
	s_branch .LBB12_1723
.LBB12_1722:                            ;   in Loop: Header=BB12_1723 Depth=3
	s_or_b64 exec, exec, s[42:43]
	v_cmp_gt_i32_e32 vcc, 16, v13
	s_or_b64 s[34:35], vcc, s[34:35]
	s_andn2_b64 s[42:43], s[36:37], exec
	s_and_b64 s[44:45], s[38:39], exec
	s_or_b64 s[36:37], s[42:43], s[44:45]
	s_andn2_b64 exec, exec, s[34:35]
	s_cbranch_execz .LBB12_1800
.LBB12_1723:                            ;   Parent Loop BB12_47 Depth=1
                                        ;     Parent Loop BB12_1245 Depth=2
                                        ; =>    This Loop Header: Depth=3
                                        ;         Child Loop BB12_1724 Depth 4
                                        ;         Child Loop BB12_1759 Depth 4
	;; [unrolled: 1-line block ×4, first 2 shown]
	s_lshr_b32 s9, s33, 6
	s_add_i32 s9, s9, 64
	s_mov_b64 s[44:45], -1
	s_mov_b64 s[48:49], 0
.LBB12_1724:                            ;   Parent Loop BB12_47 Depth=1
                                        ;     Parent Loop BB12_1245 Depth=2
                                        ;       Parent Loop BB12_1723 Depth=3
                                        ; =>      This Inner Loop Header: Depth=4
	s_cmp_eq_u32 s48, 1
	s_cselect_b64 s[42:43], -1, 0
	v_cndmask_b32_e64 v19, v15, v17, s[42:43]
	v_cndmask_b32_e64 v18, v14, v16, s[42:43]
	global_load_dwordx4 v[2:5], v[18:19], off glc slc
	v_mov_b32_e32 v20, s9
	s_cmp_eq_u32 s48, 0
	s_mov_b64 s[48:49], 1
	s_mov_b32 s9, s83
	s_waitcnt vmcnt(0)
	buffer_store_dword v3, v20, s[0:3], 0 offen offset:4
	buffer_store_dword v2, v20, s[0:3], 0 offen
	buffer_store_dword v5, v20, s[0:3], 0 offen offset:12
	buffer_store_dword v4, v20, s[0:3], 0 offen offset:8
	v_add_co_u32_e32 v2, vcc, s55, v18
	v_addc_co_u32_e32 v3, vcc, 0, v19, vcc
	s_cselect_b64 vcc, -1, 0
	v_cndmask_b32_e32 v15, v15, v3, vcc
	v_cndmask_b32_e32 v14, v14, v2, vcc
	v_cndmask_b32_e64 v17, v17, v3, s[42:43]
	v_cndmask_b32_e64 v16, v16, v2, s[42:43]
	s_and_b64 vcc, exec, s[44:45]
	s_mov_b64 s[44:45], 0
	s_cbranch_vccnz .LBB12_1724
; %bb.1725:                             ;   in Loop: Header=BB12_1723 Depth=3
	s_and_saveexec_b64 s[48:49], s[38:39]
	s_cbranch_execz .LBB12_1761
; %bb.1726:                             ;   in Loop: Header=BB12_1723 Depth=3
	buffer_load_dword v5, off, s[0:3], s33 offset:96
	buffer_load_dword v18, off, s[0:3], s33 offset:112
	;; [unrolled: 1-line block ×8, first 2 shown]
	s_waitcnt vmcnt(7)
	v_lshlrev_b32_e32 v2, 16, v5
	s_waitcnt vmcnt(6)
	v_lshlrev_b32_e32 v23, 16, v18
	v_max_f32_e32 v23, v23, v23
	v_max_f32_e32 v2, v2, v2
	v_min_f32_e32 v24, v2, v23
	v_max_f32_e32 v2, v2, v23
	v_cndmask_b32_e64 v23, v2, v24, s[40:41]
	v_and_b32_e32 v2, 0x7f800000, v23
	v_cmp_ne_u32_e32 vcc, s56, v2
                                        ; implicit-def: $vgpr2
	s_and_saveexec_b64 s[42:43], vcc
	s_xor_b64 s[42:43], exec, s[42:43]
; %bb.1727:                             ;   in Loop: Header=BB12_1723 Depth=3
	v_bfe_u32 v2, v23, 16, 1
	v_add3_u32 v2, v23, v2, s57
                                        ; implicit-def: $vgpr23
; %bb.1728:                             ;   in Loop: Header=BB12_1723 Depth=3
	s_andn2_saveexec_b64 s[42:43], s[42:43]
	s_cbranch_execz .LBB12_1730
; %bb.1729:                             ;   in Loop: Header=BB12_1723 Depth=3
	buffer_load_dword v24, off, s[0:3], s33 offset:128 ; 4-byte Folded Reload
	buffer_load_dword v25, off, s[0:3], s33 offset:132 ; 4-byte Folded Reload
	v_or_b32_e32 v2, 0x10000, v23
	s_waitcnt vmcnt(1)
	v_cmp_eq_u32_sdwa vcc, v23, v24 src0_sel:WORD_0 src1_sel:DWORD
	v_cndmask_b32_e32 v2, v2, v23, vcc
.LBB12_1730:                            ;   in Loop: Header=BB12_1723 Depth=3
	s_or_b64 exec, exec, s[42:43]
	v_and_b32_e32 v5, 0xffff0000, v5
	v_and_b32_e32 v18, 0xffff0000, v18
	v_max_f32_e32 v18, v18, v18
	v_max_f32_e32 v5, v5, v5
	v_min_f32_e32 v23, v5, v18
	v_max_f32_e32 v5, v5, v18
	v_cndmask_b32_e64 v18, v5, v23, s[40:41]
	v_and_b32_e32 v5, 0x7f800000, v18
	v_cmp_ne_u32_e32 vcc, s56, v5
                                        ; implicit-def: $vgpr5
	s_and_saveexec_b64 s[42:43], vcc
	s_xor_b64 s[42:43], exec, s[42:43]
; %bb.1731:                             ;   in Loop: Header=BB12_1723 Depth=3
	v_bfe_u32 v5, v18, 16, 1
	v_add3_u32 v5, v18, v5, s57
                                        ; implicit-def: $vgpr18
; %bb.1732:                             ;   in Loop: Header=BB12_1723 Depth=3
	s_andn2_saveexec_b64 s[42:43], s[42:43]
	s_cbranch_execz .LBB12_1734
; %bb.1733:                             ;   in Loop: Header=BB12_1723 Depth=3
	buffer_load_dword v23, off, s[0:3], s33 offset:128 ; 4-byte Folded Reload
	buffer_load_dword v24, off, s[0:3], s33 offset:132 ; 4-byte Folded Reload
	v_or_b32_e32 v5, 0x10000, v18
	s_waitcnt vmcnt(1)
	v_cmp_eq_u32_sdwa vcc, v18, v23 src0_sel:WORD_0 src1_sel:DWORD
	v_cndmask_b32_e32 v5, v5, v18, vcc
.LBB12_1734:                            ;   in Loop: Header=BB12_1723 Depth=3
	s_or_b64 exec, exec, s[42:43]
	s_waitcnt vmcnt(5)
	v_lshlrev_b32_e32 v18, 16, v21
	s_waitcnt vmcnt(3)
	v_lshlrev_b32_e32 v23, 16, v22
	v_max_f32_e32 v23, v23, v23
	v_max_f32_e32 v18, v18, v18
	s_waitcnt vmcnt(0)
	v_min_f32_e32 v24, v18, v23
	v_max_f32_e32 v18, v18, v23
	v_cndmask_b32_e64 v23, v18, v24, s[40:41]
	v_and_b32_e32 v18, 0x7f800000, v23
	v_cmp_ne_u32_e32 vcc, s56, v18
                                        ; implicit-def: $vgpr18
	s_and_saveexec_b64 s[42:43], vcc
	s_xor_b64 s[42:43], exec, s[42:43]
; %bb.1735:                             ;   in Loop: Header=BB12_1723 Depth=3
	v_bfe_u32 v18, v23, 16, 1
	v_add3_u32 v18, v23, v18, s57
                                        ; implicit-def: $vgpr23
; %bb.1736:                             ;   in Loop: Header=BB12_1723 Depth=3
	s_andn2_saveexec_b64 s[42:43], s[42:43]
	s_cbranch_execz .LBB12_1738
; %bb.1737:                             ;   in Loop: Header=BB12_1723 Depth=3
	buffer_load_dword v24, off, s[0:3], s33 offset:128 ; 4-byte Folded Reload
	buffer_load_dword v25, off, s[0:3], s33 offset:132 ; 4-byte Folded Reload
	v_or_b32_e32 v18, 0x10000, v23
	s_waitcnt vmcnt(1)
	v_cmp_eq_u32_sdwa vcc, v23, v24 src0_sel:WORD_0 src1_sel:DWORD
	v_cndmask_b32_e32 v18, v18, v23, vcc
.LBB12_1738:                            ;   in Loop: Header=BB12_1723 Depth=3
	s_or_b64 exec, exec, s[42:43]
	v_and_b32_e32 v21, 0xffff0000, v21
	v_and_b32_e32 v22, 0xffff0000, v22
	v_max_f32_e32 v22, v22, v22
	v_max_f32_e32 v21, v21, v21
	v_min_f32_e32 v23, v21, v22
	v_max_f32_e32 v21, v21, v22
	v_cndmask_b32_e64 v22, v21, v23, s[40:41]
	v_and_b32_e32 v21, 0x7f800000, v22
	v_cmp_ne_u32_e32 vcc, s56, v21
                                        ; implicit-def: $vgpr21
	s_and_saveexec_b64 s[42:43], vcc
	s_xor_b64 s[42:43], exec, s[42:43]
; %bb.1739:                             ;   in Loop: Header=BB12_1723 Depth=3
	v_bfe_u32 v21, v22, 16, 1
	v_add3_u32 v21, v22, v21, s57
                                        ; implicit-def: $vgpr22
; %bb.1740:                             ;   in Loop: Header=BB12_1723 Depth=3
	s_andn2_saveexec_b64 s[42:43], s[42:43]
	s_cbranch_execz .LBB12_1742
; %bb.1741:                             ;   in Loop: Header=BB12_1723 Depth=3
	buffer_load_dword v23, off, s[0:3], s33 offset:128 ; 4-byte Folded Reload
	buffer_load_dword v24, off, s[0:3], s33 offset:132 ; 4-byte Folded Reload
	v_or_b32_e32 v21, 0x10000, v22
	s_waitcnt vmcnt(1)
	v_cmp_eq_u32_sdwa vcc, v22, v23 src0_sel:WORD_0 src1_sel:DWORD
	v_cndmask_b32_e32 v21, v21, v22, vcc
.LBB12_1742:                            ;   in Loop: Header=BB12_1723 Depth=3
	s_or_b64 exec, exec, s[42:43]
	v_lshlrev_b32_e32 v22, 16, v19
	v_lshlrev_b32_e32 v23, 16, v20
	v_max_f32_e32 v23, v23, v23
	v_max_f32_e32 v22, v22, v22
	s_waitcnt vmcnt(0)
	v_min_f32_e32 v24, v22, v23
	v_max_f32_e32 v22, v22, v23
	v_cndmask_b32_e64 v23, v22, v24, s[40:41]
	v_and_b32_e32 v22, 0x7f800000, v23
	v_cmp_ne_u32_e32 vcc, s56, v22
                                        ; implicit-def: $vgpr22
	s_and_saveexec_b64 s[42:43], vcc
	s_xor_b64 s[42:43], exec, s[42:43]
; %bb.1743:                             ;   in Loop: Header=BB12_1723 Depth=3
	v_bfe_u32 v22, v23, 16, 1
	v_add3_u32 v22, v23, v22, s57
                                        ; implicit-def: $vgpr23
; %bb.1744:                             ;   in Loop: Header=BB12_1723 Depth=3
	s_andn2_saveexec_b64 s[42:43], s[42:43]
	s_cbranch_execz .LBB12_1746
; %bb.1745:                             ;   in Loop: Header=BB12_1723 Depth=3
	buffer_load_dword v24, off, s[0:3], s33 offset:128 ; 4-byte Folded Reload
	buffer_load_dword v25, off, s[0:3], s33 offset:132 ; 4-byte Folded Reload
	v_or_b32_e32 v22, 0x10000, v23
	s_waitcnt vmcnt(1)
	v_cmp_eq_u32_sdwa vcc, v23, v24 src0_sel:WORD_0 src1_sel:DWORD
	v_cndmask_b32_e32 v22, v22, v23, vcc
.LBB12_1746:                            ;   in Loop: Header=BB12_1723 Depth=3
	s_or_b64 exec, exec, s[42:43]
	v_and_b32_e32 v19, 0xffff0000, v19
	v_and_b32_e32 v20, 0xffff0000, v20
	v_max_f32_e32 v20, v20, v20
	v_max_f32_e32 v19, v19, v19
	v_min_f32_e32 v23, v19, v20
	v_max_f32_e32 v19, v19, v20
	v_cndmask_b32_e64 v20, v19, v23, s[40:41]
	v_and_b32_e32 v19, 0x7f800000, v20
	v_cmp_ne_u32_e32 vcc, s56, v19
                                        ; implicit-def: $vgpr19
	s_and_saveexec_b64 s[42:43], vcc
	s_xor_b64 s[42:43], exec, s[42:43]
; %bb.1747:                             ;   in Loop: Header=BB12_1723 Depth=3
	v_bfe_u32 v19, v20, 16, 1
	v_add3_u32 v19, v20, v19, s57
                                        ; implicit-def: $vgpr20
; %bb.1748:                             ;   in Loop: Header=BB12_1723 Depth=3
	s_andn2_saveexec_b64 s[42:43], s[42:43]
	s_cbranch_execz .LBB12_1750
; %bb.1749:                             ;   in Loop: Header=BB12_1723 Depth=3
	buffer_load_dword v23, off, s[0:3], s33 offset:128 ; 4-byte Folded Reload
	buffer_load_dword v24, off, s[0:3], s33 offset:132 ; 4-byte Folded Reload
	v_or_b32_e32 v19, 0x10000, v20
	s_waitcnt vmcnt(1)
	v_cmp_eq_u32_sdwa vcc, v20, v23 src0_sel:WORD_0 src1_sel:DWORD
	v_cndmask_b32_e32 v19, v19, v20, vcc
.LBB12_1750:                            ;   in Loop: Header=BB12_1723 Depth=3
	s_or_b64 exec, exec, s[42:43]
	v_lshlrev_b32_e32 v20, 16, v4
	v_lshlrev_b32_e32 v23, 16, v3
	v_max_f32_e32 v23, v23, v23
	v_max_f32_e32 v20, v20, v20
	s_waitcnt vmcnt(0)
	v_min_f32_e32 v24, v20, v23
	v_max_f32_e32 v20, v20, v23
	v_cndmask_b32_e64 v23, v20, v24, s[40:41]
	v_and_b32_e32 v20, 0x7f800000, v23
	v_cmp_ne_u32_e32 vcc, s56, v20
                                        ; implicit-def: $vgpr20
	s_and_saveexec_b64 s[42:43], vcc
	s_xor_b64 s[42:43], exec, s[42:43]
; %bb.1751:                             ;   in Loop: Header=BB12_1723 Depth=3
	v_bfe_u32 v20, v23, 16, 1
	v_add3_u32 v20, v23, v20, s57
                                        ; implicit-def: $vgpr23
; %bb.1752:                             ;   in Loop: Header=BB12_1723 Depth=3
	s_andn2_saveexec_b64 s[42:43], s[42:43]
	s_cbranch_execz .LBB12_1754
; %bb.1753:                             ;   in Loop: Header=BB12_1723 Depth=3
	buffer_load_dword v24, off, s[0:3], s33 offset:128 ; 4-byte Folded Reload
	buffer_load_dword v25, off, s[0:3], s33 offset:132 ; 4-byte Folded Reload
	v_or_b32_e32 v20, 0x10000, v23
	s_waitcnt vmcnt(1)
	v_cmp_eq_u32_sdwa vcc, v23, v24 src0_sel:WORD_0 src1_sel:DWORD
	v_cndmask_b32_e32 v20, v20, v23, vcc
.LBB12_1754:                            ;   in Loop: Header=BB12_1723 Depth=3
	s_or_b64 exec, exec, s[42:43]
	v_and_b32_e32 v4, 0xffff0000, v4
	v_and_b32_e32 v3, 0xffff0000, v3
	v_max_f32_e32 v3, v3, v3
	v_max_f32_e32 v4, v4, v4
	v_min_f32_e32 v23, v4, v3
	v_max_f32_e32 v3, v4, v3
	v_cndmask_b32_e64 v3, v3, v23, s[40:41]
	v_and_b32_e32 v4, 0x7f800000, v3
	v_cmp_ne_u32_e32 vcc, s56, v4
                                        ; implicit-def: $vgpr23
	s_and_saveexec_b64 s[42:43], vcc
	s_xor_b64 s[42:43], exec, s[42:43]
; %bb.1755:                             ;   in Loop: Header=BB12_1723 Depth=3
	v_bfe_u32 v4, v3, 16, 1
	v_add3_u32 v23, v3, v4, s57
                                        ; implicit-def: $vgpr3
; %bb.1756:                             ;   in Loop: Header=BB12_1723 Depth=3
	s_andn2_saveexec_b64 s[42:43], s[42:43]
	s_cbranch_execz .LBB12_1758
; %bb.1757:                             ;   in Loop: Header=BB12_1723 Depth=3
	buffer_load_dword v23, off, s[0:3], s33 offset:128 ; 4-byte Folded Reload
	buffer_load_dword v24, off, s[0:3], s33 offset:132 ; 4-byte Folded Reload
	v_or_b32_e32 v4, 0x10000, v3
	s_waitcnt vmcnt(1)
	v_cmp_eq_u32_sdwa vcc, v3, v23 src0_sel:WORD_0 src1_sel:DWORD
	v_cndmask_b32_e32 v23, v4, v3, vcc
.LBB12_1758:                            ;   in Loop: Header=BB12_1723 Depth=3
	s_or_b64 exec, exec, s[42:43]
	v_lshrrev_b32_e32 v2, 16, v2
	v_lshrrev_b32_e32 v3, 16, v18
	v_and_or_b32 v2, v5, s46, v2
	v_lshrrev_b32_e32 v4, 16, v22
	v_lshrrev_b32_e32 v5, 16, v20
	v_and_or_b32 v3, v21, s46, v3
	v_and_or_b32 v4, v19, s46, v4
	;; [unrolled: 1-line block ×3, first 2 shown]
	s_mov_b64 s[50:51], 0
	s_mov_b64 s[38:39], -1
	buffer_store_dword v3, off, s[0:3], s33 offset:100
	buffer_store_dword v2, off, s[0:3], s33 offset:96
	;; [unrolled: 1-line block ×4, first 2 shown]
.LBB12_1759:                            ;   Parent Loop BB12_47 Depth=1
                                        ;     Parent Loop BB12_1245 Depth=2
                                        ;       Parent Loop BB12_1723 Depth=3
                                        ; =>      This Inner Loop Header: Depth=4
	s_cmp_eq_u32 s50, 1
	s_cselect_b64 s[42:43], -1, 0
	v_cndmask_b32_e64 v19, v9, v12, s[42:43]
	v_cndmask_b32_e64 v18, v8, v10, s[42:43]
	global_store_dwordx4 v[18:19], v[2:5], off glc slc
	v_add_co_u32_e32 v18, vcc, 0x400, v18
	s_cmp_eq_u32 s50, 0
	v_addc_co_u32_e32 v19, vcc, 0, v19, vcc
	s_cselect_b64 vcc, -1, 0
	s_and_b64 s[44:45], exec, s[38:39]
	s_mov_b64 s[50:51], 1
	v_cndmask_b32_e64 v10, v10, v18, s[42:43]
	s_mov_b64 s[38:39], 0
	v_cndmask_b32_e64 v12, v12, v19, s[42:43]
	v_cndmask_b32_e32 v9, v9, v19, vcc
	v_cndmask_b32_e32 v8, v8, v18, vcc
	s_mov_b64 vcc, s[44:45]
	s_cbranch_vccnz .LBB12_1759
; %bb.1760:                             ;   in Loop: Header=BB12_1723 Depth=3
	buffer_load_dword v2, off, s[0:3], s33 offset:340 ; 4-byte Folded Reload
	v_add_co_u32_e32 v8, vcc, v8, v46
	s_waitcnt vmcnt(0)
	v_addc_co_u32_e32 v9, vcc, v9, v2, vcc
	v_add_co_u32_e32 v10, vcc, v10, v46
	v_addc_co_u32_e32 v12, vcc, v12, v2, vcc
.LBB12_1761:                            ;   in Loop: Header=BB12_1723 Depth=3
	s_or_b64 exec, exec, s[48:49]
	buffer_load_dword v2, off, s[0:3], s33 offset:340 ; 4-byte Folded Reload
	v_add_co_u32_e32 v14, vcc, v14, v46
	v_sub_u32_e32 v13, v13, v44
	v_cmp_lt_i32_e64 s[38:39], 15, v13
	s_waitcnt vmcnt(0)
	v_addc_co_u32_e32 v15, vcc, v15, v2, vcc
	v_add_co_u32_e32 v16, vcc, v16, v46
	v_addc_co_u32_e32 v17, vcc, v17, v2, vcc
	s_and_saveexec_b64 s[44:45], s[38:39]
	s_cbranch_execz .LBB12_1764
; %bb.1762:                             ;   in Loop: Header=BB12_1723 Depth=3
	s_lshr_b32 s9, s33, 6
	s_addk_i32 s9, 0x60
	s_mov_b64 s[50:51], 0
	s_mov_b64 s[48:49], -1
.LBB12_1763:                            ;   Parent Loop BB12_47 Depth=1
                                        ;     Parent Loop BB12_1245 Depth=2
                                        ;       Parent Loop BB12_1723 Depth=3
                                        ; =>      This Inner Loop Header: Depth=4
	s_cmp_eq_u32 s50, 1
	s_cselect_b64 s[42:43], -1, 0
	v_cndmask_b32_e64 v19, v15, v17, s[42:43]
	v_cndmask_b32_e64 v18, v14, v16, s[42:43]
	global_load_dwordx4 v[2:5], v[18:19], off glc slc
	v_mov_b32_e32 v20, s9
	s_cmp_eq_u32 s50, 0
	s_mov_b64 s[50:51], 1
	s_mov_b32 s9, s82
	s_waitcnt vmcnt(0)
	buffer_store_dword v3, v20, s[0:3], 0 offen offset:4
	buffer_store_dword v2, v20, s[0:3], 0 offen
	buffer_store_dword v5, v20, s[0:3], 0 offen offset:12
	buffer_store_dword v4, v20, s[0:3], 0 offen offset:8
	v_add_co_u32_e32 v2, vcc, s55, v18
	v_addc_co_u32_e32 v3, vcc, 0, v19, vcc
	s_cselect_b64 vcc, -1, 0
	v_cndmask_b32_e32 v15, v15, v3, vcc
	v_cndmask_b32_e32 v14, v14, v2, vcc
	v_cndmask_b32_e64 v17, v17, v3, s[42:43]
	v_cndmask_b32_e64 v16, v16, v2, s[42:43]
	s_and_b64 vcc, exec, s[48:49]
	s_mov_b64 s[48:49], 0
	s_cbranch_vccnz .LBB12_1763
.LBB12_1764:                            ;   in Loop: Header=BB12_1723 Depth=3
	s_or_b64 exec, exec, s[44:45]
	buffer_load_dword v5, off, s[0:3], s33 offset:64
	buffer_load_dword v18, off, s[0:3], s33 offset:80
	;; [unrolled: 1-line block ×8, first 2 shown]
	s_waitcnt vmcnt(7)
	v_lshlrev_b32_e32 v2, 16, v5
	s_waitcnt vmcnt(6)
	v_lshlrev_b32_e32 v23, 16, v18
	v_max_f32_e32 v23, v23, v23
	v_max_f32_e32 v2, v2, v2
	v_min_f32_e32 v24, v2, v23
	v_max_f32_e32 v2, v2, v23
	v_cndmask_b32_e64 v23, v2, v24, s[40:41]
	v_and_b32_e32 v2, 0x7f800000, v23
	v_cmp_ne_u32_e32 vcc, s56, v2
                                        ; implicit-def: $vgpr2
	s_and_saveexec_b64 s[42:43], vcc
	s_xor_b64 s[42:43], exec, s[42:43]
; %bb.1765:                             ;   in Loop: Header=BB12_1723 Depth=3
	v_bfe_u32 v2, v23, 16, 1
	v_add3_u32 v2, v23, v2, s57
                                        ; implicit-def: $vgpr23
; %bb.1766:                             ;   in Loop: Header=BB12_1723 Depth=3
	s_andn2_saveexec_b64 s[42:43], s[42:43]
	s_cbranch_execz .LBB12_1768
; %bb.1767:                             ;   in Loop: Header=BB12_1723 Depth=3
	buffer_load_dword v24, off, s[0:3], s33 offset:128 ; 4-byte Folded Reload
	buffer_load_dword v25, off, s[0:3], s33 offset:132 ; 4-byte Folded Reload
	v_or_b32_e32 v2, 0x10000, v23
	s_waitcnt vmcnt(1)
	v_cmp_eq_u32_sdwa vcc, v23, v24 src0_sel:WORD_0 src1_sel:DWORD
	v_cndmask_b32_e32 v2, v2, v23, vcc
.LBB12_1768:                            ;   in Loop: Header=BB12_1723 Depth=3
	s_or_b64 exec, exec, s[42:43]
	v_and_b32_e32 v5, 0xffff0000, v5
	v_and_b32_e32 v18, 0xffff0000, v18
	v_max_f32_e32 v18, v18, v18
	v_max_f32_e32 v5, v5, v5
	v_min_f32_e32 v23, v5, v18
	v_max_f32_e32 v5, v5, v18
	v_cndmask_b32_e64 v18, v5, v23, s[40:41]
	v_and_b32_e32 v5, 0x7f800000, v18
	v_cmp_ne_u32_e32 vcc, s56, v5
                                        ; implicit-def: $vgpr5
	s_and_saveexec_b64 s[42:43], vcc
	s_xor_b64 s[42:43], exec, s[42:43]
; %bb.1769:                             ;   in Loop: Header=BB12_1723 Depth=3
	v_bfe_u32 v5, v18, 16, 1
	v_add3_u32 v5, v18, v5, s57
                                        ; implicit-def: $vgpr18
; %bb.1770:                             ;   in Loop: Header=BB12_1723 Depth=3
	s_andn2_saveexec_b64 s[42:43], s[42:43]
	s_cbranch_execz .LBB12_1772
; %bb.1771:                             ;   in Loop: Header=BB12_1723 Depth=3
	buffer_load_dword v23, off, s[0:3], s33 offset:128 ; 4-byte Folded Reload
	buffer_load_dword v24, off, s[0:3], s33 offset:132 ; 4-byte Folded Reload
	v_or_b32_e32 v5, 0x10000, v18
	s_waitcnt vmcnt(1)
	v_cmp_eq_u32_sdwa vcc, v18, v23 src0_sel:WORD_0 src1_sel:DWORD
	v_cndmask_b32_e32 v5, v5, v18, vcc
.LBB12_1772:                            ;   in Loop: Header=BB12_1723 Depth=3
	s_or_b64 exec, exec, s[42:43]
	s_waitcnt vmcnt(5)
	v_lshlrev_b32_e32 v18, 16, v21
	s_waitcnt vmcnt(3)
	v_lshlrev_b32_e32 v23, 16, v22
	v_max_f32_e32 v23, v23, v23
	v_max_f32_e32 v18, v18, v18
	s_waitcnt vmcnt(0)
	v_min_f32_e32 v24, v18, v23
	v_max_f32_e32 v18, v18, v23
	v_cndmask_b32_e64 v23, v18, v24, s[40:41]
	v_and_b32_e32 v18, 0x7f800000, v23
	v_cmp_ne_u32_e32 vcc, s56, v18
                                        ; implicit-def: $vgpr18
	s_and_saveexec_b64 s[42:43], vcc
	s_xor_b64 s[42:43], exec, s[42:43]
; %bb.1773:                             ;   in Loop: Header=BB12_1723 Depth=3
	v_bfe_u32 v18, v23, 16, 1
	v_add3_u32 v18, v23, v18, s57
                                        ; implicit-def: $vgpr23
; %bb.1774:                             ;   in Loop: Header=BB12_1723 Depth=3
	s_andn2_saveexec_b64 s[42:43], s[42:43]
	s_cbranch_execz .LBB12_1776
; %bb.1775:                             ;   in Loop: Header=BB12_1723 Depth=3
	buffer_load_dword v24, off, s[0:3], s33 offset:128 ; 4-byte Folded Reload
	buffer_load_dword v25, off, s[0:3], s33 offset:132 ; 4-byte Folded Reload
	v_or_b32_e32 v18, 0x10000, v23
	s_waitcnt vmcnt(1)
	v_cmp_eq_u32_sdwa vcc, v23, v24 src0_sel:WORD_0 src1_sel:DWORD
	v_cndmask_b32_e32 v18, v18, v23, vcc
.LBB12_1776:                            ;   in Loop: Header=BB12_1723 Depth=3
	s_or_b64 exec, exec, s[42:43]
	v_and_b32_e32 v21, 0xffff0000, v21
	v_and_b32_e32 v22, 0xffff0000, v22
	v_max_f32_e32 v22, v22, v22
	v_max_f32_e32 v21, v21, v21
	v_min_f32_e32 v23, v21, v22
	v_max_f32_e32 v21, v21, v22
	v_cndmask_b32_e64 v22, v21, v23, s[40:41]
	v_and_b32_e32 v21, 0x7f800000, v22
	v_cmp_ne_u32_e32 vcc, s56, v21
                                        ; implicit-def: $vgpr21
	s_and_saveexec_b64 s[42:43], vcc
	s_xor_b64 s[42:43], exec, s[42:43]
; %bb.1777:                             ;   in Loop: Header=BB12_1723 Depth=3
	v_bfe_u32 v21, v22, 16, 1
	v_add3_u32 v21, v22, v21, s57
                                        ; implicit-def: $vgpr22
; %bb.1778:                             ;   in Loop: Header=BB12_1723 Depth=3
	s_andn2_saveexec_b64 s[42:43], s[42:43]
	s_cbranch_execz .LBB12_1780
; %bb.1779:                             ;   in Loop: Header=BB12_1723 Depth=3
	buffer_load_dword v23, off, s[0:3], s33 offset:128 ; 4-byte Folded Reload
	buffer_load_dword v24, off, s[0:3], s33 offset:132 ; 4-byte Folded Reload
	v_or_b32_e32 v21, 0x10000, v22
	s_waitcnt vmcnt(1)
	v_cmp_eq_u32_sdwa vcc, v22, v23 src0_sel:WORD_0 src1_sel:DWORD
	v_cndmask_b32_e32 v21, v21, v22, vcc
.LBB12_1780:                            ;   in Loop: Header=BB12_1723 Depth=3
	s_or_b64 exec, exec, s[42:43]
	v_lshlrev_b32_e32 v22, 16, v19
	v_lshlrev_b32_e32 v23, 16, v20
	v_max_f32_e32 v23, v23, v23
	v_max_f32_e32 v22, v22, v22
	s_waitcnt vmcnt(0)
	v_min_f32_e32 v24, v22, v23
	v_max_f32_e32 v22, v22, v23
	v_cndmask_b32_e64 v23, v22, v24, s[40:41]
	v_and_b32_e32 v22, 0x7f800000, v23
	v_cmp_ne_u32_e32 vcc, s56, v22
                                        ; implicit-def: $vgpr22
	s_and_saveexec_b64 s[42:43], vcc
	s_xor_b64 s[42:43], exec, s[42:43]
; %bb.1781:                             ;   in Loop: Header=BB12_1723 Depth=3
	v_bfe_u32 v22, v23, 16, 1
	v_add3_u32 v22, v23, v22, s57
                                        ; implicit-def: $vgpr23
; %bb.1782:                             ;   in Loop: Header=BB12_1723 Depth=3
	s_andn2_saveexec_b64 s[42:43], s[42:43]
	s_cbranch_execz .LBB12_1784
; %bb.1783:                             ;   in Loop: Header=BB12_1723 Depth=3
	buffer_load_dword v24, off, s[0:3], s33 offset:128 ; 4-byte Folded Reload
	buffer_load_dword v25, off, s[0:3], s33 offset:132 ; 4-byte Folded Reload
	v_or_b32_e32 v22, 0x10000, v23
	s_waitcnt vmcnt(1)
	v_cmp_eq_u32_sdwa vcc, v23, v24 src0_sel:WORD_0 src1_sel:DWORD
	v_cndmask_b32_e32 v22, v22, v23, vcc
.LBB12_1784:                            ;   in Loop: Header=BB12_1723 Depth=3
	s_or_b64 exec, exec, s[42:43]
	v_and_b32_e32 v19, 0xffff0000, v19
	v_and_b32_e32 v20, 0xffff0000, v20
	v_max_f32_e32 v20, v20, v20
	v_max_f32_e32 v19, v19, v19
	v_min_f32_e32 v23, v19, v20
	v_max_f32_e32 v19, v19, v20
	v_cndmask_b32_e64 v20, v19, v23, s[40:41]
	v_and_b32_e32 v19, 0x7f800000, v20
	v_cmp_ne_u32_e32 vcc, s56, v19
                                        ; implicit-def: $vgpr19
	s_and_saveexec_b64 s[42:43], vcc
	s_xor_b64 s[42:43], exec, s[42:43]
; %bb.1785:                             ;   in Loop: Header=BB12_1723 Depth=3
	v_bfe_u32 v19, v20, 16, 1
	v_add3_u32 v19, v20, v19, s57
                                        ; implicit-def: $vgpr20
; %bb.1786:                             ;   in Loop: Header=BB12_1723 Depth=3
	s_andn2_saveexec_b64 s[42:43], s[42:43]
	s_cbranch_execz .LBB12_1788
; %bb.1787:                             ;   in Loop: Header=BB12_1723 Depth=3
	buffer_load_dword v23, off, s[0:3], s33 offset:128 ; 4-byte Folded Reload
	buffer_load_dword v24, off, s[0:3], s33 offset:132 ; 4-byte Folded Reload
	v_or_b32_e32 v19, 0x10000, v20
	s_waitcnt vmcnt(1)
	v_cmp_eq_u32_sdwa vcc, v20, v23 src0_sel:WORD_0 src1_sel:DWORD
	v_cndmask_b32_e32 v19, v19, v20, vcc
.LBB12_1788:                            ;   in Loop: Header=BB12_1723 Depth=3
	s_or_b64 exec, exec, s[42:43]
	v_lshlrev_b32_e32 v20, 16, v4
	v_lshlrev_b32_e32 v23, 16, v3
	v_max_f32_e32 v23, v23, v23
	v_max_f32_e32 v20, v20, v20
	s_waitcnt vmcnt(0)
	v_min_f32_e32 v24, v20, v23
	v_max_f32_e32 v20, v20, v23
	v_cndmask_b32_e64 v23, v20, v24, s[40:41]
	v_and_b32_e32 v20, 0x7f800000, v23
	v_cmp_ne_u32_e32 vcc, s56, v20
                                        ; implicit-def: $vgpr20
	s_and_saveexec_b64 s[42:43], vcc
	s_xor_b64 s[42:43], exec, s[42:43]
; %bb.1789:                             ;   in Loop: Header=BB12_1723 Depth=3
	v_bfe_u32 v20, v23, 16, 1
	v_add3_u32 v20, v23, v20, s57
                                        ; implicit-def: $vgpr23
; %bb.1790:                             ;   in Loop: Header=BB12_1723 Depth=3
	s_andn2_saveexec_b64 s[42:43], s[42:43]
	s_cbranch_execz .LBB12_1792
; %bb.1791:                             ;   in Loop: Header=BB12_1723 Depth=3
	buffer_load_dword v24, off, s[0:3], s33 offset:128 ; 4-byte Folded Reload
	buffer_load_dword v25, off, s[0:3], s33 offset:132 ; 4-byte Folded Reload
	v_or_b32_e32 v20, 0x10000, v23
	s_waitcnt vmcnt(1)
	v_cmp_eq_u32_sdwa vcc, v23, v24 src0_sel:WORD_0 src1_sel:DWORD
	v_cndmask_b32_e32 v20, v20, v23, vcc
.LBB12_1792:                            ;   in Loop: Header=BB12_1723 Depth=3
	s_or_b64 exec, exec, s[42:43]
	v_and_b32_e32 v4, 0xffff0000, v4
	v_and_b32_e32 v3, 0xffff0000, v3
	v_max_f32_e32 v3, v3, v3
	v_max_f32_e32 v4, v4, v4
	v_min_f32_e32 v23, v4, v3
	v_max_f32_e32 v3, v4, v3
	v_cndmask_b32_e64 v3, v3, v23, s[40:41]
	v_and_b32_e32 v4, 0x7f800000, v3
	v_cmp_ne_u32_e32 vcc, s56, v4
                                        ; implicit-def: $vgpr23
	s_and_saveexec_b64 s[42:43], vcc
	s_xor_b64 s[42:43], exec, s[42:43]
; %bb.1793:                             ;   in Loop: Header=BB12_1723 Depth=3
	v_bfe_u32 v4, v3, 16, 1
	v_add3_u32 v23, v3, v4, s57
                                        ; implicit-def: $vgpr3
; %bb.1794:                             ;   in Loop: Header=BB12_1723 Depth=3
	s_andn2_saveexec_b64 s[42:43], s[42:43]
	s_cbranch_execz .LBB12_1796
; %bb.1795:                             ;   in Loop: Header=BB12_1723 Depth=3
	buffer_load_dword v23, off, s[0:3], s33 offset:128 ; 4-byte Folded Reload
	buffer_load_dword v24, off, s[0:3], s33 offset:132 ; 4-byte Folded Reload
	v_or_b32_e32 v4, 0x10000, v3
	s_waitcnt vmcnt(1)
	v_cmp_eq_u32_sdwa vcc, v3, v23 src0_sel:WORD_0 src1_sel:DWORD
	v_cndmask_b32_e32 v23, v4, v3, vcc
.LBB12_1796:                            ;   in Loop: Header=BB12_1723 Depth=3
	s_or_b64 exec, exec, s[42:43]
	v_lshrrev_b32_e32 v2, 16, v2
	v_lshrrev_b32_e32 v3, 16, v18
	v_and_or_b32 v2, v5, s46, v2
	v_lshrrev_b32_e32 v4, 16, v22
	v_lshrrev_b32_e32 v5, 16, v20
	v_and_or_b32 v3, v21, s46, v3
	v_and_or_b32 v4, v19, s46, v4
	v_and_or_b32 v5, v23, s46, v5
	s_mov_b64 s[50:51], 0
	s_mov_b64 s[48:49], -1
	buffer_store_dword v3, off, s[0:3], s33 offset:68
	buffer_store_dword v2, off, s[0:3], s33 offset:64
	;; [unrolled: 1-line block ×4, first 2 shown]
.LBB12_1797:                            ;   Parent Loop BB12_47 Depth=1
                                        ;     Parent Loop BB12_1245 Depth=2
                                        ;       Parent Loop BB12_1723 Depth=3
                                        ; =>      This Inner Loop Header: Depth=4
	s_cmp_eq_u32 s50, 1
	s_cselect_b64 s[42:43], -1, 0
	v_cndmask_b32_e64 v19, v9, v12, s[42:43]
	v_cndmask_b32_e64 v18, v8, v10, s[42:43]
	global_store_dwordx4 v[18:19], v[2:5], off glc slc
	v_add_co_u32_e32 v18, vcc, 0x400, v18
	s_cmp_eq_u32 s50, 0
	v_addc_co_u32_e32 v19, vcc, 0, v19, vcc
	s_cselect_b64 vcc, -1, 0
	s_and_b64 s[44:45], exec, s[48:49]
	s_mov_b64 s[50:51], 1
	v_cndmask_b32_e64 v10, v10, v18, s[42:43]
	s_mov_b64 s[48:49], 0
	v_cndmask_b32_e64 v12, v12, v19, s[42:43]
	v_cndmask_b32_e32 v9, v9, v19, vcc
	v_cndmask_b32_e32 v8, v8, v18, vcc
	s_mov_b64 vcc, s[44:45]
	s_cbranch_vccnz .LBB12_1797
; %bb.1798:                             ;   in Loop: Header=BB12_1723 Depth=3
	buffer_load_dword v2, off, s[0:3], s33 offset:152 ; 4-byte Folded Reload
	s_waitcnt vmcnt(0)
	v_sub_u32_e32 v11, v11, v2
	s_and_saveexec_b64 s[42:43], s[38:39]
	s_cbranch_execz .LBB12_1722
; %bb.1799:                             ;   in Loop: Header=BB12_1723 Depth=3
	buffer_load_dword v2, off, s[0:3], s33 offset:340 ; 4-byte Folded Reload
	v_add_co_u32_e32 v8, vcc, v8, v46
	v_sub_u32_e32 v13, v13, v44
	s_waitcnt vmcnt(0)
	v_addc_co_u32_e32 v9, vcc, v9, v2, vcc
	v_add_co_u32_e32 v10, vcc, v10, v46
	v_addc_co_u32_e32 v12, vcc, v12, v2, vcc
	v_add_co_u32_e32 v14, vcc, v14, v46
	;; [unrolled: 2-line block ×3, first 2 shown]
	v_addc_co_u32_e32 v17, vcc, v17, v2, vcc
	buffer_load_dword v2, off, s[0:3], s33 offset:152 ; 4-byte Folded Reload
	s_waitcnt vmcnt(0)
	v_sub_u32_e32 v11, v11, v2
	s_branch .LBB12_1722
.LBB12_1800:                            ;   in Loop: Header=BB12_1245 Depth=2
	s_or_b64 exec, exec, s[34:35]
	s_and_b64 s[40:41], s[36:37], exec
.LBB12_1801:                            ;   in Loop: Header=BB12_1245 Depth=2
	s_or_b64 exec, exec, s[30:31]
	s_and_saveexec_b64 s[44:45], s[40:41]
	s_cbranch_execz .LBB12_1836
; %bb.1802:                             ;   in Loop: Header=BB12_1245 Depth=2
	buffer_load_dword v5, off, s[0:3], s33 offset:96
	buffer_load_dword v13, off, s[0:3], s33 offset:112
	;; [unrolled: 1-line block ×8, first 2 shown]
	s_and_b32 s9, 0xffff, s65
	s_cmp_eq_u32 s9, 0
	s_cselect_b64 vcc, -1, 0
	s_waitcnt vmcnt(7)
	v_lshlrev_b32_e32 v2, 16, v5
	s_waitcnt vmcnt(6)
	v_lshlrev_b32_e32 v18, 16, v13
	v_max_f32_e32 v18, v18, v18
	v_max_f32_e32 v2, v2, v2
	v_min_f32_e32 v19, v2, v18
	v_max_f32_e32 v2, v2, v18
	v_cndmask_b32_e32 v18, v2, v19, vcc
	v_and_b32_e32 v2, 0x7f800000, v18
	v_cmp_ne_u32_e64 s[40:41], s56, v2
                                        ; implicit-def: $vgpr2
	s_and_saveexec_b64 s[42:43], s[40:41]
	s_xor_b64 s[40:41], exec, s[42:43]
; %bb.1803:                             ;   in Loop: Header=BB12_1245 Depth=2
	v_bfe_u32 v2, v18, 16, 1
	v_add3_u32 v2, v18, v2, s57
                                        ; implicit-def: $vgpr18
; %bb.1804:                             ;   in Loop: Header=BB12_1245 Depth=2
	s_andn2_saveexec_b64 s[42:43], s[40:41]
	s_cbranch_execz .LBB12_1806
; %bb.1805:                             ;   in Loop: Header=BB12_1245 Depth=2
	buffer_load_dword v19, off, s[0:3], s33 offset:128 ; 4-byte Folded Reload
	buffer_load_dword v20, off, s[0:3], s33 offset:132 ; 4-byte Folded Reload
	v_or_b32_e32 v2, 0x10000, v18
	s_waitcnt vmcnt(1)
	v_cmp_eq_u32_sdwa s[40:41], v18, v19 src0_sel:WORD_0 src1_sel:DWORD
	v_cndmask_b32_e64 v2, v2, v18, s[40:41]
.LBB12_1806:                            ;   in Loop: Header=BB12_1245 Depth=2
	s_or_b64 exec, exec, s[42:43]
	v_and_b32_e32 v5, 0xffff0000, v5
	v_and_b32_e32 v13, 0xffff0000, v13
	v_max_f32_e32 v13, v13, v13
	v_max_f32_e32 v5, v5, v5
	v_min_f32_e32 v18, v5, v13
	v_max_f32_e32 v5, v5, v13
	v_cndmask_b32_e32 v13, v5, v18, vcc
	v_and_b32_e32 v5, 0x7f800000, v13
	v_cmp_ne_u32_e64 s[40:41], s56, v5
                                        ; implicit-def: $vgpr5
	s_and_saveexec_b64 s[42:43], s[40:41]
	s_xor_b64 s[40:41], exec, s[42:43]
; %bb.1807:                             ;   in Loop: Header=BB12_1245 Depth=2
	v_bfe_u32 v5, v13, 16, 1
	v_add3_u32 v5, v13, v5, s57
                                        ; implicit-def: $vgpr13
; %bb.1808:                             ;   in Loop: Header=BB12_1245 Depth=2
	s_andn2_saveexec_b64 s[42:43], s[40:41]
	s_cbranch_execz .LBB12_1810
; %bb.1809:                             ;   in Loop: Header=BB12_1245 Depth=2
	buffer_load_dword v18, off, s[0:3], s33 offset:128 ; 4-byte Folded Reload
	buffer_load_dword v19, off, s[0:3], s33 offset:132 ; 4-byte Folded Reload
	v_or_b32_e32 v5, 0x10000, v13
	s_waitcnt vmcnt(1)
	v_cmp_eq_u32_sdwa s[40:41], v13, v18 src0_sel:WORD_0 src1_sel:DWORD
	v_cndmask_b32_e64 v5, v5, v13, s[40:41]
.LBB12_1810:                            ;   in Loop: Header=BB12_1245 Depth=2
	s_or_b64 exec, exec, s[42:43]
	s_waitcnt vmcnt(5)
	v_lshlrev_b32_e32 v13, 16, v16
	s_waitcnt vmcnt(3)
	v_lshlrev_b32_e32 v18, 16, v17
	v_max_f32_e32 v18, v18, v18
	v_max_f32_e32 v13, v13, v13
	s_waitcnt vmcnt(0)
	v_min_f32_e32 v19, v13, v18
	v_max_f32_e32 v13, v13, v18
	v_cndmask_b32_e32 v18, v13, v19, vcc
	v_and_b32_e32 v13, 0x7f800000, v18
	v_cmp_ne_u32_e64 s[40:41], s56, v13
                                        ; implicit-def: $vgpr13
	s_and_saveexec_b64 s[42:43], s[40:41]
	s_xor_b64 s[40:41], exec, s[42:43]
; %bb.1811:                             ;   in Loop: Header=BB12_1245 Depth=2
	v_bfe_u32 v13, v18, 16, 1
	v_add3_u32 v13, v18, v13, s57
                                        ; implicit-def: $vgpr18
; %bb.1812:                             ;   in Loop: Header=BB12_1245 Depth=2
	s_andn2_saveexec_b64 s[42:43], s[40:41]
	s_cbranch_execz .LBB12_1814
; %bb.1813:                             ;   in Loop: Header=BB12_1245 Depth=2
	buffer_load_dword v19, off, s[0:3], s33 offset:128 ; 4-byte Folded Reload
	buffer_load_dword v20, off, s[0:3], s33 offset:132 ; 4-byte Folded Reload
	v_or_b32_e32 v13, 0x10000, v18
	s_waitcnt vmcnt(1)
	v_cmp_eq_u32_sdwa s[40:41], v18, v19 src0_sel:WORD_0 src1_sel:DWORD
	v_cndmask_b32_e64 v13, v13, v18, s[40:41]
.LBB12_1814:                            ;   in Loop: Header=BB12_1245 Depth=2
	s_or_b64 exec, exec, s[42:43]
	v_and_b32_e32 v16, 0xffff0000, v16
	v_and_b32_e32 v17, 0xffff0000, v17
	v_max_f32_e32 v17, v17, v17
	v_max_f32_e32 v16, v16, v16
	v_min_f32_e32 v18, v16, v17
	v_max_f32_e32 v16, v16, v17
	v_cndmask_b32_e32 v17, v16, v18, vcc
	v_and_b32_e32 v16, 0x7f800000, v17
	v_cmp_ne_u32_e64 s[40:41], s56, v16
                                        ; implicit-def: $vgpr16
	s_and_saveexec_b64 s[42:43], s[40:41]
	s_xor_b64 s[40:41], exec, s[42:43]
; %bb.1815:                             ;   in Loop: Header=BB12_1245 Depth=2
	v_bfe_u32 v16, v17, 16, 1
	v_add3_u32 v16, v17, v16, s57
                                        ; implicit-def: $vgpr17
; %bb.1816:                             ;   in Loop: Header=BB12_1245 Depth=2
	s_andn2_saveexec_b64 s[42:43], s[40:41]
	s_cbranch_execz .LBB12_1818
; %bb.1817:                             ;   in Loop: Header=BB12_1245 Depth=2
	buffer_load_dword v18, off, s[0:3], s33 offset:128 ; 4-byte Folded Reload
	buffer_load_dword v19, off, s[0:3], s33 offset:132 ; 4-byte Folded Reload
	v_or_b32_e32 v16, 0x10000, v17
	s_waitcnt vmcnt(1)
	v_cmp_eq_u32_sdwa s[40:41], v17, v18 src0_sel:WORD_0 src1_sel:DWORD
	v_cndmask_b32_e64 v16, v16, v17, s[40:41]
.LBB12_1818:                            ;   in Loop: Header=BB12_1245 Depth=2
	s_or_b64 exec, exec, s[42:43]
	v_lshlrev_b32_e32 v17, 16, v14
	v_lshlrev_b32_e32 v18, 16, v15
	v_max_f32_e32 v18, v18, v18
	v_max_f32_e32 v17, v17, v17
	s_waitcnt vmcnt(0)
	v_min_f32_e32 v19, v17, v18
	v_max_f32_e32 v17, v17, v18
	v_cndmask_b32_e32 v18, v17, v19, vcc
	v_and_b32_e32 v17, 0x7f800000, v18
	v_cmp_ne_u32_e64 s[40:41], s56, v17
                                        ; implicit-def: $vgpr17
	s_and_saveexec_b64 s[42:43], s[40:41]
	s_xor_b64 s[40:41], exec, s[42:43]
; %bb.1819:                             ;   in Loop: Header=BB12_1245 Depth=2
	v_bfe_u32 v17, v18, 16, 1
	v_add3_u32 v17, v18, v17, s57
                                        ; implicit-def: $vgpr18
; %bb.1820:                             ;   in Loop: Header=BB12_1245 Depth=2
	s_andn2_saveexec_b64 s[42:43], s[40:41]
	s_cbranch_execz .LBB12_1822
; %bb.1821:                             ;   in Loop: Header=BB12_1245 Depth=2
	buffer_load_dword v19, off, s[0:3], s33 offset:128 ; 4-byte Folded Reload
	buffer_load_dword v20, off, s[0:3], s33 offset:132 ; 4-byte Folded Reload
	v_or_b32_e32 v17, 0x10000, v18
	s_waitcnt vmcnt(1)
	v_cmp_eq_u32_sdwa s[40:41], v18, v19 src0_sel:WORD_0 src1_sel:DWORD
	v_cndmask_b32_e64 v17, v17, v18, s[40:41]
.LBB12_1822:                            ;   in Loop: Header=BB12_1245 Depth=2
	s_or_b64 exec, exec, s[42:43]
	v_and_b32_e32 v14, 0xffff0000, v14
	v_and_b32_e32 v15, 0xffff0000, v15
	v_max_f32_e32 v15, v15, v15
	v_max_f32_e32 v14, v14, v14
	v_min_f32_e32 v18, v14, v15
	v_max_f32_e32 v14, v14, v15
	v_cndmask_b32_e32 v15, v14, v18, vcc
	v_and_b32_e32 v14, 0x7f800000, v15
	v_cmp_ne_u32_e64 s[40:41], s56, v14
                                        ; implicit-def: $vgpr14
	s_and_saveexec_b64 s[42:43], s[40:41]
	s_xor_b64 s[40:41], exec, s[42:43]
; %bb.1823:                             ;   in Loop: Header=BB12_1245 Depth=2
	v_bfe_u32 v14, v15, 16, 1
	v_add3_u32 v14, v15, v14, s57
                                        ; implicit-def: $vgpr15
; %bb.1824:                             ;   in Loop: Header=BB12_1245 Depth=2
	s_andn2_saveexec_b64 s[42:43], s[40:41]
	s_cbranch_execz .LBB12_1826
; %bb.1825:                             ;   in Loop: Header=BB12_1245 Depth=2
	buffer_load_dword v18, off, s[0:3], s33 offset:128 ; 4-byte Folded Reload
	buffer_load_dword v19, off, s[0:3], s33 offset:132 ; 4-byte Folded Reload
	v_or_b32_e32 v14, 0x10000, v15
	s_waitcnt vmcnt(1)
	v_cmp_eq_u32_sdwa s[40:41], v15, v18 src0_sel:WORD_0 src1_sel:DWORD
	v_cndmask_b32_e64 v14, v14, v15, s[40:41]
.LBB12_1826:                            ;   in Loop: Header=BB12_1245 Depth=2
	s_or_b64 exec, exec, s[42:43]
	v_lshlrev_b32_e32 v15, 16, v4
	v_lshlrev_b32_e32 v18, 16, v3
	v_max_f32_e32 v18, v18, v18
	v_max_f32_e32 v15, v15, v15
	s_waitcnt vmcnt(0)
	v_min_f32_e32 v19, v15, v18
	v_max_f32_e32 v15, v15, v18
	v_cndmask_b32_e32 v18, v15, v19, vcc
	v_and_b32_e32 v15, 0x7f800000, v18
	v_cmp_ne_u32_e64 s[40:41], s56, v15
                                        ; implicit-def: $vgpr15
	s_and_saveexec_b64 s[42:43], s[40:41]
	s_xor_b64 s[40:41], exec, s[42:43]
; %bb.1827:                             ;   in Loop: Header=BB12_1245 Depth=2
	v_bfe_u32 v15, v18, 16, 1
	v_add3_u32 v15, v18, v15, s57
                                        ; implicit-def: $vgpr18
; %bb.1828:                             ;   in Loop: Header=BB12_1245 Depth=2
	s_andn2_saveexec_b64 s[42:43], s[40:41]
	s_cbranch_execz .LBB12_1830
; %bb.1829:                             ;   in Loop: Header=BB12_1245 Depth=2
	buffer_load_dword v19, off, s[0:3], s33 offset:128 ; 4-byte Folded Reload
	buffer_load_dword v20, off, s[0:3], s33 offset:132 ; 4-byte Folded Reload
	v_or_b32_e32 v15, 0x10000, v18
	s_waitcnt vmcnt(1)
	v_cmp_eq_u32_sdwa s[40:41], v18, v19 src0_sel:WORD_0 src1_sel:DWORD
	v_cndmask_b32_e64 v15, v15, v18, s[40:41]
.LBB12_1830:                            ;   in Loop: Header=BB12_1245 Depth=2
	s_or_b64 exec, exec, s[42:43]
	v_and_b32_e32 v4, 0xffff0000, v4
	v_and_b32_e32 v3, 0xffff0000, v3
	v_max_f32_e32 v3, v3, v3
	v_max_f32_e32 v4, v4, v4
	v_min_f32_e32 v18, v4, v3
	v_max_f32_e32 v3, v4, v3
	v_cndmask_b32_e32 v3, v3, v18, vcc
	v_and_b32_e32 v4, 0x7f800000, v3
	v_cmp_ne_u32_e32 vcc, s56, v4
                                        ; implicit-def: $vgpr18
	s_and_saveexec_b64 s[40:41], vcc
	s_xor_b64 s[40:41], exec, s[40:41]
; %bb.1831:                             ;   in Loop: Header=BB12_1245 Depth=2
	v_bfe_u32 v4, v3, 16, 1
	v_add3_u32 v18, v3, v4, s57
                                        ; implicit-def: $vgpr3
; %bb.1832:                             ;   in Loop: Header=BB12_1245 Depth=2
	s_andn2_saveexec_b64 s[40:41], s[40:41]
	s_cbranch_execz .LBB12_1834
; %bb.1833:                             ;   in Loop: Header=BB12_1245 Depth=2
	buffer_load_dword v18, off, s[0:3], s33 offset:128 ; 4-byte Folded Reload
	buffer_load_dword v19, off, s[0:3], s33 offset:132 ; 4-byte Folded Reload
	v_or_b32_e32 v4, 0x10000, v3
	s_waitcnt vmcnt(1)
	v_cmp_eq_u32_sdwa vcc, v3, v18 src0_sel:WORD_0 src1_sel:DWORD
	v_cndmask_b32_e32 v18, v4, v3, vcc
.LBB12_1834:                            ;   in Loop: Header=BB12_1245 Depth=2
	s_or_b64 exec, exec, s[40:41]
	v_lshrrev_b32_e32 v2, 16, v2
	v_lshrrev_b32_e32 v3, 16, v13
	v_and_or_b32 v2, v5, s46, v2
	v_lshrrev_b32_e32 v4, 16, v17
	v_lshrrev_b32_e32 v5, 16, v15
	v_and_or_b32 v3, v16, s46, v3
	v_and_or_b32 v4, v14, s46, v4
	;; [unrolled: 1-line block ×3, first 2 shown]
	s_mov_b64 s[34:35], 0
	s_mov_b64 s[30:31], -1
.LBB12_1835:                            ;   Parent Loop BB12_47 Depth=1
                                        ;     Parent Loop BB12_1245 Depth=2
                                        ; =>    This Inner Loop Header: Depth=3
	s_cmp_eq_u32 s34, 1
	s_cselect_b64 s[40:41], -1, 0
	v_cndmask_b32_e64 v14, v9, v12, s[40:41]
	v_cndmask_b32_e64 v13, v8, v10, s[40:41]
	global_store_dwordx4 v[13:14], v[2:5], off glc slc
	v_add_co_u32_e32 v13, vcc, 0x400, v13
	s_cmp_eq_u32 s34, 0
	v_addc_co_u32_e32 v14, vcc, 0, v14, vcc
	s_cselect_b64 vcc, -1, 0
	s_and_b64 s[42:43], exec, s[30:31]
	s_mov_b64 s[34:35], 1
	v_cndmask_b32_e64 v10, v10, v13, s[40:41]
	s_mov_b64 s[30:31], 0
	v_cndmask_b32_e64 v12, v12, v14, s[40:41]
	v_cndmask_b32_e32 v9, v9, v14, vcc
	v_cndmask_b32_e32 v8, v8, v13, vcc
	s_mov_b64 vcc, s[42:43]
	s_cbranch_vccnz .LBB12_1835
.LBB12_1836:                            ;   in Loop: Header=BB12_1245 Depth=2
	s_or_b64 exec, exec, s[44:45]
	v_and_b32_e32 v3, 14, v50
	v_cndmask_b32_e64 v5, v7, v3, s[28:29]
	v_cmp_ne_u32_e32 vcc, 0, v5
	s_mov_b64 s[40:41], s[92:93]
                                        ; implicit-def: $vgpr4
                                        ; implicit-def: $vgpr2
                                        ; implicit-def: $vgpr8
	s_and_saveexec_b64 s[42:43], vcc
	s_cbranch_execz .LBB12_1838
; %bb.1837:                             ;   in Loop: Header=BB12_1245 Depth=2
	v_sub_u32_e32 v2, v7, v3
	v_cndmask_b32_e64 v2, 0, v2, s[28:29]
	v_add3_u32 v4, v6, v0, v2
	buffer_load_dword v0, off, s[0:3], s33 offset:152 ; 4-byte Folded Reload
	v_cmp_lt_i32_e32 vcc, 0, v11
	s_or_b64 s[40:41], s[92:93], exec
	s_waitcnt vmcnt(0)
	v_cndmask_b32_e32 v0, 0, v0, vcc
	v_sub_u32_e32 v0, v0, v11
	v_lshl_add_u32 v2, v0, 6, v1
	v_ashrrev_i32_e32 v0, 31, v2
	v_lshrrev_b32_e32 v0, 26, v0
	v_add_u32_e32 v0, v2, v0
	v_and_b32_e32 v0, 0xffffffc0, v0
	v_sub_u32_e32 v8, v2, v0
.LBB12_1838:                            ;   in Loop: Header=BB12_1245 Depth=2
	s_or_b64 exec, exec, s[42:43]
	s_andn2_b64 s[28:29], s[92:93], exec
	s_and_b64 s[40:41], s[40:41], exec
	s_or_b64 s[92:93], s[28:29], s[40:41]
.LBB12_1839:                            ;   in Loop: Header=BB12_1245 Depth=2
	s_or_b64 exec, exec, s[94:95]
	s_and_saveexec_b64 s[44:45], s[92:93]
	s_cbranch_execz .LBB12_2076
.LBB12_1840:                            ;   in Loop: Header=BB12_1245 Depth=2
	buffer_store_dword v50, off, s[0:3], s33 offset:544 ; 4-byte Folded Spill
	buffer_store_dword v54, off, s[0:3], s33 offset:572 ; 4-byte Folded Spill
	;; [unrolled: 1-line block ×3, first 2 shown]
	s_nop 0
	buffer_store_dword v52, off, s[0:3], s33 offset:520 ; 4-byte Folded Spill
	buffer_store_dword v49, off, s[0:3], s33 offset:508 ; 4-byte Folded Spill
	s_nop 0
	buffer_store_dword v50, off, s[0:3], s33 offset:512 ; 4-byte Folded Spill
	s_waitcnt vmcnt(6)
	v_ashrrev_i32_e32 v0, 31, v2
	v_lshrrev_b32_e32 v0, 26, v0
	v_add_u32_e32 v0, v2, v0
	v_ashrrev_i32_e32 v0, 6, v0
	v_lshlrev_b32_e32 v1, 11, v0
	v_lshlrev_b32_e32 v2, 1, v8
	v_add3_u32 v24, v4, v2, v1
	v_ashrrev_i32_e32 v1, 31, v5
	v_lshrrev_b32_e32 v1, 21, v1
	v_add_u32_e32 v1, v5, v1
	v_ashrrev_i32_e32 v1, 11, v1
	buffer_store_dword v8, off, s[0:3], s33 offset:452 ; 4-byte Folded Spill
	buffer_store_dword v4, off, s[0:3], s33 offset:388 ; 4-byte Folded Spill
	;; [unrolled: 1-line block ×4, first 2 shown]
	v_ashrrev_i32_e32 v25, 31, v24
	v_sub_u32_e32 v11, v1, v0
	v_mov_b32_e32 v9, 0
	s_mov_b64 s[28:29], 0
	v_mov_b32_e32 v13, 0
	v_mov_b32_e32 v16, 0
	;; [unrolled: 1-line block ×29, first 2 shown]
	v_add_co_u32_e32 v2, vcc, v52, v24
	buffer_store_dword v52, off, s[0:3], s33 offset:536 ; 4-byte Folded Spill
	s_nop 0
	buffer_store_dword v53, off, s[0:3], s33 offset:540 ; 4-byte Folded Spill
	v_mov_b32_e32 v52, 0
	v_addc_co_u32_e32 v3, vcc, v53, v25, vcc
	v_add_co_u32_e32 v0, vcc, v31, v24
	v_addc_co_u32_e32 v1, vcc, v32, v25, vcc
	v_cmp_lt_i32_e32 vcc, 0, v11
	v_mov_b32_e32 v53, 0
	s_and_saveexec_b64 s[40:41], vcc
	s_cbranch_execz .LBB12_1978
; %bb.1841:                             ;   in Loop: Header=BB12_1245 Depth=2
	buffer_store_dword v31, off, s[0:3], s33 offset:584 ; 4-byte Folded Spill
	s_nop 0
	buffer_store_dword v32, off, s[0:3], s33 offset:588 ; 4-byte Folded Spill
	s_trap 2
	ds_read_b64 v[6:7], v0
	buffer_load_dword v4, off, s[0:3], s33 offset:500 ; 4-byte Folded Reload
	buffer_load_dword v5, off, s[0:3], s33 offset:504 ; 4-byte Folded Reload
                                        ; implicit-def: $vgpr8
                                        ; kill: killed $vgpr8
                                        ; implicit-def: $vgpr8
                                        ; kill: killed $vgpr8
	;; [unrolled: 2-line block ×10, first 2 shown]
                                        ; implicit-def: $vgpr8
	s_and_b32 s9, s65, 0xff
                                        ; kill: killed $vgpr8
                                        ; implicit-def: $vgpr8
	s_cmp_eq_u32 s9, 0
                                        ; kill: killed $vgpr8
                                        ; implicit-def: $vgpr8
	s_mov_b64 s[94:95], 0
	s_mov_b64 s[92:93], 0
	s_cselect_b64 s[28:29], -1, 0
                                        ; kill: killed $vgpr8
                                        ; implicit-def: $vgpr8
                                        ; implicit-def: $sgpr42_sgpr43
                                        ; implicit-def: $vgpr9
                                        ; implicit-def: $vgpr61
                                        ; implicit-def: $vgpr58
                                        ; implicit-def: $vgpr47
                                        ; implicit-def: $vgpr44
                                        ; implicit-def: $vgpr41
                                        ; implicit-def: $vgpr54
                                        ; implicit-def: $vgpr51
                                        ; implicit-def: $vgpr39
                                        ; implicit-def: $vgpr36
                                        ; implicit-def: $vgpr34
                                        ; implicit-def: $vgpr33
                                        ; implicit-def: $vgpr32
                                        ; implicit-def: $vgpr31
                                        ; implicit-def: $vgpr30
                                        ; implicit-def: $vgpr29
                                        ; kill: killed $vgpr8
                                        ; implicit-def: $vgpr8
                                        ; kill: killed $vgpr8
                                        ; implicit-def: $vgpr28
	s_waitcnt vmcnt(1)
	v_add_co_u32_e32 v4, vcc, v24, v4
	s_waitcnt vmcnt(0)
	v_addc_co_u32_e32 v5, vcc, v25, v5, vcc
	s_waitcnt lgkmcnt(0)
	v_add_co_u32_e32 v6, vcc, v6, v24
	v_addc_co_u32_e32 v7, vcc, v7, v25, vcc
	s_branch .LBB12_1843
.LBB12_1842:                            ;   in Loop: Header=BB12_1843 Depth=3
	s_or_b64 exec, exec, s[30:31]
	v_cmp_gt_i32_e32 vcc, 1, v11
	s_or_b64 s[92:93], vcc, s[92:93]
	s_andn2_b64 s[42:43], s[42:43], exec
	s_and_b64 vcc, s[94:95], exec
	s_or_b64 s[42:43], s[42:43], vcc
	s_andn2_b64 exec, exec, s[92:93]
	s_cbranch_execz .LBB12_1977
.LBB12_1843:                            ;   Parent Loop BB12_47 Depth=1
                                        ;     Parent Loop BB12_1245 Depth=2
                                        ; =>    This Inner Loop Header: Depth=3
	flat_load_ushort v22, v[4:5] glc slc
	flat_load_ushort v20, v[4:5] offset:128 glc slc
	flat_load_ushort v18, v[4:5] offset:256 glc slc
	;; [unrolled: 1-line block ×15, first 2 shown]
	flat_load_ushort v23, v[6:7] glc slc
	flat_load_ushort v21, v[6:7] offset:128 glc slc
	flat_load_ushort v19, v[6:7] offset:256 glc slc
	;; [unrolled: 1-line block ×15, first 2 shown]
	s_and_saveexec_b64 s[30:31], s[94:95]
	s_cbranch_execz .LBB12_1909
; %bb.1844:                             ;   in Loop: Header=BB12_1843 Depth=3
	buffer_load_dword v24, off, s[0:3], s33 offset:168 ; 4-byte Folded Reload
	v_lshlrev_b32_e32 v9, 16, v9
	v_max_f32_e32 v9, v9, v9
	s_waitcnt vmcnt(0)
	v_lshlrev_b32_e32 v24, 16, v24
	v_max_f32_e32 v24, v24, v24
	v_min_f32_e32 v25, v9, v24
	v_max_f32_e32 v9, v9, v24
	v_cndmask_b32_e64 v24, v9, v25, s[28:29]
	v_and_b32_e32 v9, 0x7f800000, v24
	v_cmp_ne_u32_e32 vcc, s56, v9
                                        ; implicit-def: $vgpr9
	s_and_saveexec_b64 s[94:95], vcc
	s_xor_b64 s[94:95], exec, s[94:95]
; %bb.1845:                             ;   in Loop: Header=BB12_1843 Depth=3
	v_bfe_u32 v9, v24, 16, 1
	v_add3_u32 v9, v24, v9, s57
                                        ; implicit-def: $vgpr24
; %bb.1846:                             ;   in Loop: Header=BB12_1843 Depth=3
	s_andn2_saveexec_b64 s[94:95], s[94:95]
	s_cbranch_execz .LBB12_1848
; %bb.1847:                             ;   in Loop: Header=BB12_1843 Depth=3
	buffer_load_dword v25, off, s[0:3], s33 offset:128 ; 4-byte Folded Reload
	buffer_load_dword v26, off, s[0:3], s33 offset:132 ; 4-byte Folded Reload
	v_or_b32_e32 v9, 0x10000, v24
	s_waitcnt vmcnt(0)
	v_cmp_eq_u32_sdwa vcc, v24, v25 src0_sel:WORD_0 src1_sel:DWORD
	v_cndmask_b32_e32 v9, v9, v24, vcc
.LBB12_1848:                            ;   in Loop: Header=BB12_1843 Depth=3
	s_or_b64 exec, exec, s[94:95]
	buffer_load_dword v25, off, s[0:3], s33 offset:184 ; 4-byte Folded Reload
	v_lshlrev_b32_e32 v24, 16, v61
	v_max_f32_e32 v24, v24, v24
	s_waitcnt vmcnt(0)
	v_lshlrev_b32_e32 v25, 16, v25
	v_max_f32_e32 v25, v25, v25
	v_min_f32_e32 v61, v24, v25
	v_max_f32_e32 v24, v24, v25
	v_cndmask_b32_e64 v24, v24, v61, s[28:29]
	v_and_b32_e32 v25, 0x7f800000, v24
	v_cmp_ne_u32_e32 vcc, s56, v25
                                        ; implicit-def: $vgpr61
	s_and_saveexec_b64 s[94:95], vcc
	s_xor_b64 s[94:95], exec, s[94:95]
; %bb.1849:                             ;   in Loop: Header=BB12_1843 Depth=3
	v_bfe_u32 v25, v24, 16, 1
	v_add3_u32 v61, v24, v25, s57
                                        ; implicit-def: $vgpr24
; %bb.1850:                             ;   in Loop: Header=BB12_1843 Depth=3
	s_andn2_saveexec_b64 s[94:95], s[94:95]
	s_cbranch_execz .LBB12_1852
; %bb.1851:                             ;   in Loop: Header=BB12_1843 Depth=3
	buffer_load_dword v26, off, s[0:3], s33 offset:128 ; 4-byte Folded Reload
	buffer_load_dword v27, off, s[0:3], s33 offset:132 ; 4-byte Folded Reload
	v_or_b32_e32 v25, 0x10000, v24
	s_waitcnt vmcnt(0)
	v_cmp_eq_u32_sdwa vcc, v24, v26 src0_sel:WORD_0 src1_sel:DWORD
	v_cndmask_b32_e32 v61, v25, v24, vcc
.LBB12_1852:                            ;   in Loop: Header=BB12_1843 Depth=3
	s_or_b64 exec, exec, s[94:95]
	buffer_load_dword v25, off, s[0:3], s33 offset:200 ; 4-byte Folded Reload
	v_lshlrev_b32_e32 v24, 16, v58
	v_max_f32_e32 v24, v24, v24
	s_waitcnt vmcnt(0)
	v_lshlrev_b32_e32 v25, 16, v25
	v_max_f32_e32 v25, v25, v25
	v_min_f32_e32 v58, v24, v25
	v_max_f32_e32 v24, v24, v25
	v_cndmask_b32_e64 v24, v24, v58, s[28:29]
	v_and_b32_e32 v25, 0x7f800000, v24
	v_cmp_ne_u32_e32 vcc, s56, v25
                                        ; implicit-def: $vgpr58
	s_and_saveexec_b64 s[94:95], vcc
	s_xor_b64 s[94:95], exec, s[94:95]
; %bb.1853:                             ;   in Loop: Header=BB12_1843 Depth=3
	v_bfe_u32 v25, v24, 16, 1
	v_add3_u32 v58, v24, v25, s57
                                        ; implicit-def: $vgpr24
; %bb.1854:                             ;   in Loop: Header=BB12_1843 Depth=3
	s_andn2_saveexec_b64 s[94:95], s[94:95]
	s_cbranch_execz .LBB12_1856
; %bb.1855:                             ;   in Loop: Header=BB12_1843 Depth=3
	buffer_load_dword v26, off, s[0:3], s33 offset:128 ; 4-byte Folded Reload
	buffer_load_dword v27, off, s[0:3], s33 offset:132 ; 4-byte Folded Reload
	v_or_b32_e32 v25, 0x10000, v24
	s_waitcnt vmcnt(0)
	v_cmp_eq_u32_sdwa vcc, v24, v26 src0_sel:WORD_0 src1_sel:DWORD
	v_cndmask_b32_e32 v58, v25, v24, vcc
.LBB12_1856:                            ;   in Loop: Header=BB12_1843 Depth=3
	s_or_b64 exec, exec, s[94:95]
	buffer_load_dword v25, off, s[0:3], s33 offset:216 ; 4-byte Folded Reload
	v_lshlrev_b32_e32 v24, 16, v47
	v_max_f32_e32 v24, v24, v24
	s_waitcnt vmcnt(0)
	v_lshlrev_b32_e32 v25, 16, v25
	v_max_f32_e32 v25, v25, v25
	v_min_f32_e32 v47, v24, v25
	v_max_f32_e32 v24, v24, v25
	v_cndmask_b32_e64 v24, v24, v47, s[28:29]
	v_and_b32_e32 v25, 0x7f800000, v24
	v_cmp_ne_u32_e32 vcc, s56, v25
                                        ; implicit-def: $vgpr47
	s_and_saveexec_b64 s[94:95], vcc
	s_xor_b64 s[94:95], exec, s[94:95]
; %bb.1857:                             ;   in Loop: Header=BB12_1843 Depth=3
	v_bfe_u32 v25, v24, 16, 1
	v_add3_u32 v47, v24, v25, s57
                                        ; implicit-def: $vgpr24
; %bb.1858:                             ;   in Loop: Header=BB12_1843 Depth=3
	s_andn2_saveexec_b64 s[94:95], s[94:95]
	s_cbranch_execz .LBB12_1860
; %bb.1859:                             ;   in Loop: Header=BB12_1843 Depth=3
	buffer_load_dword v26, off, s[0:3], s33 offset:128 ; 4-byte Folded Reload
	buffer_load_dword v27, off, s[0:3], s33 offset:132 ; 4-byte Folded Reload
	v_or_b32_e32 v25, 0x10000, v24
	s_waitcnt vmcnt(0)
	v_cmp_eq_u32_sdwa vcc, v24, v26 src0_sel:WORD_0 src1_sel:DWORD
	v_cndmask_b32_e32 v47, v25, v24, vcc
.LBB12_1860:                            ;   in Loop: Header=BB12_1843 Depth=3
	s_or_b64 exec, exec, s[94:95]
	buffer_load_dword v25, off, s[0:3], s33 offset:240 ; 4-byte Folded Reload
	v_lshlrev_b32_e32 v24, 16, v44
	v_max_f32_e32 v24, v24, v24
	s_waitcnt vmcnt(0)
	v_lshlrev_b32_e32 v25, 16, v25
	v_max_f32_e32 v25, v25, v25
	v_min_f32_e32 v44, v24, v25
	v_max_f32_e32 v24, v24, v25
	v_cndmask_b32_e64 v24, v24, v44, s[28:29]
	v_and_b32_e32 v25, 0x7f800000, v24
	v_cmp_ne_u32_e32 vcc, s56, v25
                                        ; implicit-def: $vgpr44
	s_and_saveexec_b64 s[94:95], vcc
	s_xor_b64 s[94:95], exec, s[94:95]
; %bb.1861:                             ;   in Loop: Header=BB12_1843 Depth=3
	v_bfe_u32 v25, v24, 16, 1
	v_add3_u32 v44, v24, v25, s57
                                        ; implicit-def: $vgpr24
; %bb.1862:                             ;   in Loop: Header=BB12_1843 Depth=3
	s_andn2_saveexec_b64 s[94:95], s[94:95]
	s_cbranch_execz .LBB12_1864
; %bb.1863:                             ;   in Loop: Header=BB12_1843 Depth=3
	buffer_load_dword v26, off, s[0:3], s33 offset:128 ; 4-byte Folded Reload
	buffer_load_dword v27, off, s[0:3], s33 offset:132 ; 4-byte Folded Reload
	v_or_b32_e32 v25, 0x10000, v24
	s_waitcnt vmcnt(0)
	v_cmp_eq_u32_sdwa vcc, v24, v26 src0_sel:WORD_0 src1_sel:DWORD
	v_cndmask_b32_e32 v44, v25, v24, vcc
.LBB12_1864:                            ;   in Loop: Header=BB12_1843 Depth=3
	s_or_b64 exec, exec, s[94:95]
	buffer_load_dword v25, off, s[0:3], s33 offset:284 ; 4-byte Folded Reload
	v_lshlrev_b32_e32 v24, 16, v41
	v_max_f32_e32 v24, v24, v24
	s_waitcnt vmcnt(0)
	v_lshlrev_b32_e32 v25, 16, v25
	v_max_f32_e32 v25, v25, v25
	v_min_f32_e32 v41, v24, v25
	v_max_f32_e32 v24, v24, v25
	v_cndmask_b32_e64 v24, v24, v41, s[28:29]
	v_and_b32_e32 v25, 0x7f800000, v24
	v_cmp_ne_u32_e32 vcc, s56, v25
                                        ; implicit-def: $vgpr41
	s_and_saveexec_b64 s[94:95], vcc
	s_xor_b64 s[94:95], exec, s[94:95]
; %bb.1865:                             ;   in Loop: Header=BB12_1843 Depth=3
	v_bfe_u32 v25, v24, 16, 1
	v_add3_u32 v41, v24, v25, s57
                                        ; implicit-def: $vgpr24
; %bb.1866:                             ;   in Loop: Header=BB12_1843 Depth=3
	s_andn2_saveexec_b64 s[94:95], s[94:95]
	s_cbranch_execz .LBB12_1868
; %bb.1867:                             ;   in Loop: Header=BB12_1843 Depth=3
	buffer_load_dword v26, off, s[0:3], s33 offset:128 ; 4-byte Folded Reload
	buffer_load_dword v27, off, s[0:3], s33 offset:132 ; 4-byte Folded Reload
	v_or_b32_e32 v25, 0x10000, v24
	s_waitcnt vmcnt(0)
	v_cmp_eq_u32_sdwa vcc, v24, v26 src0_sel:WORD_0 src1_sel:DWORD
	v_cndmask_b32_e32 v41, v25, v24, vcc
.LBB12_1868:                            ;   in Loop: Header=BB12_1843 Depth=3
	s_or_b64 exec, exec, s[94:95]
	buffer_load_dword v25, off, s[0:3], s33 offset:292 ; 4-byte Folded Reload
	v_lshlrev_b32_e32 v24, 16, v54
	v_max_f32_e32 v24, v24, v24
	s_waitcnt vmcnt(0)
	v_lshlrev_b32_e32 v25, 16, v25
	v_max_f32_e32 v25, v25, v25
	v_min_f32_e32 v54, v24, v25
	v_max_f32_e32 v24, v24, v25
	v_cndmask_b32_e64 v24, v24, v54, s[28:29]
	v_and_b32_e32 v25, 0x7f800000, v24
	v_cmp_ne_u32_e32 vcc, s56, v25
                                        ; implicit-def: $vgpr54
	s_and_saveexec_b64 s[94:95], vcc
	s_xor_b64 s[94:95], exec, s[94:95]
; %bb.1869:                             ;   in Loop: Header=BB12_1843 Depth=3
	v_bfe_u32 v25, v24, 16, 1
	v_add3_u32 v54, v24, v25, s57
                                        ; implicit-def: $vgpr24
; %bb.1870:                             ;   in Loop: Header=BB12_1843 Depth=3
	s_andn2_saveexec_b64 s[94:95], s[94:95]
	s_cbranch_execz .LBB12_1872
; %bb.1871:                             ;   in Loop: Header=BB12_1843 Depth=3
	buffer_load_dword v26, off, s[0:3], s33 offset:128 ; 4-byte Folded Reload
	buffer_load_dword v27, off, s[0:3], s33 offset:132 ; 4-byte Folded Reload
	v_or_b32_e32 v25, 0x10000, v24
	s_waitcnt vmcnt(0)
	v_cmp_eq_u32_sdwa vcc, v24, v26 src0_sel:WORD_0 src1_sel:DWORD
	v_cndmask_b32_e32 v54, v25, v24, vcc
.LBB12_1872:                            ;   in Loop: Header=BB12_1843 Depth=3
	s_or_b64 exec, exec, s[94:95]
	buffer_load_dword v25, off, s[0:3], s33 offset:300 ; 4-byte Folded Reload
	v_lshlrev_b32_e32 v24, 16, v51
	v_max_f32_e32 v24, v24, v24
	s_waitcnt vmcnt(0)
	v_lshlrev_b32_e32 v25, 16, v25
	v_max_f32_e32 v25, v25, v25
	v_min_f32_e32 v51, v24, v25
	v_max_f32_e32 v24, v24, v25
	v_cndmask_b32_e64 v24, v24, v51, s[28:29]
	v_and_b32_e32 v25, 0x7f800000, v24
	v_cmp_ne_u32_e32 vcc, s56, v25
                                        ; implicit-def: $vgpr51
	s_and_saveexec_b64 s[94:95], vcc
	s_xor_b64 s[94:95], exec, s[94:95]
; %bb.1873:                             ;   in Loop: Header=BB12_1843 Depth=3
	v_bfe_u32 v25, v24, 16, 1
	v_add3_u32 v51, v24, v25, s57
                                        ; implicit-def: $vgpr24
; %bb.1874:                             ;   in Loop: Header=BB12_1843 Depth=3
	s_andn2_saveexec_b64 s[94:95], s[94:95]
	s_cbranch_execz .LBB12_1876
; %bb.1875:                             ;   in Loop: Header=BB12_1843 Depth=3
	buffer_load_dword v26, off, s[0:3], s33 offset:128 ; 4-byte Folded Reload
	buffer_load_dword v27, off, s[0:3], s33 offset:132 ; 4-byte Folded Reload
	v_or_b32_e32 v25, 0x10000, v24
	s_waitcnt vmcnt(0)
	v_cmp_eq_u32_sdwa vcc, v24, v26 src0_sel:WORD_0 src1_sel:DWORD
	v_cndmask_b32_e32 v51, v25, v24, vcc
.LBB12_1876:                            ;   in Loop: Header=BB12_1843 Depth=3
	s_or_b64 exec, exec, s[94:95]
	buffer_load_dword v25, off, s[0:3], s33 offset:308 ; 4-byte Folded Reload
	v_lshlrev_b32_e32 v24, 16, v39
	v_max_f32_e32 v24, v24, v24
	s_waitcnt vmcnt(0)
	v_lshlrev_b32_e32 v25, 16, v25
	v_max_f32_e32 v25, v25, v25
	v_min_f32_e32 v39, v24, v25
	v_max_f32_e32 v24, v24, v25
	v_cndmask_b32_e64 v24, v24, v39, s[28:29]
	v_and_b32_e32 v25, 0x7f800000, v24
	v_cmp_ne_u32_e32 vcc, s56, v25
                                        ; implicit-def: $vgpr39
	s_and_saveexec_b64 s[94:95], vcc
	s_xor_b64 s[94:95], exec, s[94:95]
; %bb.1877:                             ;   in Loop: Header=BB12_1843 Depth=3
	v_bfe_u32 v25, v24, 16, 1
	v_add3_u32 v39, v24, v25, s57
                                        ; implicit-def: $vgpr24
; %bb.1878:                             ;   in Loop: Header=BB12_1843 Depth=3
	s_andn2_saveexec_b64 s[94:95], s[94:95]
	s_cbranch_execz .LBB12_1880
; %bb.1879:                             ;   in Loop: Header=BB12_1843 Depth=3
	buffer_load_dword v26, off, s[0:3], s33 offset:128 ; 4-byte Folded Reload
	buffer_load_dword v27, off, s[0:3], s33 offset:132 ; 4-byte Folded Reload
	v_or_b32_e32 v25, 0x10000, v24
	s_waitcnt vmcnt(0)
	v_cmp_eq_u32_sdwa vcc, v24, v26 src0_sel:WORD_0 src1_sel:DWORD
	v_cndmask_b32_e32 v39, v25, v24, vcc
.LBB12_1880:                            ;   in Loop: Header=BB12_1843 Depth=3
	s_or_b64 exec, exec, s[94:95]
	buffer_load_dword v25, off, s[0:3], s33 offset:352 ; 4-byte Folded Reload
	v_lshlrev_b32_e32 v24, 16, v36
	v_max_f32_e32 v24, v24, v24
	s_waitcnt vmcnt(0)
	v_lshlrev_b32_e32 v25, 16, v25
	v_max_f32_e32 v25, v25, v25
	v_min_f32_e32 v36, v24, v25
	v_max_f32_e32 v24, v24, v25
	v_cndmask_b32_e64 v24, v24, v36, s[28:29]
	v_and_b32_e32 v25, 0x7f800000, v24
	v_cmp_ne_u32_e32 vcc, s56, v25
                                        ; implicit-def: $vgpr36
	s_and_saveexec_b64 s[94:95], vcc
	s_xor_b64 s[94:95], exec, s[94:95]
; %bb.1881:                             ;   in Loop: Header=BB12_1843 Depth=3
	v_bfe_u32 v25, v24, 16, 1
	v_add3_u32 v36, v24, v25, s57
                                        ; implicit-def: $vgpr24
; %bb.1882:                             ;   in Loop: Header=BB12_1843 Depth=3
	s_andn2_saveexec_b64 s[94:95], s[94:95]
	s_cbranch_execz .LBB12_1884
; %bb.1883:                             ;   in Loop: Header=BB12_1843 Depth=3
	buffer_load_dword v26, off, s[0:3], s33 offset:128 ; 4-byte Folded Reload
	buffer_load_dword v27, off, s[0:3], s33 offset:132 ; 4-byte Folded Reload
	v_or_b32_e32 v25, 0x10000, v24
	s_waitcnt vmcnt(0)
	v_cmp_eq_u32_sdwa vcc, v24, v26 src0_sel:WORD_0 src1_sel:DWORD
	v_cndmask_b32_e32 v36, v25, v24, vcc
.LBB12_1884:                            ;   in Loop: Header=BB12_1843 Depth=3
	s_or_b64 exec, exec, s[94:95]
	buffer_load_dword v25, off, s[0:3], s33 offset:360 ; 4-byte Folded Reload
	v_lshlrev_b32_e32 v24, 16, v34
	v_max_f32_e32 v24, v24, v24
	s_waitcnt vmcnt(0)
	v_lshlrev_b32_e32 v25, 16, v25
	v_max_f32_e32 v25, v25, v25
	v_min_f32_e32 v34, v24, v25
	v_max_f32_e32 v24, v24, v25
	v_cndmask_b32_e64 v24, v24, v34, s[28:29]
	v_and_b32_e32 v25, 0x7f800000, v24
	v_cmp_ne_u32_e32 vcc, s56, v25
                                        ; implicit-def: $vgpr34
	s_and_saveexec_b64 s[94:95], vcc
	s_xor_b64 s[94:95], exec, s[94:95]
; %bb.1885:                             ;   in Loop: Header=BB12_1843 Depth=3
	v_bfe_u32 v25, v24, 16, 1
	v_add3_u32 v34, v24, v25, s57
                                        ; implicit-def: $vgpr24
; %bb.1886:                             ;   in Loop: Header=BB12_1843 Depth=3
	s_andn2_saveexec_b64 s[94:95], s[94:95]
	s_cbranch_execz .LBB12_1888
; %bb.1887:                             ;   in Loop: Header=BB12_1843 Depth=3
	buffer_load_dword v26, off, s[0:3], s33 offset:128 ; 4-byte Folded Reload
	buffer_load_dword v27, off, s[0:3], s33 offset:132 ; 4-byte Folded Reload
	v_or_b32_e32 v25, 0x10000, v24
	s_waitcnt vmcnt(0)
	v_cmp_eq_u32_sdwa vcc, v24, v26 src0_sel:WORD_0 src1_sel:DWORD
	v_cndmask_b32_e32 v34, v25, v24, vcc
.LBB12_1888:                            ;   in Loop: Header=BB12_1843 Depth=3
	s_or_b64 exec, exec, s[94:95]
	buffer_load_dword v25, off, s[0:3], s33 offset:368 ; 4-byte Folded Reload
	v_lshlrev_b32_e32 v24, 16, v33
	v_max_f32_e32 v24, v24, v24
	s_waitcnt vmcnt(0)
	v_lshlrev_b32_e32 v25, 16, v25
	v_max_f32_e32 v25, v25, v25
	v_min_f32_e32 v33, v24, v25
	v_max_f32_e32 v24, v24, v25
	v_cndmask_b32_e64 v24, v24, v33, s[28:29]
	v_and_b32_e32 v25, 0x7f800000, v24
	v_cmp_ne_u32_e32 vcc, s56, v25
                                        ; implicit-def: $vgpr33
	s_and_saveexec_b64 s[94:95], vcc
	s_xor_b64 s[94:95], exec, s[94:95]
; %bb.1889:                             ;   in Loop: Header=BB12_1843 Depth=3
	v_bfe_u32 v25, v24, 16, 1
	v_add3_u32 v33, v24, v25, s57
                                        ; implicit-def: $vgpr24
; %bb.1890:                             ;   in Loop: Header=BB12_1843 Depth=3
	s_andn2_saveexec_b64 s[94:95], s[94:95]
	s_cbranch_execz .LBB12_1892
; %bb.1891:                             ;   in Loop: Header=BB12_1843 Depth=3
	buffer_load_dword v26, off, s[0:3], s33 offset:128 ; 4-byte Folded Reload
	buffer_load_dword v27, off, s[0:3], s33 offset:132 ; 4-byte Folded Reload
	v_or_b32_e32 v25, 0x10000, v24
	s_waitcnt vmcnt(0)
	v_cmp_eq_u32_sdwa vcc, v24, v26 src0_sel:WORD_0 src1_sel:DWORD
	v_cndmask_b32_e32 v33, v25, v24, vcc
.LBB12_1892:                            ;   in Loop: Header=BB12_1843 Depth=3
	s_or_b64 exec, exec, s[94:95]
	buffer_load_dword v25, off, s[0:3], s33 offset:376 ; 4-byte Folded Reload
	v_lshlrev_b32_e32 v24, 16, v32
	v_max_f32_e32 v24, v24, v24
	s_waitcnt vmcnt(0)
	v_lshlrev_b32_e32 v25, 16, v25
	v_max_f32_e32 v25, v25, v25
	v_min_f32_e32 v32, v24, v25
	v_max_f32_e32 v24, v24, v25
	v_cndmask_b32_e64 v24, v24, v32, s[28:29]
	v_and_b32_e32 v25, 0x7f800000, v24
	v_cmp_ne_u32_e32 vcc, s56, v25
                                        ; implicit-def: $vgpr32
	s_and_saveexec_b64 s[94:95], vcc
	s_xor_b64 s[94:95], exec, s[94:95]
; %bb.1893:                             ;   in Loop: Header=BB12_1843 Depth=3
	v_bfe_u32 v25, v24, 16, 1
	v_add3_u32 v32, v24, v25, s57
                                        ; implicit-def: $vgpr24
; %bb.1894:                             ;   in Loop: Header=BB12_1843 Depth=3
	s_andn2_saveexec_b64 s[94:95], s[94:95]
	s_cbranch_execz .LBB12_1896
; %bb.1895:                             ;   in Loop: Header=BB12_1843 Depth=3
	buffer_load_dword v26, off, s[0:3], s33 offset:128 ; 4-byte Folded Reload
	buffer_load_dword v27, off, s[0:3], s33 offset:132 ; 4-byte Folded Reload
	v_or_b32_e32 v25, 0x10000, v24
	s_waitcnt vmcnt(0)
	v_cmp_eq_u32_sdwa vcc, v24, v26 src0_sel:WORD_0 src1_sel:DWORD
	v_cndmask_b32_e32 v32, v25, v24, vcc
.LBB12_1896:                            ;   in Loop: Header=BB12_1843 Depth=3
	s_or_b64 exec, exec, s[94:95]
	buffer_load_dword v25, off, s[0:3], s33 offset:380 ; 4-byte Folded Reload
	v_lshlrev_b32_e32 v24, 16, v31
	v_max_f32_e32 v24, v24, v24
	s_waitcnt vmcnt(0)
	v_lshlrev_b32_e32 v25, 16, v25
	v_max_f32_e32 v25, v25, v25
	v_min_f32_e32 v31, v24, v25
	v_max_f32_e32 v24, v24, v25
	v_cndmask_b32_e64 v24, v24, v31, s[28:29]
	v_and_b32_e32 v25, 0x7f800000, v24
	v_cmp_ne_u32_e32 vcc, s56, v25
                                        ; implicit-def: $vgpr31
	s_and_saveexec_b64 s[94:95], vcc
	s_xor_b64 s[94:95], exec, s[94:95]
; %bb.1897:                             ;   in Loop: Header=BB12_1843 Depth=3
	v_bfe_u32 v25, v24, 16, 1
	v_add3_u32 v31, v24, v25, s57
                                        ; implicit-def: $vgpr24
; %bb.1898:                             ;   in Loop: Header=BB12_1843 Depth=3
	s_andn2_saveexec_b64 s[94:95], s[94:95]
	s_cbranch_execz .LBB12_1900
; %bb.1899:                             ;   in Loop: Header=BB12_1843 Depth=3
	buffer_load_dword v26, off, s[0:3], s33 offset:128 ; 4-byte Folded Reload
	buffer_load_dword v27, off, s[0:3], s33 offset:132 ; 4-byte Folded Reload
	v_or_b32_e32 v25, 0x10000, v24
	s_waitcnt vmcnt(0)
	v_cmp_eq_u32_sdwa vcc, v24, v26 src0_sel:WORD_0 src1_sel:DWORD
	v_cndmask_b32_e32 v31, v25, v24, vcc
.LBB12_1900:                            ;   in Loop: Header=BB12_1843 Depth=3
	s_or_b64 exec, exec, s[94:95]
	buffer_load_dword v25, off, s[0:3], s33 offset:384 ; 4-byte Folded Reload
	v_lshlrev_b32_e32 v24, 16, v30
	v_max_f32_e32 v24, v24, v24
	s_waitcnt vmcnt(0)
	v_lshlrev_b32_e32 v25, 16, v25
	v_max_f32_e32 v25, v25, v25
	v_min_f32_e32 v30, v24, v25
	v_max_f32_e32 v24, v24, v25
	v_cndmask_b32_e64 v24, v24, v30, s[28:29]
	v_and_b32_e32 v25, 0x7f800000, v24
	v_cmp_ne_u32_e32 vcc, s56, v25
                                        ; implicit-def: $vgpr30
	s_and_saveexec_b64 s[94:95], vcc
	s_xor_b64 s[94:95], exec, s[94:95]
; %bb.1901:                             ;   in Loop: Header=BB12_1843 Depth=3
	v_bfe_u32 v25, v24, 16, 1
	v_add3_u32 v30, v24, v25, s57
                                        ; implicit-def: $vgpr24
; %bb.1902:                             ;   in Loop: Header=BB12_1843 Depth=3
	s_andn2_saveexec_b64 s[94:95], s[94:95]
	s_cbranch_execz .LBB12_1904
; %bb.1903:                             ;   in Loop: Header=BB12_1843 Depth=3
	buffer_load_dword v26, off, s[0:3], s33 offset:128 ; 4-byte Folded Reload
	buffer_load_dword v27, off, s[0:3], s33 offset:132 ; 4-byte Folded Reload
	v_or_b32_e32 v25, 0x10000, v24
	s_waitcnt vmcnt(0)
	v_cmp_eq_u32_sdwa vcc, v24, v26 src0_sel:WORD_0 src1_sel:DWORD
	v_cndmask_b32_e32 v30, v25, v24, vcc
.LBB12_1904:                            ;   in Loop: Header=BB12_1843 Depth=3
	s_or_b64 exec, exec, s[94:95]
	v_lshlrev_b32_e32 v24, 16, v29
	v_lshlrev_b32_e32 v25, 16, v28
	v_max_f32_e32 v25, v25, v25
	v_max_f32_e32 v24, v24, v24
	v_min_f32_e32 v29, v24, v25
	v_max_f32_e32 v24, v24, v25
	v_cndmask_b32_e64 v24, v24, v29, s[28:29]
	v_and_b32_e32 v25, 0x7f800000, v24
	v_cmp_ne_u32_e32 vcc, s56, v25
                                        ; implicit-def: $vgpr29
	s_and_saveexec_b64 s[94:95], vcc
	s_xor_b64 s[94:95], exec, s[94:95]
; %bb.1905:                             ;   in Loop: Header=BB12_1843 Depth=3
	v_bfe_u32 v25, v24, 16, 1
	v_add3_u32 v29, v24, v25, s57
                                        ; implicit-def: $vgpr24
; %bb.1906:                             ;   in Loop: Header=BB12_1843 Depth=3
	s_andn2_saveexec_b64 s[94:95], s[94:95]
	s_cbranch_execz .LBB12_1908
; %bb.1907:                             ;   in Loop: Header=BB12_1843 Depth=3
	buffer_load_dword v26, off, s[0:3], s33 offset:128 ; 4-byte Folded Reload
	buffer_load_dword v27, off, s[0:3], s33 offset:132 ; 4-byte Folded Reload
	v_or_b32_e32 v25, 0x10000, v24
	s_waitcnt vmcnt(0)
	v_cmp_eq_u32_sdwa vcc, v24, v26 src0_sel:WORD_0 src1_sel:DWORD
	v_cndmask_b32_e32 v29, v25, v24, vcc
.LBB12_1908:                            ;   in Loop: Header=BB12_1843 Depth=3
	s_or_b64 exec, exec, s[94:95]
	v_lshrrev_b32_e32 v9, 16, v9
	v_lshrrev_b32_e32 v30, 16, v30
	;; [unrolled: 1-line block ×16, first 2 shown]
	flat_store_short v[2:3], v9 glc slc
	flat_store_short v[2:3], v61 offset:128 glc slc
	flat_store_short v[2:3], v58 offset:256 glc slc
	;; [unrolled: 1-line block ×15, first 2 shown]
	flat_store_short v[0:1], v9 glc slc
	flat_store_short v[0:1], v61 offset:128 glc slc
	flat_store_short v[0:1], v58 offset:256 glc slc
	;; [unrolled: 1-line block ×15, first 2 shown]
	buffer_load_dword v24, off, s[0:3], s33 offset:232 ; 4-byte Folded Reload
	buffer_load_dword v25, off, s[0:3], s33 offset:236 ; 4-byte Folded Reload
	s_waitcnt vmcnt(0)
	v_add_co_u32_e32 v2, vcc, v2, v24
	v_addc_co_u32_e32 v3, vcc, v3, v25, vcc
	v_add_co_u32_e32 v0, vcc, v0, v24
	v_addc_co_u32_e32 v1, vcc, v1, v25, vcc
.LBB12_1909:                            ;   in Loop: Header=BB12_1843 Depth=3
	s_or_b64 exec, exec, s[30:31]
	buffer_load_dword v24, off, s[0:3], s33 offset:232 ; 4-byte Folded Reload
	buffer_load_dword v25, off, s[0:3], s33 offset:236 ; 4-byte Folded Reload
	s_waitcnt vmcnt(0)
	v_add_co_u32_e32 v4, vcc, v4, v24
	v_addc_co_u32_e32 v5, vcc, v5, v25, vcc
	v_add_co_u32_e32 v6, vcc, v6, v24
	buffer_load_dword v24, off, s[0:3], s33 offset:152 ; 4-byte Folded Reload
	v_addc_co_u32_e32 v7, vcc, v7, v25, vcc
	s_waitcnt vmcnt(0)
	v_sub_u32_e32 v11, v11, v24
	v_cmp_lt_i32_e64 s[94:95], 0, v11
	s_and_saveexec_b64 s[30:31], s[94:95]
	s_cbranch_execz .LBB12_1911
; %bb.1910:                             ;   in Loop: Header=BB12_1843 Depth=3
	flat_load_ushort v9, v[4:5] glc slc
	flat_load_ushort v61, v[4:5] offset:128 glc slc
	flat_load_ushort v58, v[4:5] offset:256 glc slc
	;; [unrolled: 1-line block ×15, first 2 shown]
	flat_load_ushort v24, v[6:7] glc slc
	v_add_co_u32_e32 v4, vcc, s64, v4
	v_addc_co_u32_e32 v5, vcc, 0, v5, vcc
	flat_load_ushort v28, v[6:7] offset:1920 glc slc
	s_waitcnt vmcnt(0) lgkmcnt(0)
	buffer_store_dword v24, off, s[0:3], s33 offset:168 ; 4-byte Folded Spill
	flat_load_ushort v24, v[6:7] offset:128 glc slc
	s_waitcnt vmcnt(0) lgkmcnt(0)
	buffer_store_dword v24, off, s[0:3], s33 offset:184 ; 4-byte Folded Spill
	;; [unrolled: 3-line block ×14, first 2 shown]
	flat_load_ushort v24, v[6:7] offset:1792 glc slc
	v_add_co_u32_e32 v6, vcc, 0x800, v6
	v_addc_co_u32_e32 v7, vcc, 0, v7, vcc
	s_waitcnt vmcnt(0) lgkmcnt(0)
	buffer_store_dword v24, off, s[0:3], s33 offset:384 ; 4-byte Folded Spill
.LBB12_1911:                            ;   in Loop: Header=BB12_1843 Depth=3
	s_or_b64 exec, exec, s[30:31]
	s_waitcnt lgkmcnt(0)
	v_lshlrev_b32_e32 v22, 16, v22
	v_lshlrev_b32_e32 v23, 16, v23
	v_max_f32_e32 v23, v23, v23
	v_max_f32_e32 v22, v22, v22
	v_min_f32_e32 v24, v22, v23
	v_max_f32_e32 v22, v22, v23
	v_cndmask_b32_e64 v23, v22, v24, s[28:29]
	v_and_b32_e32 v22, 0x7f800000, v23
	v_cmp_ne_u32_e32 vcc, s56, v22
                                        ; implicit-def: $vgpr22
	s_and_saveexec_b64 s[30:31], vcc
	s_xor_b64 vcc, exec, s[30:31]
; %bb.1912:                             ;   in Loop: Header=BB12_1843 Depth=3
	v_bfe_u32 v22, v23, 16, 1
	v_add3_u32 v22, v23, v22, s57
                                        ; implicit-def: $vgpr23
; %bb.1913:                             ;   in Loop: Header=BB12_1843 Depth=3
	s_andn2_saveexec_b64 s[30:31], vcc
	s_cbranch_execz .LBB12_1915
; %bb.1914:                             ;   in Loop: Header=BB12_1843 Depth=3
	buffer_load_dword v24, off, s[0:3], s33 offset:128 ; 4-byte Folded Reload
	buffer_load_dword v25, off, s[0:3], s33 offset:132 ; 4-byte Folded Reload
	v_or_b32_e32 v22, 0x10000, v23
	s_waitcnt vmcnt(1)
	v_cmp_eq_u32_sdwa vcc, v23, v24 src0_sel:WORD_0 src1_sel:DWORD
	v_cndmask_b32_e32 v22, v22, v23, vcc
.LBB12_1915:                            ;   in Loop: Header=BB12_1843 Depth=3
	s_or_b64 exec, exec, s[30:31]
	v_lshlrev_b32_e32 v20, 16, v20
	v_lshlrev_b32_e32 v21, 16, v21
	v_max_f32_e32 v21, v21, v21
	v_max_f32_e32 v20, v20, v20
	v_min_f32_e32 v23, v20, v21
	v_max_f32_e32 v20, v20, v21
	v_cndmask_b32_e64 v21, v20, v23, s[28:29]
	v_and_b32_e32 v20, 0x7f800000, v21
	v_cmp_ne_u32_e32 vcc, s56, v20
                                        ; implicit-def: $vgpr20
	s_and_saveexec_b64 s[30:31], vcc
	s_xor_b64 vcc, exec, s[30:31]
; %bb.1916:                             ;   in Loop: Header=BB12_1843 Depth=3
	v_bfe_u32 v20, v21, 16, 1
	v_add3_u32 v20, v21, v20, s57
                                        ; implicit-def: $vgpr21
; %bb.1917:                             ;   in Loop: Header=BB12_1843 Depth=3
	s_andn2_saveexec_b64 s[30:31], vcc
	s_cbranch_execz .LBB12_1919
; %bb.1918:                             ;   in Loop: Header=BB12_1843 Depth=3
	buffer_load_dword v23, off, s[0:3], s33 offset:128 ; 4-byte Folded Reload
	buffer_load_dword v24, off, s[0:3], s33 offset:132 ; 4-byte Folded Reload
	v_or_b32_e32 v20, 0x10000, v21
	s_waitcnt vmcnt(1)
	v_cmp_eq_u32_sdwa vcc, v21, v23 src0_sel:WORD_0 src1_sel:DWORD
	v_cndmask_b32_e32 v20, v20, v21, vcc
.LBB12_1919:                            ;   in Loop: Header=BB12_1843 Depth=3
	s_or_b64 exec, exec, s[30:31]
	v_lshlrev_b32_e32 v18, 16, v18
	v_lshlrev_b32_e32 v19, 16, v19
	v_max_f32_e32 v19, v19, v19
	v_max_f32_e32 v18, v18, v18
	v_min_f32_e32 v21, v18, v19
	v_max_f32_e32 v18, v18, v19
	v_cndmask_b32_e64 v19, v18, v21, s[28:29]
	v_and_b32_e32 v18, 0x7f800000, v19
	v_cmp_ne_u32_e32 vcc, s56, v18
                                        ; implicit-def: $vgpr18
	s_and_saveexec_b64 s[30:31], vcc
	s_xor_b64 vcc, exec, s[30:31]
; %bb.1920:                             ;   in Loop: Header=BB12_1843 Depth=3
	v_bfe_u32 v18, v19, 16, 1
	v_add3_u32 v18, v19, v18, s57
                                        ; implicit-def: $vgpr19
; %bb.1921:                             ;   in Loop: Header=BB12_1843 Depth=3
	s_andn2_saveexec_b64 s[30:31], vcc
	s_cbranch_execz .LBB12_1923
; %bb.1922:                             ;   in Loop: Header=BB12_1843 Depth=3
	buffer_load_dword v23, off, s[0:3], s33 offset:128 ; 4-byte Folded Reload
	buffer_load_dword v24, off, s[0:3], s33 offset:132 ; 4-byte Folded Reload
	v_or_b32_e32 v18, 0x10000, v19
	s_waitcnt vmcnt(1)
	v_cmp_eq_u32_sdwa vcc, v19, v23 src0_sel:WORD_0 src1_sel:DWORD
	v_cndmask_b32_e32 v18, v18, v19, vcc
.LBB12_1923:                            ;   in Loop: Header=BB12_1843 Depth=3
	s_or_b64 exec, exec, s[30:31]
	v_lshlrev_b32_e32 v16, 16, v16
	v_lshlrev_b32_e32 v17, 16, v17
	v_max_f32_e32 v17, v17, v17
	v_max_f32_e32 v16, v16, v16
	v_min_f32_e32 v19, v16, v17
	v_max_f32_e32 v16, v16, v17
	v_cndmask_b32_e64 v17, v16, v19, s[28:29]
	v_and_b32_e32 v16, 0x7f800000, v17
	v_cmp_ne_u32_e32 vcc, s56, v16
                                        ; implicit-def: $vgpr16
	s_and_saveexec_b64 s[30:31], vcc
	s_xor_b64 vcc, exec, s[30:31]
; %bb.1924:                             ;   in Loop: Header=BB12_1843 Depth=3
	v_bfe_u32 v16, v17, 16, 1
	v_add3_u32 v16, v17, v16, s57
                                        ; implicit-def: $vgpr17
; %bb.1925:                             ;   in Loop: Header=BB12_1843 Depth=3
	s_andn2_saveexec_b64 s[30:31], vcc
	s_cbranch_execz .LBB12_1927
; %bb.1926:                             ;   in Loop: Header=BB12_1843 Depth=3
	buffer_load_dword v23, off, s[0:3], s33 offset:128 ; 4-byte Folded Reload
	buffer_load_dword v24, off, s[0:3], s33 offset:132 ; 4-byte Folded Reload
	v_or_b32_e32 v16, 0x10000, v17
	s_waitcnt vmcnt(1)
	v_cmp_eq_u32_sdwa vcc, v17, v23 src0_sel:WORD_0 src1_sel:DWORD
	v_cndmask_b32_e32 v16, v16, v17, vcc
.LBB12_1927:                            ;   in Loop: Header=BB12_1843 Depth=3
	s_or_b64 exec, exec, s[30:31]
	v_lshlrev_b32_e32 v14, 16, v14
	v_lshlrev_b32_e32 v15, 16, v15
	v_max_f32_e32 v15, v15, v15
	v_max_f32_e32 v14, v14, v14
	v_min_f32_e32 v17, v14, v15
	v_max_f32_e32 v14, v14, v15
	v_cndmask_b32_e64 v15, v14, v17, s[28:29]
	v_and_b32_e32 v14, 0x7f800000, v15
	v_cmp_ne_u32_e32 vcc, s56, v14
                                        ; implicit-def: $vgpr14
	s_and_saveexec_b64 s[30:31], vcc
	s_xor_b64 vcc, exec, s[30:31]
; %bb.1928:                             ;   in Loop: Header=BB12_1843 Depth=3
	v_bfe_u32 v14, v15, 16, 1
	v_add3_u32 v14, v15, v14, s57
                                        ; implicit-def: $vgpr15
; %bb.1929:                             ;   in Loop: Header=BB12_1843 Depth=3
	s_andn2_saveexec_b64 s[30:31], vcc
	s_cbranch_execz .LBB12_1931
; %bb.1930:                             ;   in Loop: Header=BB12_1843 Depth=3
	buffer_load_dword v23, off, s[0:3], s33 offset:128 ; 4-byte Folded Reload
	buffer_load_dword v24, off, s[0:3], s33 offset:132 ; 4-byte Folded Reload
	v_or_b32_e32 v14, 0x10000, v15
	s_waitcnt vmcnt(1)
	v_cmp_eq_u32_sdwa vcc, v15, v23 src0_sel:WORD_0 src1_sel:DWORD
	v_cndmask_b32_e32 v14, v14, v15, vcc
.LBB12_1931:                            ;   in Loop: Header=BB12_1843 Depth=3
	s_or_b64 exec, exec, s[30:31]
	v_lshlrev_b32_e32 v8, 16, v8
	v_lshlrev_b32_e32 v13, 16, v13
	v_max_f32_e32 v13, v13, v13
	v_max_f32_e32 v8, v8, v8
	v_min_f32_e32 v15, v8, v13
	v_max_f32_e32 v8, v8, v13
	v_cndmask_b32_e64 v13, v8, v15, s[28:29]
	v_and_b32_e32 v8, 0x7f800000, v13
	v_cmp_ne_u32_e32 vcc, s56, v8
                                        ; implicit-def: $vgpr8
	s_and_saveexec_b64 s[30:31], vcc
	s_xor_b64 vcc, exec, s[30:31]
; %bb.1932:                             ;   in Loop: Header=BB12_1843 Depth=3
	v_bfe_u32 v8, v13, 16, 1
	v_add3_u32 v8, v13, v8, s57
                                        ; implicit-def: $vgpr13
; %bb.1933:                             ;   in Loop: Header=BB12_1843 Depth=3
	s_andn2_saveexec_b64 s[30:31], vcc
	s_cbranch_execz .LBB12_1935
; %bb.1934:                             ;   in Loop: Header=BB12_1843 Depth=3
	buffer_load_dword v23, off, s[0:3], s33 offset:128 ; 4-byte Folded Reload
	buffer_load_dword v24, off, s[0:3], s33 offset:132 ; 4-byte Folded Reload
	v_or_b32_e32 v8, 0x10000, v13
	s_waitcnt vmcnt(1)
	v_cmp_eq_u32_sdwa vcc, v13, v23 src0_sel:WORD_0 src1_sel:DWORD
	v_cndmask_b32_e32 v8, v8, v13, vcc
.LBB12_1935:                            ;   in Loop: Header=BB12_1843 Depth=3
	s_or_b64 exec, exec, s[30:31]
	v_lshlrev_b32_e32 v10, 16, v10
	v_lshlrev_b32_e32 v12, 16, v12
	v_max_f32_e32 v12, v12, v12
	v_max_f32_e32 v10, v10, v10
	v_min_f32_e32 v13, v10, v12
	v_max_f32_e32 v10, v10, v12
	v_cndmask_b32_e64 v12, v10, v13, s[28:29]
	v_and_b32_e32 v10, 0x7f800000, v12
	v_cmp_ne_u32_e32 vcc, s56, v10
                                        ; implicit-def: $vgpr10
	s_and_saveexec_b64 s[30:31], vcc
	s_xor_b64 vcc, exec, s[30:31]
; %bb.1936:                             ;   in Loop: Header=BB12_1843 Depth=3
	v_bfe_u32 v10, v12, 16, 1
	v_add3_u32 v10, v12, v10, s57
                                        ; implicit-def: $vgpr12
; %bb.1937:                             ;   in Loop: Header=BB12_1843 Depth=3
	s_andn2_saveexec_b64 s[30:31], vcc
	s_cbranch_execz .LBB12_1939
; %bb.1938:                             ;   in Loop: Header=BB12_1843 Depth=3
	buffer_load_dword v23, off, s[0:3], s33 offset:128 ; 4-byte Folded Reload
	buffer_load_dword v24, off, s[0:3], s33 offset:132 ; 4-byte Folded Reload
	v_or_b32_e32 v10, 0x10000, v12
	s_waitcnt vmcnt(1)
	v_cmp_eq_u32_sdwa vcc, v12, v23 src0_sel:WORD_0 src1_sel:DWORD
	v_cndmask_b32_e32 v10, v10, v12, vcc
.LBB12_1939:                            ;   in Loop: Header=BB12_1843 Depth=3
	s_or_b64 exec, exec, s[30:31]
	v_lshlrev_b32_e32 v12, 16, v59
	v_lshlrev_b32_e32 v13, 16, v60
	v_max_f32_e32 v13, v13, v13
	v_max_f32_e32 v12, v12, v12
	v_min_f32_e32 v15, v12, v13
	v_max_f32_e32 v12, v12, v13
	v_cndmask_b32_e64 v13, v12, v15, s[28:29]
	v_and_b32_e32 v12, 0x7f800000, v13
	v_cmp_ne_u32_e32 vcc, s56, v12
                                        ; implicit-def: $vgpr12
	s_and_saveexec_b64 s[30:31], vcc
	s_xor_b64 vcc, exec, s[30:31]
; %bb.1940:                             ;   in Loop: Header=BB12_1843 Depth=3
	v_bfe_u32 v12, v13, 16, 1
	v_add3_u32 v12, v13, v12, s57
                                        ; implicit-def: $vgpr13
; %bb.1941:                             ;   in Loop: Header=BB12_1843 Depth=3
	s_andn2_saveexec_b64 s[30:31], vcc
	s_cbranch_execz .LBB12_1943
; %bb.1942:                             ;   in Loop: Header=BB12_1843 Depth=3
	buffer_load_dword v23, off, s[0:3], s33 offset:128 ; 4-byte Folded Reload
	buffer_load_dword v24, off, s[0:3], s33 offset:132 ; 4-byte Folded Reload
	v_or_b32_e32 v12, 0x10000, v13
	s_waitcnt vmcnt(1)
	v_cmp_eq_u32_sdwa vcc, v13, v23 src0_sel:WORD_0 src1_sel:DWORD
	v_cndmask_b32_e32 v12, v12, v13, vcc
.LBB12_1943:                            ;   in Loop: Header=BB12_1843 Depth=3
	s_or_b64 exec, exec, s[30:31]
	v_lshlrev_b32_e32 v13, 16, v56
	v_lshlrev_b32_e32 v15, 16, v57
	v_max_f32_e32 v15, v15, v15
	v_max_f32_e32 v13, v13, v13
	v_min_f32_e32 v17, v13, v15
	v_max_f32_e32 v13, v13, v15
	v_cndmask_b32_e64 v15, v13, v17, s[28:29]
	v_and_b32_e32 v13, 0x7f800000, v15
	v_cmp_ne_u32_e32 vcc, s56, v13
                                        ; implicit-def: $vgpr13
	s_and_saveexec_b64 s[30:31], vcc
	s_xor_b64 vcc, exec, s[30:31]
; %bb.1944:                             ;   in Loop: Header=BB12_1843 Depth=3
	v_bfe_u32 v13, v15, 16, 1
	v_add3_u32 v13, v15, v13, s57
                                        ; implicit-def: $vgpr15
; %bb.1945:                             ;   in Loop: Header=BB12_1843 Depth=3
	s_andn2_saveexec_b64 s[30:31], vcc
	s_cbranch_execz .LBB12_1947
; %bb.1946:                             ;   in Loop: Header=BB12_1843 Depth=3
	buffer_load_dword v23, off, s[0:3], s33 offset:128 ; 4-byte Folded Reload
	buffer_load_dword v24, off, s[0:3], s33 offset:132 ; 4-byte Folded Reload
	v_or_b32_e32 v13, 0x10000, v15
	s_waitcnt vmcnt(1)
	v_cmp_eq_u32_sdwa vcc, v15, v23 src0_sel:WORD_0 src1_sel:DWORD
	v_cndmask_b32_e32 v13, v13, v15, vcc
.LBB12_1947:                            ;   in Loop: Header=BB12_1843 Depth=3
	s_or_b64 exec, exec, s[30:31]
	v_lshlrev_b32_e32 v15, 16, v45
	v_lshlrev_b32_e32 v17, 16, v46
	v_max_f32_e32 v17, v17, v17
	v_max_f32_e32 v15, v15, v15
	v_min_f32_e32 v19, v15, v17
	v_max_f32_e32 v15, v15, v17
	v_cndmask_b32_e64 v17, v15, v19, s[28:29]
	v_and_b32_e32 v15, 0x7f800000, v17
	v_cmp_ne_u32_e32 vcc, s56, v15
                                        ; implicit-def: $vgpr15
	s_and_saveexec_b64 s[30:31], vcc
	s_xor_b64 vcc, exec, s[30:31]
; %bb.1948:                             ;   in Loop: Header=BB12_1843 Depth=3
	v_bfe_u32 v15, v17, 16, 1
	v_add3_u32 v15, v17, v15, s57
                                        ; implicit-def: $vgpr17
; %bb.1949:                             ;   in Loop: Header=BB12_1843 Depth=3
	s_andn2_saveexec_b64 s[30:31], vcc
	s_cbranch_execz .LBB12_1951
; %bb.1950:                             ;   in Loop: Header=BB12_1843 Depth=3
	buffer_load_dword v23, off, s[0:3], s33 offset:128 ; 4-byte Folded Reload
	buffer_load_dword v24, off, s[0:3], s33 offset:132 ; 4-byte Folded Reload
	v_or_b32_e32 v15, 0x10000, v17
	s_waitcnt vmcnt(1)
	v_cmp_eq_u32_sdwa vcc, v17, v23 src0_sel:WORD_0 src1_sel:DWORD
	v_cndmask_b32_e32 v15, v15, v17, vcc
.LBB12_1951:                            ;   in Loop: Header=BB12_1843 Depth=3
	s_or_b64 exec, exec, s[30:31]
	v_lshlrev_b32_e32 v17, 16, v42
	v_lshlrev_b32_e32 v19, 16, v43
	v_max_f32_e32 v19, v19, v19
	v_max_f32_e32 v17, v17, v17
	v_min_f32_e32 v21, v17, v19
	v_max_f32_e32 v17, v17, v19
	v_cndmask_b32_e64 v19, v17, v21, s[28:29]
	v_and_b32_e32 v17, 0x7f800000, v19
	v_cmp_ne_u32_e32 vcc, s56, v17
                                        ; implicit-def: $vgpr17
	s_and_saveexec_b64 s[30:31], vcc
	s_xor_b64 vcc, exec, s[30:31]
; %bb.1952:                             ;   in Loop: Header=BB12_1843 Depth=3
	v_bfe_u32 v17, v19, 16, 1
	v_add3_u32 v17, v19, v17, s57
                                        ; implicit-def: $vgpr19
; %bb.1953:                             ;   in Loop: Header=BB12_1843 Depth=3
	s_andn2_saveexec_b64 s[30:31], vcc
	s_cbranch_execz .LBB12_1955
; %bb.1954:                             ;   in Loop: Header=BB12_1843 Depth=3
	buffer_load_dword v23, off, s[0:3], s33 offset:128 ; 4-byte Folded Reload
	buffer_load_dword v24, off, s[0:3], s33 offset:132 ; 4-byte Folded Reload
	v_or_b32_e32 v17, 0x10000, v19
	s_waitcnt vmcnt(1)
	v_cmp_eq_u32_sdwa vcc, v19, v23 src0_sel:WORD_0 src1_sel:DWORD
	v_cndmask_b32_e32 v17, v17, v19, vcc
.LBB12_1955:                            ;   in Loop: Header=BB12_1843 Depth=3
	s_or_b64 exec, exec, s[30:31]
	v_lshlrev_b32_e32 v19, 16, v55
	v_lshlrev_b32_e32 v21, 16, v40
	v_max_f32_e32 v21, v21, v21
	v_max_f32_e32 v19, v19, v19
	v_min_f32_e32 v23, v19, v21
	v_max_f32_e32 v19, v19, v21
	v_cndmask_b32_e64 v21, v19, v23, s[28:29]
	v_and_b32_e32 v19, 0x7f800000, v21
	v_cmp_ne_u32_e32 vcc, s56, v19
                                        ; implicit-def: $vgpr19
	s_and_saveexec_b64 s[30:31], vcc
	s_xor_b64 vcc, exec, s[30:31]
; %bb.1956:                             ;   in Loop: Header=BB12_1843 Depth=3
	v_bfe_u32 v19, v21, 16, 1
	v_add3_u32 v19, v21, v19, s57
                                        ; implicit-def: $vgpr21
; %bb.1957:                             ;   in Loop: Header=BB12_1843 Depth=3
	s_andn2_saveexec_b64 s[30:31], vcc
	s_cbranch_execz .LBB12_1959
; %bb.1958:                             ;   in Loop: Header=BB12_1843 Depth=3
	buffer_load_dword v23, off, s[0:3], s33 offset:128 ; 4-byte Folded Reload
	buffer_load_dword v24, off, s[0:3], s33 offset:132 ; 4-byte Folded Reload
	v_or_b32_e32 v19, 0x10000, v21
	s_waitcnt vmcnt(1)
	v_cmp_eq_u32_sdwa vcc, v21, v23 src0_sel:WORD_0 src1_sel:DWORD
	v_cndmask_b32_e32 v19, v19, v21, vcc
.LBB12_1959:                            ;   in Loop: Header=BB12_1843 Depth=3
	s_or_b64 exec, exec, s[30:31]
	v_lshlrev_b32_e32 v21, 16, v52
	v_lshlrev_b32_e32 v23, 16, v53
	v_max_f32_e32 v23, v23, v23
	v_max_f32_e32 v21, v21, v21
	s_waitcnt vmcnt(0)
	v_min_f32_e32 v24, v21, v23
	v_max_f32_e32 v21, v21, v23
	v_cndmask_b32_e64 v23, v21, v24, s[28:29]
	v_and_b32_e32 v21, 0x7f800000, v23
	v_cmp_ne_u32_e32 vcc, s56, v21
                                        ; implicit-def: $vgpr21
	s_and_saveexec_b64 s[30:31], vcc
	s_xor_b64 vcc, exec, s[30:31]
; %bb.1960:                             ;   in Loop: Header=BB12_1843 Depth=3
	v_bfe_u32 v21, v23, 16, 1
	v_add3_u32 v21, v23, v21, s57
                                        ; implicit-def: $vgpr23
; %bb.1961:                             ;   in Loop: Header=BB12_1843 Depth=3
	s_andn2_saveexec_b64 s[30:31], vcc
	s_cbranch_execz .LBB12_1963
; %bb.1962:                             ;   in Loop: Header=BB12_1843 Depth=3
	buffer_load_dword v24, off, s[0:3], s33 offset:128 ; 4-byte Folded Reload
	buffer_load_dword v25, off, s[0:3], s33 offset:132 ; 4-byte Folded Reload
	v_or_b32_e32 v21, 0x10000, v23
	s_waitcnt vmcnt(1)
	v_cmp_eq_u32_sdwa vcc, v23, v24 src0_sel:WORD_0 src1_sel:DWORD
	v_cndmask_b32_e32 v21, v21, v23, vcc
.LBB12_1963:                            ;   in Loop: Header=BB12_1843 Depth=3
	s_or_b64 exec, exec, s[30:31]
	v_lshlrev_b32_e32 v23, 16, v49
	v_lshlrev_b32_e32 v24, 16, v50
	v_max_f32_e32 v24, v24, v24
	v_max_f32_e32 v23, v23, v23
	s_waitcnt vmcnt(0)
	v_min_f32_e32 v25, v23, v24
	v_max_f32_e32 v23, v23, v24
	v_cndmask_b32_e64 v24, v23, v25, s[28:29]
	v_and_b32_e32 v23, 0x7f800000, v24
	v_cmp_ne_u32_e32 vcc, s56, v23
                                        ; implicit-def: $vgpr23
	s_and_saveexec_b64 s[30:31], vcc
	s_xor_b64 vcc, exec, s[30:31]
; %bb.1964:                             ;   in Loop: Header=BB12_1843 Depth=3
	v_bfe_u32 v23, v24, 16, 1
	v_add3_u32 v23, v24, v23, s57
                                        ; implicit-def: $vgpr24
; %bb.1965:                             ;   in Loop: Header=BB12_1843 Depth=3
	s_andn2_saveexec_b64 s[30:31], vcc
	s_cbranch_execz .LBB12_1967
; %bb.1966:                             ;   in Loop: Header=BB12_1843 Depth=3
	buffer_load_dword v25, off, s[0:3], s33 offset:128 ; 4-byte Folded Reload
	buffer_load_dword v26, off, s[0:3], s33 offset:132 ; 4-byte Folded Reload
	v_or_b32_e32 v23, 0x10000, v24
	s_waitcnt vmcnt(1)
	v_cmp_eq_u32_sdwa vcc, v24, v25 src0_sel:WORD_0 src1_sel:DWORD
	v_cndmask_b32_e32 v23, v23, v24, vcc
.LBB12_1967:                            ;   in Loop: Header=BB12_1843 Depth=3
	s_or_b64 exec, exec, s[30:31]
	v_lshlrev_b32_e32 v24, 16, v38
	v_lshlrev_b32_e32 v25, 16, v48
	v_max_f32_e32 v25, v25, v25
	v_max_f32_e32 v24, v24, v24
	v_min_f32_e32 v38, v24, v25
	v_max_f32_e32 v24, v24, v25
	v_cndmask_b32_e64 v24, v24, v38, s[28:29]
	v_and_b32_e32 v25, 0x7f800000, v24
	v_cmp_ne_u32_e32 vcc, s56, v25
                                        ; implicit-def: $vgpr38
	s_and_saveexec_b64 s[30:31], vcc
	s_xor_b64 vcc, exec, s[30:31]
; %bb.1968:                             ;   in Loop: Header=BB12_1843 Depth=3
	v_bfe_u32 v25, v24, 16, 1
	v_add3_u32 v38, v24, v25, s57
                                        ; implicit-def: $vgpr24
; %bb.1969:                             ;   in Loop: Header=BB12_1843 Depth=3
	s_andn2_saveexec_b64 s[30:31], vcc
	s_cbranch_execz .LBB12_1971
; %bb.1970:                             ;   in Loop: Header=BB12_1843 Depth=3
	buffer_load_dword v26, off, s[0:3], s33 offset:128 ; 4-byte Folded Reload
	buffer_load_dword v27, off, s[0:3], s33 offset:132 ; 4-byte Folded Reload
	v_or_b32_e32 v25, 0x10000, v24
	s_waitcnt vmcnt(1)
	v_cmp_eq_u32_sdwa vcc, v24, v26 src0_sel:WORD_0 src1_sel:DWORD
	v_cndmask_b32_e32 v38, v25, v24, vcc
.LBB12_1971:                            ;   in Loop: Header=BB12_1843 Depth=3
	s_or_b64 exec, exec, s[30:31]
	v_lshlrev_b32_e32 v24, 16, v35
	v_lshlrev_b32_e32 v25, 16, v37
	v_max_f32_e32 v25, v25, v25
	v_max_f32_e32 v24, v24, v24
	v_min_f32_e32 v35, v24, v25
	v_max_f32_e32 v24, v24, v25
	v_cndmask_b32_e64 v24, v24, v35, s[28:29]
	v_and_b32_e32 v25, 0x7f800000, v24
	v_cmp_ne_u32_e32 vcc, s56, v25
                                        ; implicit-def: $vgpr35
	s_and_saveexec_b64 s[30:31], vcc
	s_xor_b64 vcc, exec, s[30:31]
; %bb.1972:                             ;   in Loop: Header=BB12_1843 Depth=3
	v_bfe_u32 v25, v24, 16, 1
	v_add3_u32 v35, v24, v25, s57
                                        ; implicit-def: $vgpr24
; %bb.1973:                             ;   in Loop: Header=BB12_1843 Depth=3
	s_andn2_saveexec_b64 s[30:31], vcc
	s_cbranch_execz .LBB12_1975
; %bb.1974:                             ;   in Loop: Header=BB12_1843 Depth=3
	buffer_load_dword v26, off, s[0:3], s33 offset:128 ; 4-byte Folded Reload
	buffer_load_dword v27, off, s[0:3], s33 offset:132 ; 4-byte Folded Reload
	v_or_b32_e32 v25, 0x10000, v24
	s_waitcnt vmcnt(1)
	v_cmp_eq_u32_sdwa vcc, v24, v26 src0_sel:WORD_0 src1_sel:DWORD
	v_cndmask_b32_e32 v35, v25, v24, vcc
.LBB12_1975:                            ;   in Loop: Header=BB12_1843 Depth=3
	s_or_b64 exec, exec, s[30:31]
	v_lshrrev_b32_e32 v22, 16, v22
	v_lshrrev_b32_e32 v24, 16, v38
	;; [unrolled: 1-line block ×16, first 2 shown]
	flat_store_short v[2:3], v22 glc slc
	flat_store_short v[2:3], v20 offset:128 glc slc
	flat_store_short v[2:3], v18 offset:256 glc slc
	;; [unrolled: 1-line block ×15, first 2 shown]
	v_add_co_u32_e32 v2, vcc, s64, v2
	v_addc_co_u32_e32 v3, vcc, 0, v3, vcc
	flat_store_short v[0:1], v22 glc slc
	flat_store_short v[0:1], v20 offset:128 glc slc
	flat_store_short v[0:1], v18 offset:256 glc slc
	;; [unrolled: 1-line block ×15, first 2 shown]
	v_add_co_u32_e32 v0, vcc, 0x800, v0
	v_addc_co_u32_e32 v1, vcc, 0, v1, vcc
	s_and_saveexec_b64 s[30:31], s[94:95]
	s_cbranch_execz .LBB12_1842
; %bb.1976:                             ;   in Loop: Header=BB12_1843 Depth=3
	buffer_load_dword v12, off, s[0:3], s33 offset:272 ; 4-byte Folded Reload
	buffer_load_dword v13, off, s[0:3], s33 offset:276 ; 4-byte Folded Reload
	;; [unrolled: 1-line block ×3, first 2 shown]
	s_waitcnt vmcnt(0)
	v_add_co_u32_e32 v2, vcc, v2, v12
	v_addc_co_u32_e32 v3, vcc, v3, v13, vcc
	v_add_co_u32_e32 v0, vcc, v0, v12
	v_addc_co_u32_e32 v1, vcc, v1, v13, vcc
	;; [unrolled: 2-line block ×4, first 2 shown]
	v_sub_u32_e32 v11, v11, v8
	s_branch .LBB12_1842
.LBB12_1977:                            ;   in Loop: Header=BB12_1245 Depth=2
	s_or_b64 exec, exec, s[92:93]
	buffer_load_dword v4, off, s[0:3], s33 offset:168 ; 4-byte Folded Reload
	v_lshlrev_b32_e32 v23, 16, v44
	v_lshlrev_b32_e32 v52, 16, v41
	;; [unrolled: 1-line block ×16, first 2 shown]
	s_and_b64 s[28:29], s[42:43], exec
	s_waitcnt vmcnt(0)
	v_lshlrev_b32_e32 v45, 16, v4
	buffer_load_dword v4, off, s[0:3], s33 offset:184 ; 4-byte Folded Reload
	s_waitcnt vmcnt(0)
	v_lshlrev_b32_e32 v43, 16, v4
	buffer_load_dword v4, off, s[0:3], s33 offset:200 ; 4-byte Folded Reload
	;; [unrolled: 3-line block ×14, first 2 shown]
	buffer_load_dword v41, off, s[0:3], s33 offset:524 ; 4-byte Folded Reload
	buffer_load_dword v44, off, s[0:3], s33 offset:528 ; 4-byte Folded Reload
	;; [unrolled: 1-line block ×5, first 2 shown]
	s_waitcnt vmcnt(0)
	v_lshlrev_b32_e32 v7, 16, v4
	v_lshlrev_b32_e32 v4, 16, v29
.LBB12_1978:                            ;   in Loop: Header=BB12_1245 Depth=2
	s_or_b64 exec, exec, s[40:41]
	s_and_saveexec_b64 s[40:41], s[28:29]
	s_cbranch_execz .LBB12_2044
; %bb.1979:                             ;   in Loop: Header=BB12_1245 Depth=2
	s_and_b32 s9, s65, 0xff
	s_cmp_eq_u32 s9, 0
	v_max_f32_e32 v24, v45, v45
	v_max_f32_e32 v9, v9, v9
	v_min_f32_e32 v25, v9, v24
	v_max_f32_e32 v9, v9, v24
	s_cselect_b64 vcc, -1, 0
	v_cndmask_b32_e32 v24, v9, v25, vcc
	v_and_b32_e32 v9, 0x7f800000, v24
	v_cmp_ne_u32_e64 s[28:29], s56, v9
                                        ; implicit-def: $vgpr9
	s_and_saveexec_b64 s[42:43], s[28:29]
	s_xor_b64 s[28:29], exec, s[42:43]
; %bb.1980:                             ;   in Loop: Header=BB12_1245 Depth=2
	v_bfe_u32 v9, v24, 16, 1
	v_add3_u32 v9, v24, v9, s57
                                        ; implicit-def: $vgpr24
; %bb.1981:                             ;   in Loop: Header=BB12_1245 Depth=2
	s_andn2_saveexec_b64 s[42:43], s[28:29]
	s_cbranch_execz .LBB12_1983
; %bb.1982:                             ;   in Loop: Header=BB12_1245 Depth=2
	buffer_load_dword v25, off, s[0:3], s33 offset:128 ; 4-byte Folded Reload
	buffer_load_dword v26, off, s[0:3], s33 offset:132 ; 4-byte Folded Reload
	v_or_b32_e32 v9, 0x10000, v24
	s_waitcnt vmcnt(0)
	v_cmp_eq_u32_sdwa s[28:29], v24, v25 src0_sel:WORD_0 src1_sel:DWORD
	v_cndmask_b32_e64 v9, v9, v24, s[28:29]
.LBB12_1983:                            ;   in Loop: Header=BB12_1245 Depth=2
	s_or_b64 exec, exec, s[42:43]
	v_max_f32_e32 v24, v43, v43
	v_max_f32_e32 v13, v13, v13
	v_min_f32_e32 v25, v13, v24
	v_max_f32_e32 v13, v13, v24
	v_cndmask_b32_e32 v24, v13, v25, vcc
	v_and_b32_e32 v13, 0x7f800000, v24
	v_cmp_ne_u32_e64 s[28:29], s56, v13
                                        ; implicit-def: $vgpr13
	s_and_saveexec_b64 s[42:43], s[28:29]
	s_xor_b64 s[28:29], exec, s[42:43]
; %bb.1984:                             ;   in Loop: Header=BB12_1245 Depth=2
	v_bfe_u32 v13, v24, 16, 1
	v_add3_u32 v13, v24, v13, s57
                                        ; implicit-def: $vgpr24
; %bb.1985:                             ;   in Loop: Header=BB12_1245 Depth=2
	s_andn2_saveexec_b64 s[42:43], s[28:29]
	s_cbranch_execz .LBB12_1987
; %bb.1986:                             ;   in Loop: Header=BB12_1245 Depth=2
	buffer_load_dword v25, off, s[0:3], s33 offset:128 ; 4-byte Folded Reload
	buffer_load_dword v26, off, s[0:3], s33 offset:132 ; 4-byte Folded Reload
	v_or_b32_e32 v13, 0x10000, v24
	s_waitcnt vmcnt(0)
	v_cmp_eq_u32_sdwa s[28:29], v24, v25 src0_sel:WORD_0 src1_sel:DWORD
	v_cndmask_b32_e64 v13, v13, v24, s[28:29]
.LBB12_1987:                            ;   in Loop: Header=BB12_1245 Depth=2
	s_or_b64 exec, exec, s[42:43]
	v_max_f32_e32 v24, v42, v42
	v_max_f32_e32 v16, v16, v16
	v_min_f32_e32 v25, v16, v24
	v_max_f32_e32 v16, v16, v24
	v_cndmask_b32_e32 v24, v16, v25, vcc
	v_and_b32_e32 v16, 0x7f800000, v24
	v_cmp_ne_u32_e64 s[28:29], s56, v16
                                        ; implicit-def: $vgpr16
	s_and_saveexec_b64 s[42:43], s[28:29]
	s_xor_b64 s[28:29], exec, s[42:43]
; %bb.1988:                             ;   in Loop: Header=BB12_1245 Depth=2
	v_bfe_u32 v16, v24, 16, 1
	v_add3_u32 v16, v24, v16, s57
                                        ; implicit-def: $vgpr24
; %bb.1989:                             ;   in Loop: Header=BB12_1245 Depth=2
	s_andn2_saveexec_b64 s[42:43], s[28:29]
	s_cbranch_execz .LBB12_1991
; %bb.1990:                             ;   in Loop: Header=BB12_1245 Depth=2
	buffer_load_dword v25, off, s[0:3], s33 offset:128 ; 4-byte Folded Reload
	buffer_load_dword v26, off, s[0:3], s33 offset:132 ; 4-byte Folded Reload
	v_or_b32_e32 v16, 0x10000, v24
	s_waitcnt vmcnt(0)
	v_cmp_eq_u32_sdwa s[28:29], v24, v25 src0_sel:WORD_0 src1_sel:DWORD
	v_cndmask_b32_e64 v16, v16, v24, s[28:29]
.LBB12_1991:                            ;   in Loop: Header=BB12_1245 Depth=2
	s_or_b64 exec, exec, s[42:43]
	v_max_f32_e32 v24, v40, v40
	v_max_f32_e32 v20, v20, v20
	v_min_f32_e32 v25, v20, v24
	v_max_f32_e32 v20, v20, v24
	v_cndmask_b32_e32 v24, v20, v25, vcc
	v_and_b32_e32 v20, 0x7f800000, v24
	v_cmp_ne_u32_e64 s[28:29], s56, v20
                                        ; implicit-def: $vgpr20
	s_and_saveexec_b64 s[42:43], s[28:29]
	s_xor_b64 s[28:29], exec, s[42:43]
; %bb.1992:                             ;   in Loop: Header=BB12_1245 Depth=2
	v_bfe_u32 v20, v24, 16, 1
	v_add3_u32 v20, v24, v20, s57
                                        ; implicit-def: $vgpr24
; %bb.1993:                             ;   in Loop: Header=BB12_1245 Depth=2
	s_andn2_saveexec_b64 s[42:43], s[28:29]
	s_cbranch_execz .LBB12_1995
; %bb.1994:                             ;   in Loop: Header=BB12_1245 Depth=2
	buffer_load_dword v25, off, s[0:3], s33 offset:128 ; 4-byte Folded Reload
	buffer_load_dword v26, off, s[0:3], s33 offset:132 ; 4-byte Folded Reload
	v_or_b32_e32 v20, 0x10000, v24
	s_waitcnt vmcnt(0)
	v_cmp_eq_u32_sdwa s[28:29], v24, v25 src0_sel:WORD_0 src1_sel:DWORD
	v_cndmask_b32_e64 v20, v20, v24, s[28:29]
.LBB12_1995:                            ;   in Loop: Header=BB12_1245 Depth=2
	s_or_b64 exec, exec, s[42:43]
	v_max_f32_e32 v24, v55, v55
	v_max_f32_e32 v23, v23, v23
	v_min_f32_e32 v25, v23, v24
	v_max_f32_e32 v23, v23, v24
	v_cndmask_b32_e32 v24, v23, v25, vcc
	v_and_b32_e32 v23, 0x7f800000, v24
	v_cmp_ne_u32_e64 s[28:29], s56, v23
                                        ; implicit-def: $vgpr23
	s_and_saveexec_b64 s[42:43], s[28:29]
	s_xor_b64 s[28:29], exec, s[42:43]
; %bb.1996:                             ;   in Loop: Header=BB12_1245 Depth=2
	v_bfe_u32 v23, v24, 16, 1
	v_add3_u32 v23, v24, v23, s57
                                        ; implicit-def: $vgpr24
; %bb.1997:                             ;   in Loop: Header=BB12_1245 Depth=2
	s_andn2_saveexec_b64 s[42:43], s[28:29]
	s_cbranch_execz .LBB12_1999
; %bb.1998:                             ;   in Loop: Header=BB12_1245 Depth=2
	buffer_load_dword v25, off, s[0:3], s33 offset:128 ; 4-byte Folded Reload
	buffer_load_dword v26, off, s[0:3], s33 offset:132 ; 4-byte Folded Reload
	v_or_b32_e32 v23, 0x10000, v24
	s_waitcnt vmcnt(0)
	v_cmp_eq_u32_sdwa s[28:29], v24, v25 src0_sel:WORD_0 src1_sel:DWORD
	v_cndmask_b32_e64 v23, v23, v24, s[28:29]
.LBB12_1999:                            ;   in Loop: Header=BB12_1245 Depth=2
	s_or_b64 exec, exec, s[42:43]
	v_max_f32_e32 v24, v53, v53
	v_max_f32_e32 v25, v52, v52
	v_min_f32_e32 v26, v25, v24
	v_max_f32_e32 v24, v25, v24
	v_cndmask_b32_e32 v25, v24, v26, vcc
	v_and_b32_e32 v24, 0x7f800000, v25
	v_cmp_ne_u32_e64 s[28:29], s56, v24
                                        ; implicit-def: $vgpr24
	s_and_saveexec_b64 s[42:43], s[28:29]
	s_xor_b64 s[28:29], exec, s[42:43]
; %bb.2000:                             ;   in Loop: Header=BB12_1245 Depth=2
	v_bfe_u32 v24, v25, 16, 1
	v_add3_u32 v24, v25, v24, s57
                                        ; implicit-def: $vgpr25
; %bb.2001:                             ;   in Loop: Header=BB12_1245 Depth=2
	s_andn2_saveexec_b64 s[42:43], s[28:29]
	s_cbranch_execz .LBB12_2003
; %bb.2002:                             ;   in Loop: Header=BB12_1245 Depth=2
	buffer_load_dword v26, off, s[0:3], s33 offset:128 ; 4-byte Folded Reload
	buffer_load_dword v27, off, s[0:3], s33 offset:132 ; 4-byte Folded Reload
	v_or_b32_e32 v24, 0x10000, v25
	s_waitcnt vmcnt(0)
	v_cmp_eq_u32_sdwa s[28:29], v25, v26 src0_sel:WORD_0 src1_sel:DWORD
	v_cndmask_b32_e64 v24, v24, v25, s[28:29]
.LBB12_2003:                            ;   in Loop: Header=BB12_1245 Depth=2
	s_or_b64 exec, exec, s[42:43]
	v_max_f32_e32 v25, v50, v50
	v_max_f32_e32 v26, v49, v49
	v_min_f32_e32 v27, v26, v25
	v_max_f32_e32 v25, v26, v25
	v_cndmask_b32_e32 v26, v25, v27, vcc
	v_and_b32_e32 v25, 0x7f800000, v26
	v_cmp_ne_u32_e64 s[28:29], s56, v25
                                        ; implicit-def: $vgpr25
	s_and_saveexec_b64 s[42:43], s[28:29]
	s_xor_b64 s[28:29], exec, s[42:43]
; %bb.2004:                             ;   in Loop: Header=BB12_1245 Depth=2
	v_bfe_u32 v25, v26, 16, 1
	v_add3_u32 v25, v26, v25, s57
                                        ; implicit-def: $vgpr26
; %bb.2005:                             ;   in Loop: Header=BB12_1245 Depth=2
	s_andn2_saveexec_b64 s[42:43], s[28:29]
	s_cbranch_execz .LBB12_2007
; %bb.2006:                             ;   in Loop: Header=BB12_1245 Depth=2
	buffer_load_dword v27, off, s[0:3], s33 offset:128 ; 4-byte Folded Reload
	buffer_load_dword v28, off, s[0:3], s33 offset:132 ; 4-byte Folded Reload
	v_or_b32_e32 v25, 0x10000, v26
	s_waitcnt vmcnt(0)
	v_cmp_eq_u32_sdwa s[28:29], v26, v27 src0_sel:WORD_0 src1_sel:DWORD
	v_cndmask_b32_e64 v25, v25, v26, s[28:29]
.LBB12_2007:                            ;   in Loop: Header=BB12_1245 Depth=2
	s_or_b64 exec, exec, s[42:43]
	v_max_f32_e32 v26, v48, v48
	v_max_f32_e32 v27, v38, v38
	v_min_f32_e32 v28, v27, v26
	v_max_f32_e32 v26, v27, v26
	v_cndmask_b32_e32 v27, v26, v28, vcc
	v_and_b32_e32 v26, 0x7f800000, v27
	v_cmp_ne_u32_e64 s[28:29], s56, v26
                                        ; implicit-def: $vgpr26
	s_and_saveexec_b64 s[42:43], s[28:29]
	s_xor_b64 s[28:29], exec, s[42:43]
; %bb.2008:                             ;   in Loop: Header=BB12_1245 Depth=2
	v_bfe_u32 v26, v27, 16, 1
	v_add3_u32 v26, v27, v26, s57
                                        ; implicit-def: $vgpr27
; %bb.2009:                             ;   in Loop: Header=BB12_1245 Depth=2
	s_andn2_saveexec_b64 s[42:43], s[28:29]
	s_cbranch_execz .LBB12_2011
; %bb.2010:                             ;   in Loop: Header=BB12_1245 Depth=2
	buffer_load_dword v28, off, s[0:3], s33 offset:128 ; 4-byte Folded Reload
	buffer_load_dword v29, off, s[0:3], s33 offset:132 ; 4-byte Folded Reload
	v_or_b32_e32 v26, 0x10000, v27
	s_waitcnt vmcnt(0)
	v_cmp_eq_u32_sdwa s[28:29], v27, v28 src0_sel:WORD_0 src1_sel:DWORD
	v_cndmask_b32_e64 v26, v26, v27, s[28:29]
.LBB12_2011:                            ;   in Loop: Header=BB12_1245 Depth=2
	s_or_b64 exec, exec, s[42:43]
	v_max_f32_e32 v27, v37, v37
	v_max_f32_e32 v28, v35, v35
	v_min_f32_e32 v29, v28, v27
	v_max_f32_e32 v27, v28, v27
	v_cndmask_b32_e32 v28, v27, v29, vcc
	v_and_b32_e32 v27, 0x7f800000, v28
	v_cmp_ne_u32_e64 s[28:29], s56, v27
                                        ; implicit-def: $vgpr27
	s_and_saveexec_b64 s[42:43], s[28:29]
	s_xor_b64 s[28:29], exec, s[42:43]
; %bb.2012:                             ;   in Loop: Header=BB12_1245 Depth=2
	v_bfe_u32 v27, v28, 16, 1
	v_add3_u32 v27, v28, v27, s57
                                        ; implicit-def: $vgpr28
; %bb.2013:                             ;   in Loop: Header=BB12_1245 Depth=2
	s_andn2_saveexec_b64 s[42:43], s[28:29]
	s_cbranch_execz .LBB12_2015
; %bb.2014:                             ;   in Loop: Header=BB12_1245 Depth=2
	buffer_load_dword v29, off, s[0:3], s33 offset:128 ; 4-byte Folded Reload
	buffer_load_dword v30, off, s[0:3], s33 offset:132 ; 4-byte Folded Reload
	v_or_b32_e32 v27, 0x10000, v28
	s_waitcnt vmcnt(0)
	v_cmp_eq_u32_sdwa s[28:29], v28, v29 src0_sel:WORD_0 src1_sel:DWORD
	v_cndmask_b32_e64 v27, v27, v28, s[28:29]
.LBB12_2015:                            ;   in Loop: Header=BB12_1245 Depth=2
	s_or_b64 exec, exec, s[42:43]
	v_max_f32_e32 v22, v22, v22
	v_max_f32_e32 v21, v21, v21
	v_min_f32_e32 v28, v21, v22
	v_max_f32_e32 v21, v21, v22
	v_cndmask_b32_e32 v22, v21, v28, vcc
	v_and_b32_e32 v21, 0x7f800000, v22
	v_cmp_ne_u32_e64 s[28:29], s56, v21
                                        ; implicit-def: $vgpr21
	s_and_saveexec_b64 s[42:43], s[28:29]
	s_xor_b64 s[28:29], exec, s[42:43]
; %bb.2016:                             ;   in Loop: Header=BB12_1245 Depth=2
	v_bfe_u32 v21, v22, 16, 1
	v_add3_u32 v21, v22, v21, s57
                                        ; implicit-def: $vgpr22
; %bb.2017:                             ;   in Loop: Header=BB12_1245 Depth=2
	s_andn2_saveexec_b64 s[42:43], s[28:29]
	s_cbranch_execz .LBB12_2019
; %bb.2018:                             ;   in Loop: Header=BB12_1245 Depth=2
	buffer_load_dword v28, off, s[0:3], s33 offset:128 ; 4-byte Folded Reload
	buffer_load_dword v29, off, s[0:3], s33 offset:132 ; 4-byte Folded Reload
	v_or_b32_e32 v21, 0x10000, v22
	s_waitcnt vmcnt(0)
	v_cmp_eq_u32_sdwa s[28:29], v22, v28 src0_sel:WORD_0 src1_sel:DWORD
	v_cndmask_b32_e64 v21, v21, v22, s[28:29]
.LBB12_2019:                            ;   in Loop: Header=BB12_1245 Depth=2
	s_or_b64 exec, exec, s[42:43]
	v_max_f32_e32 v19, v19, v19
	v_max_f32_e32 v18, v18, v18
	v_min_f32_e32 v22, v18, v19
	v_max_f32_e32 v18, v18, v19
	v_cndmask_b32_e32 v19, v18, v22, vcc
	v_and_b32_e32 v18, 0x7f800000, v19
	v_cmp_ne_u32_e64 s[28:29], s56, v18
                                        ; implicit-def: $vgpr18
	s_and_saveexec_b64 s[42:43], s[28:29]
	s_xor_b64 s[28:29], exec, s[42:43]
; %bb.2020:                             ;   in Loop: Header=BB12_1245 Depth=2
	v_bfe_u32 v18, v19, 16, 1
	v_add3_u32 v18, v19, v18, s57
                                        ; implicit-def: $vgpr19
; %bb.2021:                             ;   in Loop: Header=BB12_1245 Depth=2
	s_andn2_saveexec_b64 s[42:43], s[28:29]
	s_cbranch_execz .LBB12_2023
; %bb.2022:                             ;   in Loop: Header=BB12_1245 Depth=2
	buffer_load_dword v28, off, s[0:3], s33 offset:128 ; 4-byte Folded Reload
	buffer_load_dword v29, off, s[0:3], s33 offset:132 ; 4-byte Folded Reload
	v_or_b32_e32 v18, 0x10000, v19
	s_waitcnt vmcnt(0)
	v_cmp_eq_u32_sdwa s[28:29], v19, v28 src0_sel:WORD_0 src1_sel:DWORD
	v_cndmask_b32_e64 v18, v18, v19, s[28:29]
.LBB12_2023:                            ;   in Loop: Header=BB12_1245 Depth=2
	s_or_b64 exec, exec, s[42:43]
	v_max_f32_e32 v17, v17, v17
	v_max_f32_e32 v15, v15, v15
	v_min_f32_e32 v19, v15, v17
	v_max_f32_e32 v15, v15, v17
	v_cndmask_b32_e32 v17, v15, v19, vcc
	v_and_b32_e32 v15, 0x7f800000, v17
	v_cmp_ne_u32_e64 s[28:29], s56, v15
                                        ; implicit-def: $vgpr15
	s_and_saveexec_b64 s[42:43], s[28:29]
	s_xor_b64 s[28:29], exec, s[42:43]
; %bb.2024:                             ;   in Loop: Header=BB12_1245 Depth=2
	v_bfe_u32 v15, v17, 16, 1
	v_add3_u32 v15, v17, v15, s57
                                        ; implicit-def: $vgpr17
; %bb.2025:                             ;   in Loop: Header=BB12_1245 Depth=2
	s_andn2_saveexec_b64 s[42:43], s[28:29]
	s_cbranch_execz .LBB12_2027
; %bb.2026:                             ;   in Loop: Header=BB12_1245 Depth=2
	buffer_load_dword v28, off, s[0:3], s33 offset:128 ; 4-byte Folded Reload
	buffer_load_dword v29, off, s[0:3], s33 offset:132 ; 4-byte Folded Reload
	v_or_b32_e32 v15, 0x10000, v17
	s_waitcnt vmcnt(0)
	v_cmp_eq_u32_sdwa s[28:29], v17, v28 src0_sel:WORD_0 src1_sel:DWORD
	v_cndmask_b32_e64 v15, v15, v17, s[28:29]
.LBB12_2027:                            ;   in Loop: Header=BB12_1245 Depth=2
	s_or_b64 exec, exec, s[42:43]
	v_max_f32_e32 v14, v14, v14
	v_max_f32_e32 v12, v12, v12
	v_min_f32_e32 v17, v12, v14
	v_max_f32_e32 v12, v12, v14
	v_cndmask_b32_e32 v14, v12, v17, vcc
	v_and_b32_e32 v12, 0x7f800000, v14
	v_cmp_ne_u32_e64 s[28:29], s56, v12
                                        ; implicit-def: $vgpr12
	s_and_saveexec_b64 s[42:43], s[28:29]
	s_xor_b64 s[28:29], exec, s[42:43]
; %bb.2028:                             ;   in Loop: Header=BB12_1245 Depth=2
	v_bfe_u32 v12, v14, 16, 1
	v_add3_u32 v12, v14, v12, s57
                                        ; implicit-def: $vgpr14
; %bb.2029:                             ;   in Loop: Header=BB12_1245 Depth=2
	s_andn2_saveexec_b64 s[42:43], s[28:29]
	s_cbranch_execz .LBB12_2031
; %bb.2030:                             ;   in Loop: Header=BB12_1245 Depth=2
	buffer_load_dword v28, off, s[0:3], s33 offset:128 ; 4-byte Folded Reload
	buffer_load_dword v29, off, s[0:3], s33 offset:132 ; 4-byte Folded Reload
	v_or_b32_e32 v12, 0x10000, v14
	s_waitcnt vmcnt(0)
	v_cmp_eq_u32_sdwa s[28:29], v14, v28 src0_sel:WORD_0 src1_sel:DWORD
	v_cndmask_b32_e64 v12, v12, v14, s[28:29]
.LBB12_2031:                            ;   in Loop: Header=BB12_1245 Depth=2
	s_or_b64 exec, exec, s[42:43]
	v_max_f32_e32 v10, v10, v10
	v_max_f32_e32 v8, v8, v8
	v_min_f32_e32 v14, v8, v10
	v_max_f32_e32 v8, v8, v10
	v_cndmask_b32_e32 v10, v8, v14, vcc
	v_and_b32_e32 v8, 0x7f800000, v10
	v_cmp_ne_u32_e64 s[28:29], s56, v8
                                        ; implicit-def: $vgpr8
	s_and_saveexec_b64 s[42:43], s[28:29]
	s_xor_b64 s[28:29], exec, s[42:43]
; %bb.2032:                             ;   in Loop: Header=BB12_1245 Depth=2
	v_bfe_u32 v8, v10, 16, 1
	v_add3_u32 v8, v10, v8, s57
                                        ; implicit-def: $vgpr10
; %bb.2033:                             ;   in Loop: Header=BB12_1245 Depth=2
	s_andn2_saveexec_b64 s[42:43], s[28:29]
	s_cbranch_execz .LBB12_2035
; %bb.2034:                             ;   in Loop: Header=BB12_1245 Depth=2
	buffer_load_dword v28, off, s[0:3], s33 offset:128 ; 4-byte Folded Reload
	buffer_load_dword v29, off, s[0:3], s33 offset:132 ; 4-byte Folded Reload
	v_or_b32_e32 v8, 0x10000, v10
	s_waitcnt vmcnt(0)
	v_cmp_eq_u32_sdwa s[28:29], v10, v28 src0_sel:WORD_0 src1_sel:DWORD
	v_cndmask_b32_e64 v8, v8, v10, s[28:29]
.LBB12_2035:                            ;   in Loop: Header=BB12_1245 Depth=2
	s_or_b64 exec, exec, s[42:43]
	v_max_f32_e32 v7, v7, v7
	v_max_f32_e32 v6, v6, v6
	v_min_f32_e32 v10, v6, v7
	v_max_f32_e32 v6, v6, v7
	v_cndmask_b32_e32 v7, v6, v10, vcc
	v_and_b32_e32 v6, 0x7f800000, v7
	v_cmp_ne_u32_e64 s[28:29], s56, v6
                                        ; implicit-def: $vgpr6
	s_and_saveexec_b64 s[42:43], s[28:29]
	s_xor_b64 s[28:29], exec, s[42:43]
; %bb.2036:                             ;   in Loop: Header=BB12_1245 Depth=2
	v_bfe_u32 v6, v7, 16, 1
	v_add3_u32 v6, v7, v6, s57
                                        ; implicit-def: $vgpr7
; %bb.2037:                             ;   in Loop: Header=BB12_1245 Depth=2
	s_andn2_saveexec_b64 s[42:43], s[28:29]
	s_cbranch_execz .LBB12_2039
; %bb.2038:                             ;   in Loop: Header=BB12_1245 Depth=2
	buffer_load_dword v28, off, s[0:3], s33 offset:128 ; 4-byte Folded Reload
	buffer_load_dword v29, off, s[0:3], s33 offset:132 ; 4-byte Folded Reload
	v_or_b32_e32 v6, 0x10000, v7
	s_waitcnt vmcnt(0)
	v_cmp_eq_u32_sdwa s[28:29], v7, v28 src0_sel:WORD_0 src1_sel:DWORD
	v_cndmask_b32_e64 v6, v6, v7, s[28:29]
.LBB12_2039:                            ;   in Loop: Header=BB12_1245 Depth=2
	s_or_b64 exec, exec, s[42:43]
	v_max_f32_e32 v5, v5, v5
	v_max_f32_e32 v4, v4, v4
	v_min_f32_e32 v7, v4, v5
	v_max_f32_e32 v4, v4, v5
	v_cndmask_b32_e32 v5, v4, v7, vcc
	v_and_b32_e32 v4, 0x7f800000, v5
	v_cmp_ne_u32_e32 vcc, s56, v4
                                        ; implicit-def: $vgpr4
	s_and_saveexec_b64 s[28:29], vcc
	s_xor_b64 s[28:29], exec, s[28:29]
; %bb.2040:                             ;   in Loop: Header=BB12_1245 Depth=2
	v_bfe_u32 v4, v5, 16, 1
	v_add3_u32 v4, v5, v4, s57
                                        ; implicit-def: $vgpr5
; %bb.2041:                             ;   in Loop: Header=BB12_1245 Depth=2
	s_andn2_saveexec_b64 s[28:29], s[28:29]
	s_cbranch_execz .LBB12_2043
; %bb.2042:                             ;   in Loop: Header=BB12_1245 Depth=2
	buffer_load_dword v28, off, s[0:3], s33 offset:128 ; 4-byte Folded Reload
	buffer_load_dword v29, off, s[0:3], s33 offset:132 ; 4-byte Folded Reload
	v_or_b32_e32 v4, 0x10000, v5
	s_waitcnt vmcnt(0)
	v_cmp_eq_u32_sdwa vcc, v5, v28 src0_sel:WORD_0 src1_sel:DWORD
	v_cndmask_b32_e32 v4, v4, v5, vcc
.LBB12_2043:                            ;   in Loop: Header=BB12_1245 Depth=2
	s_or_b64 exec, exec, s[28:29]
	v_lshrrev_b32_e32 v9, 16, v9
	v_lshrrev_b32_e32 v5, 16, v6
	;; [unrolled: 1-line block ×16, first 2 shown]
	flat_store_short v[2:3], v9 glc slc
	flat_store_short v[2:3], v13 offset:128 glc slc
	flat_store_short v[2:3], v16 offset:256 glc slc
	;; [unrolled: 1-line block ×15, first 2 shown]
	flat_store_short v[0:1], v9 glc slc
	flat_store_short v[0:1], v13 offset:128 glc slc
	flat_store_short v[0:1], v16 offset:256 glc slc
	;; [unrolled: 1-line block ×15, first 2 shown]
.LBB12_2044:                            ;   in Loop: Header=BB12_1245 Depth=2
	s_or_b64 exec, exec, s[40:41]
	buffer_load_dword v0, off, s[0:3], s33 offset:460 ; 4-byte Folded Reload
	buffer_load_dword v4, off, s[0:3], s33 offset:392 ; 4-byte Folded Reload
	;; [unrolled: 1-line block ×13, first 2 shown]
	s_waitcnt vmcnt(0)
	v_lshlrev_b32_e32 v0, 11, v0
	v_cmp_ne_u32_e32 vcc, v4, v0
	s_and_b64 s[28:29], exec, vcc
	s_mov_b64 exec, s[28:29]
	s_cbranch_execz .LBB12_2076
; %bb.2045:                             ;   in Loop: Header=BB12_1245 Depth=2
	v_lshlrev_b32_e32 v1, 6, v11
	v_sub_u32_e32 v1, v2, v1
	v_ashrrev_i32_e32 v2, 31, v1
	v_lshrrev_b32_e32 v2, 26, v2
	v_add_u32_e32 v2, v1, v2
	v_and_b32_e32 v3, 0x7fffffc0, v2
	v_sub_u32_e32 v1, v1, v3
	v_lshlrev_b32_e32 v2, 1, v2
	v_and_b32_e32 v2, 0xffffff80, v2
	v_lshlrev_b32_e32 v1, 1, v1
	v_add3_u32 v0, v2, v1, v0
	v_sub_u32_e32 v4, v4, v0
	v_cmp_lt_i32_e32 vcc, 1, v4
	s_and_b64 exec, exec, vcc
	s_cbranch_execz .LBB12_2076
; %bb.2046:                             ;   in Loop: Header=BB12_1245 Depth=2
	s_trap 2
	ds_read_b128 v[5:8], v0
	v_add_u32_e32 v9, v0, v9
	v_ashrrev_i32_e32 v10, 31, v9
	v_add_co_u32_e32 v0, vcc, v52, v9
	v_addc_co_u32_e32 v1, vcc, v53, v10, vcc
	v_add_co_u32_e32 v2, vcc, v31, v9
	v_addc_co_u32_e32 v3, vcc, v32, v10, vcc
	s_waitcnt lgkmcnt(0)
	v_add_co_u32_e32 v5, vcc, v5, v9
	v_addc_co_u32_e32 v6, vcc, v6, v10, vcc
	s_and_b32 s9, s65, 0xff
	v_add_co_u32_e32 v7, vcc, v7, v9
	s_cmp_eq_u32 s9, 0
	v_addc_co_u32_e32 v8, vcc, v8, v10, vcc
	s_mov_b64 s[30:31], 0
	s_mov_b64 s[92:93], 0
	s_cselect_b64 s[28:29], -1, 0
                                        ; implicit-def: $sgpr94_sgpr95
	s_branch .LBB12_2048
.LBB12_2047:                            ;   in Loop: Header=BB12_2048 Depth=3
	s_or_b64 exec, exec, s[40:41]
	v_cmp_gt_i32_e32 vcc, 2, v4
	s_or_b64 s[92:93], vcc, s[92:93]
	s_andn2_b64 s[40:41], s[94:95], exec
	s_and_b64 s[42:43], s[30:31], exec
	s_or_b64 s[94:95], s[40:41], s[42:43]
	s_andn2_b64 exec, exec, s[92:93]
	s_cbranch_execz .LBB12_2069
.LBB12_2048:                            ;   Parent Loop BB12_47 Depth=1
                                        ;     Parent Loop BB12_1245 Depth=2
                                        ; =>    This Loop Header: Depth=3
                                        ;         Child Loop BB12_2049 Depth 4
                                        ;         Child Loop BB12_2056 Depth 4
	;; [unrolled: 1-line block ×4, first 2 shown]
	s_lshr_b32 s9, s33, 6
	s_add_i32 s9, s9, 64
	s_mov_b64 s[42:43], -1
	s_mov_b64 s[34:35], 0
.LBB12_2049:                            ;   Parent Loop BB12_47 Depth=1
                                        ;     Parent Loop BB12_1245 Depth=2
                                        ;       Parent Loop BB12_2048 Depth=3
                                        ; =>      This Inner Loop Header: Depth=4
	s_cmp_eq_u32 s34, 1
	s_cselect_b64 s[40:41], -1, 0
	v_cndmask_b32_e64 v10, v6, v8, s[40:41]
	v_cndmask_b32_e64 v9, v5, v7, s[40:41]
	flat_load_ushort v11, v[9:10] glc slc
	v_add_co_u32_e32 v9, vcc, 0x80, v9
	v_addc_co_u32_e32 v10, vcc, 0, v10, vcc
	s_cmp_eq_u32 s34, 0
	v_mov_b32_e32 v12, s9
	s_cselect_b64 vcc, -1, 0
	s_lshr_b32 s9, s33, 6
	s_addk_i32 s9, 0x60
	v_cndmask_b32_e32 v6, v6, v10, vcc
	v_cndmask_b32_e32 v5, v5, v9, vcc
	v_cndmask_b32_e64 v8, v8, v10, s[40:41]
	v_cndmask_b32_e64 v7, v7, v9, s[40:41]
	s_mov_b64 s[34:35], 1
	s_and_b64 vcc, exec, s[42:43]
	s_mov_b64 s[42:43], 0
	s_waitcnt vmcnt(0) lgkmcnt(0)
	buffer_store_short v11, v12, s[0:3], 0 offen
	s_cbranch_vccnz .LBB12_2049
; %bb.2050:                             ;   in Loop: Header=BB12_2048 Depth=3
	s_and_saveexec_b64 s[34:35], s[30:31]
	s_cbranch_execz .LBB12_2058
; %bb.2051:                             ;   in Loop: Header=BB12_2048 Depth=3
	buffer_load_ushort v9, off, s[0:3], s33 offset:56
	buffer_load_ushort v10, off, s[0:3], s33 offset:58
	s_waitcnt vmcnt(1)
	v_lshlrev_b32_e32 v9, 16, v9
	s_waitcnt vmcnt(0)
	v_lshlrev_b32_e32 v10, 16, v10
	v_max_f32_e32 v10, v10, v10
	v_max_f32_e32 v9, v9, v9
	v_min_f32_e32 v11, v9, v10
	v_max_f32_e32 v9, v9, v10
	v_cndmask_b32_e64 v9, v9, v11, s[28:29]
	v_and_b32_e32 v10, 0x7f800000, v9
	v_cmp_ne_u32_e32 vcc, s56, v10
                                        ; implicit-def: $vgpr10
	s_and_saveexec_b64 s[40:41], vcc
	s_xor_b64 s[40:41], exec, s[40:41]
; %bb.2052:                             ;   in Loop: Header=BB12_2048 Depth=3
	v_bfe_u32 v10, v9, 16, 1
	v_add3_u32 v10, v9, v10, s57
                                        ; implicit-def: $vgpr9
; %bb.2053:                             ;   in Loop: Header=BB12_2048 Depth=3
	s_andn2_saveexec_b64 s[40:41], s[40:41]
	s_cbranch_execz .LBB12_2055
; %bb.2054:                             ;   in Loop: Header=BB12_2048 Depth=3
	buffer_load_dword v11, off, s[0:3], s33 offset:128 ; 4-byte Folded Reload
	buffer_load_dword v12, off, s[0:3], s33 offset:132 ; 4-byte Folded Reload
	v_or_b32_e32 v10, 0x10000, v9
	s_waitcnt vmcnt(1)
	v_cmp_eq_u32_sdwa vcc, v9, v11 src0_sel:WORD_0 src1_sel:DWORD
	v_cndmask_b32_e32 v10, v10, v9, vcc
.LBB12_2055:                            ;   in Loop: Header=BB12_2048 Depth=3
	s_or_b64 exec, exec, s[40:41]
	v_lshrrev_b32_e32 v9, 16, v10
	s_mov_b64 s[36:37], 0
	s_mov_b64 s[30:31], -1
	buffer_store_short v9, off, s[0:3], s33 offset:56
.LBB12_2056:                            ;   Parent Loop BB12_47 Depth=1
                                        ;     Parent Loop BB12_1245 Depth=2
                                        ;       Parent Loop BB12_2048 Depth=3
                                        ; =>      This Inner Loop Header: Depth=4
	s_cmp_eq_u32 s36, 1
	s_cselect_b64 s[40:41], -1, 0
	v_cndmask_b32_e64 v11, v1, v3, s[40:41]
	v_cndmask_b32_e64 v10, v0, v2, s[40:41]
	flat_store_short v[10:11], v9 glc slc
	v_add_co_u32_e32 v10, vcc, 0x80, v10
	s_cmp_eq_u32 s36, 0
	v_addc_co_u32_e32 v11, vcc, 0, v11, vcc
	s_cselect_b64 vcc, -1, 0
	s_and_b64 s[42:43], exec, s[30:31]
	s_mov_b64 s[36:37], 1
	v_cndmask_b32_e64 v2, v2, v10, s[40:41]
	s_mov_b64 s[30:31], 0
	v_cndmask_b32_e64 v3, v3, v11, s[40:41]
	v_cndmask_b32_e32 v1, v1, v11, vcc
	v_cndmask_b32_e32 v0, v0, v10, vcc
	s_mov_b64 vcc, s[42:43]
	s_cbranch_vccnz .LBB12_2056
; %bb.2057:                             ;   in Loop: Header=BB12_2048 Depth=3
	buffer_load_dword v9, off, s[0:3], s33 offset:316 ; 4-byte Folded Reload
	buffer_load_dword v10, off, s[0:3], s33 offset:320 ; 4-byte Folded Reload
	s_waitcnt vmcnt(0)
	v_add_co_u32_e32 v0, vcc, v0, v9
	v_addc_co_u32_e32 v1, vcc, v1, v10, vcc
	v_add_co_u32_e32 v2, vcc, v2, v9
	v_addc_co_u32_e32 v3, vcc, v3, v10, vcc
.LBB12_2058:                            ;   in Loop: Header=BB12_2048 Depth=3
	s_or_b64 exec, exec, s[34:35]
	buffer_load_dword v9, off, s[0:3], s33 offset:316 ; 4-byte Folded Reload
	buffer_load_dword v10, off, s[0:3], s33 offset:320 ; 4-byte Folded Reload
	s_waitcnt vmcnt(0)
	v_add_co_u32_e32 v5, vcc, v5, v9
	v_addc_co_u32_e32 v6, vcc, v6, v10, vcc
	v_add_co_u32_e32 v7, vcc, v7, v9
	buffer_load_dword v9, off, s[0:3], s33 offset:280 ; 4-byte Folded Reload
	v_addc_co_u32_e32 v8, vcc, v8, v10, vcc
	s_waitcnt vmcnt(0)
	v_sub_u32_e32 v4, v4, v9
	v_cmp_lt_i32_e64 s[30:31], 1, v4
	s_and_saveexec_b64 s[42:43], s[30:31]
	s_cbranch_execz .LBB12_2061
; %bb.2059:                             ;   in Loop: Header=BB12_2048 Depth=3
	s_lshr_b32 s9, s33, 6
	s_add_i32 s9, s9, 56
	s_mov_b64 s[36:37], 0
	s_mov_b64 s[34:35], -1
.LBB12_2060:                            ;   Parent Loop BB12_47 Depth=1
                                        ;     Parent Loop BB12_1245 Depth=2
                                        ;       Parent Loop BB12_2048 Depth=3
                                        ; =>      This Inner Loop Header: Depth=4
	s_cmp_eq_u32 s36, 1
	s_cselect_b64 s[40:41], -1, 0
	v_cndmask_b32_e64 v10, v6, v8, s[40:41]
	v_cndmask_b32_e64 v9, v5, v7, s[40:41]
	flat_load_ushort v11, v[9:10] glc slc
	v_add_co_u32_e32 v9, vcc, 0x80, v9
	v_addc_co_u32_e32 v10, vcc, 0, v10, vcc
	s_cmp_eq_u32 s36, 0
	v_mov_b32_e32 v12, s9
	s_cselect_b64 vcc, -1, 0
	s_lshr_b32 s9, s33, 6
	s_add_i32 s9, s9, 58
	v_cndmask_b32_e32 v6, v6, v10, vcc
	v_cndmask_b32_e32 v5, v5, v9, vcc
	v_cndmask_b32_e64 v8, v8, v10, s[40:41]
	v_cndmask_b32_e64 v7, v7, v9, s[40:41]
	s_mov_b64 s[36:37], 1
	s_and_b64 vcc, exec, s[34:35]
	s_mov_b64 s[34:35], 0
	s_waitcnt vmcnt(0) lgkmcnt(0)
	buffer_store_short v11, v12, s[0:3], 0 offen
	s_cbranch_vccnz .LBB12_2060
.LBB12_2061:                            ;   in Loop: Header=BB12_2048 Depth=3
	s_or_b64 exec, exec, s[42:43]
	buffer_load_ushort v9, off, s[0:3], s33 offset:64
	buffer_load_ushort v10, off, s[0:3], s33 offset:96
	s_waitcnt vmcnt(0)
	v_lshlrev_b32_e32 v9, 16, v9
	v_lshlrev_b32_e32 v10, 16, v10
	v_max_f32_e32 v10, v10, v10
	v_max_f32_e32 v9, v9, v9
	v_min_f32_e32 v11, v9, v10
	v_max_f32_e32 v9, v9, v10
	v_cndmask_b32_e64 v9, v9, v11, s[28:29]
	v_and_b32_e32 v10, 0x7f800000, v9
	v_cmp_ne_u32_e32 vcc, s56, v10
                                        ; implicit-def: $vgpr10
	s_and_saveexec_b64 s[40:41], vcc
	s_xor_b64 s[40:41], exec, s[40:41]
; %bb.2062:                             ;   in Loop: Header=BB12_2048 Depth=3
	v_bfe_u32 v10, v9, 16, 1
	v_add3_u32 v10, v9, v10, s57
                                        ; implicit-def: $vgpr9
; %bb.2063:                             ;   in Loop: Header=BB12_2048 Depth=3
	s_andn2_saveexec_b64 s[40:41], s[40:41]
	s_cbranch_execz .LBB12_2065
; %bb.2064:                             ;   in Loop: Header=BB12_2048 Depth=3
	buffer_load_dword v11, off, s[0:3], s33 offset:128 ; 4-byte Folded Reload
	buffer_load_dword v12, off, s[0:3], s33 offset:132 ; 4-byte Folded Reload
	v_or_b32_e32 v10, 0x10000, v9
	s_waitcnt vmcnt(0)
	v_cmp_eq_u32_sdwa vcc, v9, v11 src0_sel:WORD_0 src1_sel:DWORD
	v_cndmask_b32_e32 v10, v10, v9, vcc
.LBB12_2065:                            ;   in Loop: Header=BB12_2048 Depth=3
	s_or_b64 exec, exec, s[40:41]
	v_lshrrev_b32_e32 v9, 16, v10
	s_mov_b64 s[36:37], 0
	s_mov_b64 s[34:35], -1
	buffer_store_short v9, off, s[0:3], s33 offset:64
.LBB12_2066:                            ;   Parent Loop BB12_47 Depth=1
                                        ;     Parent Loop BB12_1245 Depth=2
                                        ;       Parent Loop BB12_2048 Depth=3
                                        ; =>      This Inner Loop Header: Depth=4
	s_cmp_eq_u32 s36, 1
	s_cselect_b64 s[40:41], -1, 0
	v_cndmask_b32_e64 v11, v1, v3, s[40:41]
	v_cndmask_b32_e64 v10, v0, v2, s[40:41]
	flat_store_short v[10:11], v9 glc slc
	v_add_co_u32_e32 v10, vcc, 0x80, v10
	s_cmp_eq_u32 s36, 0
	v_addc_co_u32_e32 v11, vcc, 0, v11, vcc
	s_cselect_b64 vcc, -1, 0
	s_and_b64 s[42:43], exec, s[34:35]
	s_mov_b64 s[36:37], 1
	v_cndmask_b32_e64 v2, v2, v10, s[40:41]
	s_mov_b64 s[34:35], 0
	v_cndmask_b32_e64 v3, v3, v11, s[40:41]
	v_cndmask_b32_e32 v1, v1, v11, vcc
	v_cndmask_b32_e32 v0, v0, v10, vcc
	s_mov_b64 vcc, s[42:43]
	s_cbranch_vccnz .LBB12_2066
; %bb.2067:                             ;   in Loop: Header=BB12_2048 Depth=3
	s_and_saveexec_b64 s[40:41], s[30:31]
	s_cbranch_execz .LBB12_2047
; %bb.2068:                             ;   in Loop: Header=BB12_2048 Depth=3
	buffer_load_dword v9, off, s[0:3], s33 offset:316 ; 4-byte Folded Reload
	buffer_load_dword v10, off, s[0:3], s33 offset:320 ; 4-byte Folded Reload
	s_waitcnt vmcnt(0)
	v_add_co_u32_e32 v0, vcc, v0, v9
	v_addc_co_u32_e32 v1, vcc, v1, v10, vcc
	v_add_co_u32_e32 v2, vcc, v2, v9
	v_addc_co_u32_e32 v3, vcc, v3, v10, vcc
	;; [unrolled: 2-line block ×3, first 2 shown]
	v_add_co_u32_e32 v7, vcc, v7, v9
	buffer_load_dword v9, off, s[0:3], s33 offset:280 ; 4-byte Folded Reload
	v_addc_co_u32_e32 v8, vcc, v8, v10, vcc
	s_waitcnt vmcnt(0)
	v_sub_u32_e32 v4, v4, v9
	s_branch .LBB12_2047
.LBB12_2069:                            ;   in Loop: Header=BB12_1245 Depth=2
	s_or_b64 exec, exec, s[92:93]
	s_and_b64 exec, exec, s[94:95]
	s_cbranch_execz .LBB12_2076
; %bb.2070:                             ;   in Loop: Header=BB12_1245 Depth=2
	buffer_load_ushort v4, off, s[0:3], s33 offset:56
	buffer_load_ushort v5, off, s[0:3], s33 offset:58
	s_waitcnt vmcnt(0)
	v_lshlrev_b32_e32 v4, 16, v4
	v_lshlrev_b32_e32 v5, 16, v5
	v_max_f32_e32 v5, v5, v5
	v_max_f32_e32 v4, v4, v4
	v_min_f32_e32 v6, v4, v5
	v_max_f32_e32 v4, v4, v5
	v_cndmask_b32_e64 v4, v4, v6, s[28:29]
	v_and_b32_e32 v5, 0x7f800000, v4
	v_cmp_ne_u32_e32 vcc, s56, v5
                                        ; implicit-def: $vgpr5
	s_and_saveexec_b64 s[28:29], vcc
	s_xor_b64 s[28:29], exec, s[28:29]
; %bb.2071:                             ;   in Loop: Header=BB12_1245 Depth=2
	v_bfe_u32 v5, v4, 16, 1
	v_add3_u32 v5, v4, v5, s57
                                        ; implicit-def: $vgpr4
; %bb.2072:                             ;   in Loop: Header=BB12_1245 Depth=2
	s_andn2_saveexec_b64 s[28:29], s[28:29]
	s_cbranch_execz .LBB12_2074
; %bb.2073:                             ;   in Loop: Header=BB12_1245 Depth=2
	buffer_load_dword v6, off, s[0:3], s33 offset:128 ; 4-byte Folded Reload
	buffer_load_dword v7, off, s[0:3], s33 offset:132 ; 4-byte Folded Reload
	v_or_b32_e32 v5, 0x10000, v4
	s_waitcnt vmcnt(0)
	v_cmp_eq_u32_sdwa vcc, v4, v6 src0_sel:WORD_0 src1_sel:DWORD
	v_cndmask_b32_e32 v5, v5, v4, vcc
.LBB12_2074:                            ;   in Loop: Header=BB12_1245 Depth=2
	s_or_b64 exec, exec, s[28:29]
	v_lshrrev_b32_e32 v4, 16, v5
	s_mov_b64 s[92:93], 0
	s_mov_b64 s[42:43], -1
.LBB12_2075:                            ;   Parent Loop BB12_47 Depth=1
                                        ;     Parent Loop BB12_1245 Depth=2
                                        ; =>    This Inner Loop Header: Depth=3
	s_cmp_eq_u32 s92, 1
	s_cselect_b64 s[28:29], -1, 0
	v_cndmask_b32_e64 v6, v1, v3, s[28:29]
	v_cndmask_b32_e64 v5, v0, v2, s[28:29]
	flat_store_short v[5:6], v4 glc slc
	v_add_co_u32_e32 v5, vcc, 0x80, v5
	s_cmp_eq_u32 s92, 0
	v_addc_co_u32_e32 v6, vcc, 0, v6, vcc
	s_cselect_b64 vcc, -1, 0
	s_and_b64 s[40:41], exec, s[42:43]
	s_mov_b64 s[92:93], 1
	v_cndmask_b32_e64 v2, v2, v5, s[28:29]
	s_mov_b64 s[42:43], 0
	v_cndmask_b32_e64 v3, v3, v6, s[28:29]
	v_cndmask_b32_e32 v1, v1, v6, vcc
	v_cndmask_b32_e32 v0, v0, v5, vcc
	s_mov_b64 vcc, s[40:41]
	s_cbranch_vccnz .LBB12_2075
.LBB12_2076:                            ;   in Loop: Header=BB12_1245 Depth=2
	s_or_b64 exec, exec, s[44:45]
	s_mov_b64 s[28:29], 0
.LBB12_2077:                            ;   in Loop: Header=BB12_1245 Depth=2
	s_and_b64 vcc, exec, s[28:29]
	s_cbranch_vccz .LBB12_2349
; %bb.2078:                             ;   in Loop: Header=BB12_1245 Depth=2
	s_mov_b64 s[28:29], -1
	s_and_saveexec_b64 s[40:41], s[22:23]
	s_cbranch_execz .LBB12_2080
; %bb.2079:                             ;   in Loop: Header=BB12_1245 Depth=2
	ds_read_b32 v0, v0 offset:720
	s_waitcnt lgkmcnt(0)
	v_and_b32_e32 v0, 15, v0
	v_cmp_eq_u32_e32 vcc, 0, v0
	s_orn2_b64 s[28:29], vcc, exec
.LBB12_2080:                            ;   in Loop: Header=BB12_1245 Depth=2
	s_or_b64 exec, exec, s[40:41]
	s_and_saveexec_b64 s[40:41], s[18:19]
	s_cbranch_execz .LBB12_2082
; %bb.2081:                             ;   in Loop: Header=BB12_1245 Depth=2
	ds_read_b32 v0, v0 offset:784
	s_waitcnt lgkmcnt(0)
	v_and_b32_e32 v0, 15, v0
	v_cmp_eq_u32_e32 vcc, 0, v0
	s_and_b64 s[42:43], s[28:29], vcc
	s_andn2_b64 s[28:29], s[28:29], exec
	s_and_b64 s[42:43], s[42:43], exec
	s_or_b64 s[28:29], s[28:29], s[42:43]
.LBB12_2082:                            ;   in Loop: Header=BB12_1245 Depth=2
	s_or_b64 exec, exec, s[40:41]
	s_xor_b64 s[28:29], s[28:29], -1
	v_cndmask_b32_e64 v0, 0, 1, s[28:29]
	s_mov_b64 s[40:41], -1
	v_cmp_ne_u32_e32 vcc, 0, v0
	s_cbranch_vccz .LBB12_2350
; %bb.2083:                             ;   in Loop: Header=BB12_1245 Depth=2
	s_and_b32 s9, s77, 1
	s_mov_b64 s[44:45], -1
	v_mov_b32_e32 v6, 0
	s_cbranch_execnz .LBB12_2351
.LBB12_2084:                            ;   in Loop: Header=BB12_1245 Depth=2
	v_ashrrev_i32_e32 v0, 31, v50
	v_lshrrev_b32_e32 v0, 20, v0
	v_add_u32_e32 v0, v50, v0
	v_ashrrev_i32_e32 v1, 12, v0
	buffer_load_dword v0, off, s[0:3], s33 offset:488 ; 4-byte Folded Reload
	s_and_b32 s9, s77, 1
	buffer_store_dword v1, off, s[0:3], s33 offset:452 ; 4-byte Folded Spill
	s_mov_b64 s[28:29], 0
                                        ; implicit-def: $vgpr56_vgpr57
                                        ; implicit-def: $vgpr36_vgpr37
                                        ; implicit-def: $vgpr24_vgpr25
                                        ; implicit-def: $vgpr12_vgpr13
	s_waitcnt vmcnt(0)
	v_sub_u32_e32 v2, v1, v0
	buffer_load_dword v0, off, s[0:3], s33 offset:480 ; 4-byte Folded Reload
	s_waitcnt vmcnt(0)
	v_add_co_u32_e32 v0, vcc, v52, v0
	v_addc_co_u32_e32 v1, vcc, 0, v53, vcc
	buffer_store_dword v2, off, s[0:3], s33 offset:240 ; 4-byte Folded Spill
	v_cmp_lt_i32_e32 vcc, 0, v2
                                        ; implicit-def: $vgpr2_vgpr3
	buffer_store_dword v2, off, s[0:3], s33 offset:216 ; 4-byte Folded Spill
	s_nop 0
	buffer_store_dword v3, off, s[0:3], s33 offset:220 ; 4-byte Folded Spill
	buffer_store_dword v4, off, s[0:3], s33 offset:224 ; 4-byte Folded Spill
	buffer_store_dword v5, off, s[0:3], s33 offset:228 ; 4-byte Folded Spill
                                        ; implicit-def: $vgpr2_vgpr3
	buffer_store_dword v2, off, s[0:3], s33 offset:200 ; 4-byte Folded Spill
	s_nop 0
	buffer_store_dword v3, off, s[0:3], s33 offset:204 ; 4-byte Folded Spill
	buffer_store_dword v4, off, s[0:3], s33 offset:208 ; 4-byte Folded Spill
	buffer_store_dword v5, off, s[0:3], s33 offset:212 ; 4-byte Folded Spill
	;; [unrolled: 6-line block ×4, first 2 shown]
	s_and_saveexec_b64 s[40:41], vcc
	s_cbranch_execz .LBB12_2353
; %bb.2085:                             ;   in Loop: Header=BB12_1245 Depth=2
	buffer_store_dword v50, off, s[0:3], s33 offset:544 ; 4-byte Folded Spill
	buffer_store_dword v52, off, s[0:3], s33 offset:536 ; 4-byte Folded Spill
	s_nop 0
	buffer_store_dword v53, off, s[0:3], s33 offset:540 ; 4-byte Folded Spill
	buffer_store_dword v54, off, s[0:3], s33 offset:572 ; 4-byte Folded Spill
	;; [unrolled: 1-line block ×3, first 2 shown]
	s_nop 0
	buffer_store_dword v52, off, s[0:3], s33 offset:520 ; 4-byte Folded Spill
	buffer_store_dword v49, off, s[0:3], s33 offset:508 ; 4-byte Folded Spill
	s_nop 0
	buffer_store_dword v50, off, s[0:3], s33 offset:512 ; 4-byte Folded Spill
	s_trap 2
	buffer_load_dword v4, off, s[0:3], s33 offset:480 ; 4-byte Folded Reload
	ds_read_b64 v[2:3], v0
	s_and_b32 s28, 0xffff, s9
	s_cmp_eq_u32 s28, 0
	s_mov_b64 s[94:95], 0
	s_mov_b64 s[42:43], 0
	s_cselect_b64 s[28:29], -1, 0
                                        ; implicit-def: $sgpr92_sgpr93
                                        ; implicit-def: $vgpr56_vgpr57
                                        ; implicit-def: $vgpr36_vgpr37
                                        ; implicit-def: $vgpr24_vgpr25
                                        ; implicit-def: $vgpr12_vgpr13
	s_waitcnt vmcnt(0) lgkmcnt(0)
	v_add_co_u32_e32 v10, vcc, v2, v4
	v_addc_co_u32_e32 v11, vcc, 0, v3, vcc
	buffer_load_dword v2, off, s[0:3], s33 offset:500 ; 4-byte Folded Reload
	buffer_load_dword v3, off, s[0:3], s33 offset:504 ; 4-byte Folded Reload
	s_waitcnt vmcnt(1)
	v_add_co_u32_e32 v20, vcc, v2, v4
	s_waitcnt vmcnt(0)
	v_addc_co_u32_e32 v21, vcc, 0, v3, vcc
                                        ; implicit-def: $vgpr2_vgpr3
	buffer_store_dword v2, off, s[0:3], s33 offset:216 ; 4-byte Folded Spill
	s_nop 0
	buffer_store_dword v3, off, s[0:3], s33 offset:220 ; 4-byte Folded Spill
	buffer_store_dword v4, off, s[0:3], s33 offset:224 ; 4-byte Folded Spill
	buffer_store_dword v5, off, s[0:3], s33 offset:228 ; 4-byte Folded Spill
                                        ; implicit-def: $vgpr2_vgpr3
	buffer_store_dword v2, off, s[0:3], s33 offset:200 ; 4-byte Folded Spill
	s_nop 0
	buffer_store_dword v3, off, s[0:3], s33 offset:204 ; 4-byte Folded Spill
	buffer_store_dword v4, off, s[0:3], s33 offset:208 ; 4-byte Folded Spill
	buffer_store_dword v5, off, s[0:3], s33 offset:212 ; 4-byte Folded Spill
	;; [unrolled: 6-line block ×4, first 2 shown]
	s_branch .LBB12_2087
.LBB12_2086:                            ;   in Loop: Header=BB12_2087 Depth=3
	s_or_b64 exec, exec, s[30:31]
	buffer_load_dword v2, off, s[0:3], s33 offset:240 ; 4-byte Folded Reload
	s_waitcnt vmcnt(0)
	v_cmp_gt_i32_e32 vcc, 1, v2
	s_or_b64 s[42:43], vcc, s[42:43]
	s_andn2_b64 s[92:93], s[92:93], exec
	s_and_b64 vcc, s[94:95], exec
	s_or_b64 s[92:93], s[92:93], vcc
	s_andn2_b64 exec, exec, s[42:43]
	s_cbranch_execz .LBB12_2352
.LBB12_2087:                            ;   Parent Loop BB12_47 Depth=1
                                        ;     Parent Loop BB12_1245 Depth=2
                                        ; =>    This Inner Loop Header: Depth=3
	global_load_dwordx4 v[6:9], v[20:21], off glc slc
	global_load_dwordx4 v[2:5], v[20:21], off offset:1024 glc slc
	global_load_dwordx4 v[40:43], v[20:21], off offset:2048 glc slc
	global_load_dwordx4 v[48:51], v[20:21], off offset:3072 glc slc
	global_load_dwordx4 v[16:19], v[10:11], off glc slc
	global_load_dwordx4 v[28:31], v[10:11], off offset:1024 glc slc
	global_load_dwordx4 v[44:47], v[10:11], off offset:2048 glc slc
	;; [unrolled: 1-line block ×3, first 2 shown]
	s_and_saveexec_b64 s[30:31], s[94:95]
	s_cbranch_execz .LBB12_2217
; %bb.2088:                             ;   in Loop: Header=BB12_2087 Depth=3
	buffer_load_dword v32, off, s[0:3], s33 offset:216 ; 4-byte Folded Reload
	buffer_load_dword v33, off, s[0:3], s33 offset:220 ; 4-byte Folded Reload
	;; [unrolled: 1-line block ×4, first 2 shown]
	v_lshlrev_b32_e32 v22, 16, v56
	v_max_f32_e32 v22, v22, v22
	s_waitcnt vmcnt(3)
	v_lshlrev_b32_e32 v23, 16, v32
	v_max_f32_e32 v23, v23, v23
	v_min_f32_e32 v32, v22, v23
	v_max_f32_e32 v22, v22, v23
	v_cndmask_b32_e64 v22, v22, v32, s[28:29]
	v_and_b32_e32 v23, 0x7f800000, v22
	v_cmp_ne_u32_e32 vcc, s56, v23
                                        ; implicit-def: $vgpr23
                                        ; kill: killed $vgpr23
	s_and_saveexec_b64 s[94:95], vcc
	s_xor_b64 s[94:95], exec, s[94:95]
	s_cbranch_execz .LBB12_2090
; %bb.2089:                             ;   in Loop: Header=BB12_2087 Depth=3
	v_bfe_u32 v23, v22, 16, 1
	v_add3_u32 v22, v22, v23, s57
	buffer_store_dword v22, off, s[0:3], s33 offset:284 ; 4-byte Folded Spill
                                        ; implicit-def: $vgpr22
.LBB12_2090:                            ;   in Loop: Header=BB12_2087 Depth=3
	s_andn2_saveexec_b64 s[94:95], s[94:95]
	s_cbranch_execz .LBB12_2092
; %bb.2091:                             ;   in Loop: Header=BB12_2087 Depth=3
	buffer_load_dword v32, off, s[0:3], s33 offset:128 ; 4-byte Folded Reload
	buffer_load_dword v33, off, s[0:3], s33 offset:132 ; 4-byte Folded Reload
	v_or_b32_e32 v23, 0x10000, v22
	s_waitcnt vmcnt(1)
	v_cmp_eq_u32_sdwa vcc, v22, v32 src0_sel:WORD_0 src1_sel:DWORD
	v_cndmask_b32_e32 v22, v23, v22, vcc
	buffer_store_dword v22, off, s[0:3], s33 offset:284 ; 4-byte Folded Spill
.LBB12_2092:                            ;   in Loop: Header=BB12_2087 Depth=3
	s_or_b64 exec, exec, s[94:95]
	buffer_load_dword v32, off, s[0:3], s33 offset:216 ; 4-byte Folded Reload
	buffer_load_dword v33, off, s[0:3], s33 offset:220 ; 4-byte Folded Reload
	;; [unrolled: 1-line block ×4, first 2 shown]
	v_and_b32_e32 v22, 0xffff0000, v56
	v_max_f32_e32 v22, v22, v22
	s_waitcnt vmcnt(3)
	v_and_b32_e32 v23, 0xffff0000, v32
	v_max_f32_e32 v23, v23, v23
	v_min_f32_e32 v32, v22, v23
	v_max_f32_e32 v22, v22, v23
	v_cndmask_b32_e64 v22, v22, v32, s[28:29]
	v_and_b32_e32 v23, 0x7f800000, v22
	v_cmp_ne_u32_e32 vcc, s56, v23
                                        ; implicit-def: $vgpr23
                                        ; kill: killed $vgpr23
	s_and_saveexec_b64 s[94:95], vcc
	s_xor_b64 s[94:95], exec, s[94:95]
	s_cbranch_execz .LBB12_2094
; %bb.2093:                             ;   in Loop: Header=BB12_2087 Depth=3
	v_bfe_u32 v23, v22, 16, 1
	v_add3_u32 v22, v22, v23, s57
	buffer_store_dword v22, off, s[0:3], s33 offset:292 ; 4-byte Folded Spill
                                        ; implicit-def: $vgpr22
.LBB12_2094:                            ;   in Loop: Header=BB12_2087 Depth=3
	s_andn2_saveexec_b64 s[94:95], s[94:95]
	s_cbranch_execz .LBB12_2096
; %bb.2095:                             ;   in Loop: Header=BB12_2087 Depth=3
	buffer_load_dword v32, off, s[0:3], s33 offset:128 ; 4-byte Folded Reload
	buffer_load_dword v33, off, s[0:3], s33 offset:132 ; 4-byte Folded Reload
	v_or_b32_e32 v23, 0x10000, v22
	s_waitcnt vmcnt(1)
	v_cmp_eq_u32_sdwa vcc, v22, v32 src0_sel:WORD_0 src1_sel:DWORD
	v_cndmask_b32_e32 v22, v23, v22, vcc
	buffer_store_dword v22, off, s[0:3], s33 offset:292 ; 4-byte Folded Spill
.LBB12_2096:                            ;   in Loop: Header=BB12_2087 Depth=3
	s_or_b64 exec, exec, s[94:95]
	buffer_load_dword v32, off, s[0:3], s33 offset:216 ; 4-byte Folded Reload
	buffer_load_dword v33, off, s[0:3], s33 offset:220 ; 4-byte Folded Reload
	;; [unrolled: 1-line block ×4, first 2 shown]
	v_lshlrev_b32_e32 v22, 16, v57
	v_max_f32_e32 v22, v22, v22
	s_waitcnt vmcnt(2)
	v_lshlrev_b32_e32 v23, 16, v33
	v_max_f32_e32 v23, v23, v23
	v_min_f32_e32 v32, v22, v23
	v_max_f32_e32 v22, v22, v23
	v_cndmask_b32_e64 v22, v22, v32, s[28:29]
	v_and_b32_e32 v23, 0x7f800000, v22
	v_cmp_ne_u32_e32 vcc, s56, v23
                                        ; implicit-def: $vgpr23
                                        ; kill: killed $vgpr23
	s_and_saveexec_b64 s[94:95], vcc
	s_xor_b64 s[94:95], exec, s[94:95]
	s_cbranch_execz .LBB12_2098
; %bb.2097:                             ;   in Loop: Header=BB12_2087 Depth=3
	v_bfe_u32 v23, v22, 16, 1
	v_add3_u32 v22, v22, v23, s57
	buffer_store_dword v22, off, s[0:3], s33 offset:300 ; 4-byte Folded Spill
                                        ; implicit-def: $vgpr22
.LBB12_2098:                            ;   in Loop: Header=BB12_2087 Depth=3
	s_andn2_saveexec_b64 s[94:95], s[94:95]
	s_cbranch_execz .LBB12_2100
; %bb.2099:                             ;   in Loop: Header=BB12_2087 Depth=3
	buffer_load_dword v32, off, s[0:3], s33 offset:128 ; 4-byte Folded Reload
	buffer_load_dword v33, off, s[0:3], s33 offset:132 ; 4-byte Folded Reload
	v_or_b32_e32 v23, 0x10000, v22
	s_waitcnt vmcnt(1)
	v_cmp_eq_u32_sdwa vcc, v22, v32 src0_sel:WORD_0 src1_sel:DWORD
	v_cndmask_b32_e32 v22, v23, v22, vcc
	buffer_store_dword v22, off, s[0:3], s33 offset:300 ; 4-byte Folded Spill
.LBB12_2100:                            ;   in Loop: Header=BB12_2087 Depth=3
	s_or_b64 exec, exec, s[94:95]
	buffer_load_dword v32, off, s[0:3], s33 offset:216 ; 4-byte Folded Reload
	buffer_load_dword v33, off, s[0:3], s33 offset:220 ; 4-byte Folded Reload
	buffer_load_dword v34, off, s[0:3], s33 offset:224 ; 4-byte Folded Reload
	buffer_load_dword v35, off, s[0:3], s33 offset:228 ; 4-byte Folded Reload
	v_and_b32_e32 v22, 0xffff0000, v57
	v_max_f32_e32 v22, v22, v22
	s_waitcnt vmcnt(2)
	v_and_b32_e32 v23, 0xffff0000, v33
	v_max_f32_e32 v23, v23, v23
	v_min_f32_e32 v32, v22, v23
	v_max_f32_e32 v22, v22, v23
	v_cndmask_b32_e64 v22, v22, v32, s[28:29]
	v_and_b32_e32 v23, 0x7f800000, v22
	v_cmp_ne_u32_e32 vcc, s56, v23
                                        ; implicit-def: $vgpr23
                                        ; kill: killed $vgpr23
	s_and_saveexec_b64 s[94:95], vcc
	s_xor_b64 s[94:95], exec, s[94:95]
	s_cbranch_execz .LBB12_2102
; %bb.2101:                             ;   in Loop: Header=BB12_2087 Depth=3
	v_bfe_u32 v23, v22, 16, 1
	v_add3_u32 v22, v22, v23, s57
	buffer_store_dword v22, off, s[0:3], s33 offset:308 ; 4-byte Folded Spill
                                        ; implicit-def: $vgpr22
.LBB12_2102:                            ;   in Loop: Header=BB12_2087 Depth=3
	s_andn2_saveexec_b64 s[94:95], s[94:95]
	s_cbranch_execz .LBB12_2104
; %bb.2103:                             ;   in Loop: Header=BB12_2087 Depth=3
	buffer_load_dword v32, off, s[0:3], s33 offset:128 ; 4-byte Folded Reload
	buffer_load_dword v33, off, s[0:3], s33 offset:132 ; 4-byte Folded Reload
	v_or_b32_e32 v23, 0x10000, v22
	s_waitcnt vmcnt(1)
	v_cmp_eq_u32_sdwa vcc, v22, v32 src0_sel:WORD_0 src1_sel:DWORD
	v_cndmask_b32_e32 v22, v23, v22, vcc
	buffer_store_dword v22, off, s[0:3], s33 offset:308 ; 4-byte Folded Spill
.LBB12_2104:                            ;   in Loop: Header=BB12_2087 Depth=3
	s_or_b64 exec, exec, s[94:95]
	buffer_load_dword v32, off, s[0:3], s33 offset:216 ; 4-byte Folded Reload
	buffer_load_dword v33, off, s[0:3], s33 offset:220 ; 4-byte Folded Reload
	;; [unrolled: 1-line block ×4, first 2 shown]
	v_lshlrev_b32_e32 v22, 16, v58
	v_max_f32_e32 v22, v22, v22
	s_waitcnt vmcnt(1)
	v_lshlrev_b32_e32 v23, 16, v34
	v_max_f32_e32 v23, v23, v23
	v_min_f32_e32 v32, v22, v23
	v_max_f32_e32 v22, v22, v23
	v_cndmask_b32_e64 v22, v22, v32, s[28:29]
	v_and_b32_e32 v23, 0x7f800000, v22
	v_cmp_ne_u32_e32 vcc, s56, v23
                                        ; implicit-def: $vgpr23
                                        ; kill: killed $vgpr23
	s_and_saveexec_b64 s[94:95], vcc
	s_xor_b64 s[94:95], exec, s[94:95]
	s_cbranch_execz .LBB12_2106
; %bb.2105:                             ;   in Loop: Header=BB12_2087 Depth=3
	v_bfe_u32 v23, v22, 16, 1
	v_add3_u32 v22, v22, v23, s57
	buffer_store_dword v22, off, s[0:3], s33 offset:352 ; 4-byte Folded Spill
                                        ; implicit-def: $vgpr22
.LBB12_2106:                            ;   in Loop: Header=BB12_2087 Depth=3
	s_andn2_saveexec_b64 s[94:95], s[94:95]
	s_cbranch_execz .LBB12_2108
; %bb.2107:                             ;   in Loop: Header=BB12_2087 Depth=3
	buffer_load_dword v32, off, s[0:3], s33 offset:128 ; 4-byte Folded Reload
	buffer_load_dword v33, off, s[0:3], s33 offset:132 ; 4-byte Folded Reload
	v_or_b32_e32 v23, 0x10000, v22
	s_waitcnt vmcnt(1)
	v_cmp_eq_u32_sdwa vcc, v22, v32 src0_sel:WORD_0 src1_sel:DWORD
	v_cndmask_b32_e32 v22, v23, v22, vcc
	buffer_store_dword v22, off, s[0:3], s33 offset:352 ; 4-byte Folded Spill
.LBB12_2108:                            ;   in Loop: Header=BB12_2087 Depth=3
	s_or_b64 exec, exec, s[94:95]
	buffer_load_dword v32, off, s[0:3], s33 offset:216 ; 4-byte Folded Reload
	buffer_load_dword v33, off, s[0:3], s33 offset:220 ; 4-byte Folded Reload
	;; [unrolled: 1-line block ×4, first 2 shown]
	v_and_b32_e32 v22, 0xffff0000, v58
	v_max_f32_e32 v22, v22, v22
	s_waitcnt vmcnt(1)
	v_and_b32_e32 v23, 0xffff0000, v34
	v_max_f32_e32 v23, v23, v23
	v_min_f32_e32 v32, v22, v23
	v_max_f32_e32 v22, v22, v23
	v_cndmask_b32_e64 v22, v22, v32, s[28:29]
	v_and_b32_e32 v23, 0x7f800000, v22
	v_cmp_ne_u32_e32 vcc, s56, v23
                                        ; implicit-def: $vgpr23
                                        ; kill: killed $vgpr23
	s_and_saveexec_b64 s[94:95], vcc
	s_xor_b64 s[94:95], exec, s[94:95]
	s_cbranch_execz .LBB12_2110
; %bb.2109:                             ;   in Loop: Header=BB12_2087 Depth=3
	v_bfe_u32 v23, v22, 16, 1
	v_add3_u32 v22, v22, v23, s57
	buffer_store_dword v22, off, s[0:3], s33 offset:360 ; 4-byte Folded Spill
                                        ; implicit-def: $vgpr22
.LBB12_2110:                            ;   in Loop: Header=BB12_2087 Depth=3
	s_andn2_saveexec_b64 s[94:95], s[94:95]
	s_cbranch_execz .LBB12_2112
; %bb.2111:                             ;   in Loop: Header=BB12_2087 Depth=3
	buffer_load_dword v32, off, s[0:3], s33 offset:128 ; 4-byte Folded Reload
	buffer_load_dword v33, off, s[0:3], s33 offset:132 ; 4-byte Folded Reload
	v_or_b32_e32 v23, 0x10000, v22
	s_waitcnt vmcnt(1)
	v_cmp_eq_u32_sdwa vcc, v22, v32 src0_sel:WORD_0 src1_sel:DWORD
	v_cndmask_b32_e32 v22, v23, v22, vcc
	buffer_store_dword v22, off, s[0:3], s33 offset:360 ; 4-byte Folded Spill
.LBB12_2112:                            ;   in Loop: Header=BB12_2087 Depth=3
	s_or_b64 exec, exec, s[94:95]
	buffer_load_dword v32, off, s[0:3], s33 offset:216 ; 4-byte Folded Reload
	buffer_load_dword v33, off, s[0:3], s33 offset:220 ; 4-byte Folded Reload
	;; [unrolled: 1-line block ×4, first 2 shown]
	v_lshlrev_b32_e32 v22, 16, v59
	v_max_f32_e32 v22, v22, v22
	s_waitcnt vmcnt(0)
	v_lshlrev_b32_e32 v23, 16, v35
	v_max_f32_e32 v23, v23, v23
	v_min_f32_e32 v32, v22, v23
	v_max_f32_e32 v22, v22, v23
	v_cndmask_b32_e64 v22, v22, v32, s[28:29]
	v_and_b32_e32 v23, 0x7f800000, v22
	v_cmp_ne_u32_e32 vcc, s56, v23
                                        ; implicit-def: $vgpr23
                                        ; kill: killed $vgpr23
	s_and_saveexec_b64 s[94:95], vcc
	s_xor_b64 s[94:95], exec, s[94:95]
	s_cbranch_execz .LBB12_2114
; %bb.2113:                             ;   in Loop: Header=BB12_2087 Depth=3
	v_bfe_u32 v23, v22, 16, 1
	v_add3_u32 v22, v22, v23, s57
	buffer_store_dword v22, off, s[0:3], s33 offset:368 ; 4-byte Folded Spill
                                        ; implicit-def: $vgpr22
.LBB12_2114:                            ;   in Loop: Header=BB12_2087 Depth=3
	s_andn2_saveexec_b64 s[94:95], s[94:95]
	s_cbranch_execz .LBB12_2116
; %bb.2115:                             ;   in Loop: Header=BB12_2087 Depth=3
	buffer_load_dword v32, off, s[0:3], s33 offset:128 ; 4-byte Folded Reload
	buffer_load_dword v33, off, s[0:3], s33 offset:132 ; 4-byte Folded Reload
	v_or_b32_e32 v23, 0x10000, v22
	s_waitcnt vmcnt(1)
	v_cmp_eq_u32_sdwa vcc, v22, v32 src0_sel:WORD_0 src1_sel:DWORD
	v_cndmask_b32_e32 v22, v23, v22, vcc
	buffer_store_dword v22, off, s[0:3], s33 offset:368 ; 4-byte Folded Spill
.LBB12_2116:                            ;   in Loop: Header=BB12_2087 Depth=3
	s_or_b64 exec, exec, s[94:95]
	buffer_load_dword v32, off, s[0:3], s33 offset:216 ; 4-byte Folded Reload
	buffer_load_dword v33, off, s[0:3], s33 offset:220 ; 4-byte Folded Reload
	;; [unrolled: 1-line block ×4, first 2 shown]
	v_and_b32_e32 v22, 0xffff0000, v59
	v_max_f32_e32 v22, v22, v22
	s_waitcnt vmcnt(0)
	v_and_b32_e32 v23, 0xffff0000, v35
	v_max_f32_e32 v23, v23, v23
	v_min_f32_e32 v32, v22, v23
	v_max_f32_e32 v22, v22, v23
	v_cndmask_b32_e64 v22, v22, v32, s[28:29]
	v_and_b32_e32 v23, 0x7f800000, v22
	v_cmp_ne_u32_e32 vcc, s56, v23
                                        ; implicit-def: $vgpr23
                                        ; kill: killed $vgpr23
	s_and_saveexec_b64 s[94:95], vcc
	s_xor_b64 s[94:95], exec, s[94:95]
	s_cbranch_execz .LBB12_2118
; %bb.2117:                             ;   in Loop: Header=BB12_2087 Depth=3
	v_bfe_u32 v23, v22, 16, 1
	v_add3_u32 v22, v22, v23, s57
	buffer_store_dword v22, off, s[0:3], s33 offset:376 ; 4-byte Folded Spill
                                        ; implicit-def: $vgpr22
.LBB12_2118:                            ;   in Loop: Header=BB12_2087 Depth=3
	s_andn2_saveexec_b64 s[94:95], s[94:95]
	s_cbranch_execz .LBB12_2120
; %bb.2119:                             ;   in Loop: Header=BB12_2087 Depth=3
	buffer_load_dword v32, off, s[0:3], s33 offset:128 ; 4-byte Folded Reload
	buffer_load_dword v33, off, s[0:3], s33 offset:132 ; 4-byte Folded Reload
	v_or_b32_e32 v23, 0x10000, v22
	s_waitcnt vmcnt(1)
	v_cmp_eq_u32_sdwa vcc, v22, v32 src0_sel:WORD_0 src1_sel:DWORD
	v_cndmask_b32_e32 v22, v23, v22, vcc
	buffer_store_dword v22, off, s[0:3], s33 offset:376 ; 4-byte Folded Spill
.LBB12_2120:                            ;   in Loop: Header=BB12_2087 Depth=3
	s_or_b64 exec, exec, s[94:95]
	buffer_load_dword v32, off, s[0:3], s33 offset:200 ; 4-byte Folded Reload
	buffer_load_dword v33, off, s[0:3], s33 offset:204 ; 4-byte Folded Reload
	;; [unrolled: 1-line block ×4, first 2 shown]
	v_lshlrev_b32_e32 v22, 16, v36
	v_max_f32_e32 v22, v22, v22
	s_waitcnt vmcnt(3)
	v_lshlrev_b32_e32 v23, 16, v32
	v_max_f32_e32 v23, v23, v23
	v_min_f32_e32 v32, v22, v23
	v_max_f32_e32 v22, v22, v23
	v_cndmask_b32_e64 v22, v22, v32, s[28:29]
	v_and_b32_e32 v23, 0x7f800000, v22
	v_cmp_ne_u32_e32 vcc, s56, v23
                                        ; implicit-def: $vgpr23
                                        ; kill: killed $vgpr23
	s_and_saveexec_b64 s[94:95], vcc
	s_xor_b64 s[94:95], exec, s[94:95]
	s_cbranch_execz .LBB12_2122
; %bb.2121:                             ;   in Loop: Header=BB12_2087 Depth=3
	v_bfe_u32 v23, v22, 16, 1
	v_add3_u32 v22, v22, v23, s57
	buffer_store_dword v22, off, s[0:3], s33 offset:380 ; 4-byte Folded Spill
                                        ; implicit-def: $vgpr22
.LBB12_2122:                            ;   in Loop: Header=BB12_2087 Depth=3
	s_andn2_saveexec_b64 s[94:95], s[94:95]
	s_cbranch_execz .LBB12_2124
; %bb.2123:                             ;   in Loop: Header=BB12_2087 Depth=3
	buffer_load_dword v32, off, s[0:3], s33 offset:128 ; 4-byte Folded Reload
	buffer_load_dword v33, off, s[0:3], s33 offset:132 ; 4-byte Folded Reload
	v_or_b32_e32 v23, 0x10000, v22
	s_waitcnt vmcnt(1)
	v_cmp_eq_u32_sdwa vcc, v22, v32 src0_sel:WORD_0 src1_sel:DWORD
	v_cndmask_b32_e32 v22, v23, v22, vcc
	buffer_store_dword v22, off, s[0:3], s33 offset:380 ; 4-byte Folded Spill
.LBB12_2124:                            ;   in Loop: Header=BB12_2087 Depth=3
	s_or_b64 exec, exec, s[94:95]
	buffer_load_dword v32, off, s[0:3], s33 offset:200 ; 4-byte Folded Reload
	buffer_load_dword v33, off, s[0:3], s33 offset:204 ; 4-byte Folded Reload
	;; [unrolled: 1-line block ×4, first 2 shown]
	v_and_b32_e32 v22, 0xffff0000, v36
	v_max_f32_e32 v22, v22, v22
	s_waitcnt vmcnt(3)
	v_and_b32_e32 v23, 0xffff0000, v32
	v_max_f32_e32 v23, v23, v23
	v_min_f32_e32 v32, v22, v23
	v_max_f32_e32 v22, v22, v23
	v_cndmask_b32_e64 v22, v22, v32, s[28:29]
	v_and_b32_e32 v23, 0x7f800000, v22
	v_cmp_ne_u32_e32 vcc, s56, v23
                                        ; implicit-def: $vgpr23
                                        ; kill: killed $vgpr23
	s_and_saveexec_b64 s[94:95], vcc
	s_xor_b64 s[94:95], exec, s[94:95]
	s_cbranch_execz .LBB12_2126
; %bb.2125:                             ;   in Loop: Header=BB12_2087 Depth=3
	v_bfe_u32 v23, v22, 16, 1
	v_add3_u32 v22, v22, v23, s57
	buffer_store_dword v22, off, s[0:3], s33 offset:384 ; 4-byte Folded Spill
                                        ; implicit-def: $vgpr22
.LBB12_2126:                            ;   in Loop: Header=BB12_2087 Depth=3
	s_andn2_saveexec_b64 s[94:95], s[94:95]
	s_cbranch_execz .LBB12_2128
; %bb.2127:                             ;   in Loop: Header=BB12_2087 Depth=3
	buffer_load_dword v32, off, s[0:3], s33 offset:128 ; 4-byte Folded Reload
	buffer_load_dword v33, off, s[0:3], s33 offset:132 ; 4-byte Folded Reload
	v_or_b32_e32 v23, 0x10000, v22
	s_waitcnt vmcnt(1)
	v_cmp_eq_u32_sdwa vcc, v22, v32 src0_sel:WORD_0 src1_sel:DWORD
	v_cndmask_b32_e32 v22, v23, v22, vcc
	buffer_store_dword v22, off, s[0:3], s33 offset:384 ; 4-byte Folded Spill
.LBB12_2128:                            ;   in Loop: Header=BB12_2087 Depth=3
	s_or_b64 exec, exec, s[94:95]
	buffer_load_dword v32, off, s[0:3], s33 offset:200 ; 4-byte Folded Reload
	buffer_load_dword v33, off, s[0:3], s33 offset:204 ; 4-byte Folded Reload
	;; [unrolled: 1-line block ×4, first 2 shown]
	v_lshlrev_b32_e32 v22, 16, v37
	v_max_f32_e32 v22, v22, v22
	s_waitcnt vmcnt(2)
	v_lshlrev_b32_e32 v23, 16, v33
	v_max_f32_e32 v23, v23, v23
	v_min_f32_e32 v32, v22, v23
	v_max_f32_e32 v22, v22, v23
	v_cndmask_b32_e64 v22, v22, v32, s[28:29]
	v_and_b32_e32 v23, 0x7f800000, v22
	v_cmp_ne_u32_e32 vcc, s56, v23
                                        ; implicit-def: $vgpr23
                                        ; kill: killed $vgpr23
	s_and_saveexec_b64 s[94:95], vcc
	s_xor_b64 s[94:95], exec, s[94:95]
	s_cbranch_execz .LBB12_2130
; %bb.2129:                             ;   in Loop: Header=BB12_2087 Depth=3
	v_bfe_u32 v23, v22, 16, 1
	v_add3_u32 v22, v22, v23, s57
	buffer_store_dword v22, off, s[0:3], s33 offset:388 ; 4-byte Folded Spill
                                        ; implicit-def: $vgpr22
.LBB12_2130:                            ;   in Loop: Header=BB12_2087 Depth=3
	s_andn2_saveexec_b64 s[94:95], s[94:95]
	s_cbranch_execz .LBB12_2132
; %bb.2131:                             ;   in Loop: Header=BB12_2087 Depth=3
	buffer_load_dword v32, off, s[0:3], s33 offset:128 ; 4-byte Folded Reload
	buffer_load_dword v33, off, s[0:3], s33 offset:132 ; 4-byte Folded Reload
	v_or_b32_e32 v23, 0x10000, v22
	s_waitcnt vmcnt(1)
	v_cmp_eq_u32_sdwa vcc, v22, v32 src0_sel:WORD_0 src1_sel:DWORD
	v_cndmask_b32_e32 v22, v23, v22, vcc
	buffer_store_dword v22, off, s[0:3], s33 offset:388 ; 4-byte Folded Spill
.LBB12_2132:                            ;   in Loop: Header=BB12_2087 Depth=3
	s_or_b64 exec, exec, s[94:95]
	buffer_load_dword v32, off, s[0:3], s33 offset:200 ; 4-byte Folded Reload
	buffer_load_dword v33, off, s[0:3], s33 offset:204 ; 4-byte Folded Reload
	;; [unrolled: 1-line block ×4, first 2 shown]
	v_and_b32_e32 v22, 0xffff0000, v37
	v_max_f32_e32 v22, v22, v22
                                        ; implicit-def: $vgpr37
	s_waitcnt vmcnt(2)
	v_and_b32_e32 v23, 0xffff0000, v33
	v_max_f32_e32 v23, v23, v23
	v_min_f32_e32 v32, v22, v23
	v_max_f32_e32 v22, v22, v23
	v_cndmask_b32_e64 v22, v22, v32, s[28:29]
	v_and_b32_e32 v23, 0x7f800000, v22
	v_cmp_ne_u32_e32 vcc, s56, v23
	s_and_saveexec_b64 s[94:95], vcc
	s_xor_b64 s[94:95], exec, s[94:95]
; %bb.2133:                             ;   in Loop: Header=BB12_2087 Depth=3
	v_bfe_u32 v23, v22, 16, 1
	v_add3_u32 v37, v22, v23, s57
                                        ; implicit-def: $vgpr22
; %bb.2134:                             ;   in Loop: Header=BB12_2087 Depth=3
	s_andn2_saveexec_b64 s[94:95], s[94:95]
	s_cbranch_execz .LBB12_2136
; %bb.2135:                             ;   in Loop: Header=BB12_2087 Depth=3
	buffer_load_dword v32, off, s[0:3], s33 offset:128 ; 4-byte Folded Reload
	buffer_load_dword v33, off, s[0:3], s33 offset:132 ; 4-byte Folded Reload
	v_or_b32_e32 v23, 0x10000, v22
	s_waitcnt vmcnt(1)
	v_cmp_eq_u32_sdwa vcc, v22, v32 src0_sel:WORD_0 src1_sel:DWORD
	v_cndmask_b32_e32 v37, v23, v22, vcc
.LBB12_2136:                            ;   in Loop: Header=BB12_2087 Depth=3
	s_or_b64 exec, exec, s[94:95]
	buffer_load_dword v32, off, s[0:3], s33 offset:200 ; 4-byte Folded Reload
	buffer_load_dword v33, off, s[0:3], s33 offset:204 ; 4-byte Folded Reload
	;; [unrolled: 1-line block ×4, first 2 shown]
	v_lshlrev_b32_e32 v22, 16, v38
	v_max_f32_e32 v22, v22, v22
	s_waitcnt vmcnt(1)
	v_lshlrev_b32_e32 v23, 16, v34
	v_max_f32_e32 v23, v23, v23
	v_min_f32_e32 v32, v22, v23
	v_max_f32_e32 v22, v22, v23
	v_cndmask_b32_e64 v22, v22, v32, s[28:29]
	v_and_b32_e32 v23, 0x7f800000, v22
	v_cmp_ne_u32_e32 vcc, s56, v23
                                        ; implicit-def: $vgpr23
                                        ; kill: killed $vgpr23
	s_and_saveexec_b64 s[94:95], vcc
	s_xor_b64 s[94:95], exec, s[94:95]
	s_cbranch_execz .LBB12_2138
; %bb.2137:                             ;   in Loop: Header=BB12_2087 Depth=3
	v_bfe_u32 v23, v22, 16, 1
	v_add3_u32 v22, v22, v23, s57
	buffer_store_dword v22, off, s[0:3], s33 offset:392 ; 4-byte Folded Spill
                                        ; implicit-def: $vgpr22
.LBB12_2138:                            ;   in Loop: Header=BB12_2087 Depth=3
	s_andn2_saveexec_b64 s[94:95], s[94:95]
	s_cbranch_execz .LBB12_2140
; %bb.2139:                             ;   in Loop: Header=BB12_2087 Depth=3
	buffer_load_dword v32, off, s[0:3], s33 offset:128 ; 4-byte Folded Reload
	buffer_load_dword v33, off, s[0:3], s33 offset:132 ; 4-byte Folded Reload
	v_or_b32_e32 v23, 0x10000, v22
	s_waitcnt vmcnt(1)
	v_cmp_eq_u32_sdwa vcc, v22, v32 src0_sel:WORD_0 src1_sel:DWORD
	v_cndmask_b32_e32 v22, v23, v22, vcc
	buffer_store_dword v22, off, s[0:3], s33 offset:392 ; 4-byte Folded Spill
.LBB12_2140:                            ;   in Loop: Header=BB12_2087 Depth=3
	s_or_b64 exec, exec, s[94:95]
	buffer_load_dword v32, off, s[0:3], s33 offset:200 ; 4-byte Folded Reload
	buffer_load_dword v33, off, s[0:3], s33 offset:204 ; 4-byte Folded Reload
	;; [unrolled: 1-line block ×4, first 2 shown]
	v_and_b32_e32 v22, 0xffff0000, v38
	v_max_f32_e32 v22, v22, v22
                                        ; implicit-def: $vgpr38
	s_waitcnt vmcnt(1)
	v_and_b32_e32 v23, 0xffff0000, v34
	v_max_f32_e32 v23, v23, v23
	v_min_f32_e32 v32, v22, v23
	v_max_f32_e32 v22, v22, v23
	v_cndmask_b32_e64 v22, v22, v32, s[28:29]
	v_and_b32_e32 v23, 0x7f800000, v22
	v_cmp_ne_u32_e32 vcc, s56, v23
	s_and_saveexec_b64 s[94:95], vcc
	s_xor_b64 s[94:95], exec, s[94:95]
; %bb.2141:                             ;   in Loop: Header=BB12_2087 Depth=3
	v_bfe_u32 v23, v22, 16, 1
	v_add3_u32 v38, v22, v23, s57
                                        ; implicit-def: $vgpr22
; %bb.2142:                             ;   in Loop: Header=BB12_2087 Depth=3
	s_andn2_saveexec_b64 s[94:95], s[94:95]
	s_cbranch_execz .LBB12_2144
; %bb.2143:                             ;   in Loop: Header=BB12_2087 Depth=3
	buffer_load_dword v32, off, s[0:3], s33 offset:128 ; 4-byte Folded Reload
	buffer_load_dword v33, off, s[0:3], s33 offset:132 ; 4-byte Folded Reload
	v_or_b32_e32 v23, 0x10000, v22
	s_waitcnt vmcnt(1)
	v_cmp_eq_u32_sdwa vcc, v22, v32 src0_sel:WORD_0 src1_sel:DWORD
	v_cndmask_b32_e32 v38, v23, v22, vcc
.LBB12_2144:                            ;   in Loop: Header=BB12_2087 Depth=3
	s_or_b64 exec, exec, s[94:95]
	buffer_load_dword v32, off, s[0:3], s33 offset:200 ; 4-byte Folded Reload
	buffer_load_dword v33, off, s[0:3], s33 offset:204 ; 4-byte Folded Reload
	;; [unrolled: 1-line block ×4, first 2 shown]
	v_lshlrev_b32_e32 v22, 16, v39
	v_max_f32_e32 v22, v22, v22
                                        ; implicit-def: $vgpr57
	s_waitcnt vmcnt(0)
	v_lshlrev_b32_e32 v23, 16, v35
	v_max_f32_e32 v23, v23, v23
	v_min_f32_e32 v32, v22, v23
	v_max_f32_e32 v22, v22, v23
	v_cndmask_b32_e64 v22, v22, v32, s[28:29]
	v_and_b32_e32 v23, 0x7f800000, v22
	v_cmp_ne_u32_e32 vcc, s56, v23
	s_and_saveexec_b64 s[94:95], vcc
	s_xor_b64 s[94:95], exec, s[94:95]
; %bb.2145:                             ;   in Loop: Header=BB12_2087 Depth=3
	v_bfe_u32 v23, v22, 16, 1
	v_add3_u32 v57, v22, v23, s57
                                        ; implicit-def: $vgpr22
; %bb.2146:                             ;   in Loop: Header=BB12_2087 Depth=3
	s_andn2_saveexec_b64 s[94:95], s[94:95]
	s_cbranch_execz .LBB12_2148
; %bb.2147:                             ;   in Loop: Header=BB12_2087 Depth=3
	buffer_load_dword v32, off, s[0:3], s33 offset:128 ; 4-byte Folded Reload
	buffer_load_dword v33, off, s[0:3], s33 offset:132 ; 4-byte Folded Reload
	v_or_b32_e32 v23, 0x10000, v22
	s_waitcnt vmcnt(1)
	v_cmp_eq_u32_sdwa vcc, v22, v32 src0_sel:WORD_0 src1_sel:DWORD
	v_cndmask_b32_e32 v57, v23, v22, vcc
.LBB12_2148:                            ;   in Loop: Header=BB12_2087 Depth=3
	s_or_b64 exec, exec, s[94:95]
	buffer_load_dword v32, off, s[0:3], s33 offset:200 ; 4-byte Folded Reload
	buffer_load_dword v33, off, s[0:3], s33 offset:204 ; 4-byte Folded Reload
	;; [unrolled: 1-line block ×4, first 2 shown]
	v_and_b32_e32 v22, 0xffff0000, v39
	v_max_f32_e32 v22, v22, v22
                                        ; implicit-def: $vgpr39
	s_waitcnt vmcnt(0)
	v_and_b32_e32 v23, 0xffff0000, v35
	v_max_f32_e32 v23, v23, v23
	v_min_f32_e32 v32, v22, v23
	v_max_f32_e32 v22, v22, v23
	v_cndmask_b32_e64 v22, v22, v32, s[28:29]
	v_and_b32_e32 v23, 0x7f800000, v22
	v_cmp_ne_u32_e32 vcc, s56, v23
	s_and_saveexec_b64 s[94:95], vcc
	s_xor_b64 s[94:95], exec, s[94:95]
; %bb.2149:                             ;   in Loop: Header=BB12_2087 Depth=3
	v_bfe_u32 v23, v22, 16, 1
	v_add3_u32 v39, v22, v23, s57
                                        ; implicit-def: $vgpr22
; %bb.2150:                             ;   in Loop: Header=BB12_2087 Depth=3
	s_andn2_saveexec_b64 s[94:95], s[94:95]
	s_cbranch_execz .LBB12_2152
; %bb.2151:                             ;   in Loop: Header=BB12_2087 Depth=3
	buffer_load_dword v32, off, s[0:3], s33 offset:128 ; 4-byte Folded Reload
	buffer_load_dword v33, off, s[0:3], s33 offset:132 ; 4-byte Folded Reload
	v_or_b32_e32 v23, 0x10000, v22
	s_waitcnt vmcnt(1)
	v_cmp_eq_u32_sdwa vcc, v22, v32 src0_sel:WORD_0 src1_sel:DWORD
	v_cndmask_b32_e32 v39, v23, v22, vcc
.LBB12_2152:                            ;   in Loop: Header=BB12_2087 Depth=3
	s_or_b64 exec, exec, s[94:95]
	buffer_load_dword v32, off, s[0:3], s33 offset:184 ; 4-byte Folded Reload
	buffer_load_dword v33, off, s[0:3], s33 offset:188 ; 4-byte Folded Reload
	;; [unrolled: 1-line block ×4, first 2 shown]
	v_lshlrev_b32_e32 v22, 16, v24
	v_max_f32_e32 v22, v22, v22
                                        ; implicit-def: $vgpr58
	s_waitcnt vmcnt(3)
	v_lshlrev_b32_e32 v23, 16, v32
	v_max_f32_e32 v23, v23, v23
	v_min_f32_e32 v32, v22, v23
	v_max_f32_e32 v22, v22, v23
	v_cndmask_b32_e64 v22, v22, v32, s[28:29]
	v_and_b32_e32 v23, 0x7f800000, v22
	v_cmp_ne_u32_e32 vcc, s56, v23
	s_and_saveexec_b64 s[94:95], vcc
	s_xor_b64 s[94:95], exec, s[94:95]
; %bb.2153:                             ;   in Loop: Header=BB12_2087 Depth=3
	v_bfe_u32 v23, v22, 16, 1
	v_add3_u32 v58, v22, v23, s57
                                        ; implicit-def: $vgpr22
; %bb.2154:                             ;   in Loop: Header=BB12_2087 Depth=3
	s_andn2_saveexec_b64 s[94:95], s[94:95]
	s_cbranch_execz .LBB12_2156
; %bb.2155:                             ;   in Loop: Header=BB12_2087 Depth=3
	buffer_load_dword v32, off, s[0:3], s33 offset:128 ; 4-byte Folded Reload
	buffer_load_dword v33, off, s[0:3], s33 offset:132 ; 4-byte Folded Reload
	v_or_b32_e32 v23, 0x10000, v22
	s_waitcnt vmcnt(1)
	v_cmp_eq_u32_sdwa vcc, v22, v32 src0_sel:WORD_0 src1_sel:DWORD
	v_cndmask_b32_e32 v58, v23, v22, vcc
.LBB12_2156:                            ;   in Loop: Header=BB12_2087 Depth=3
	s_or_b64 exec, exec, s[94:95]
	buffer_load_dword v32, off, s[0:3], s33 offset:184 ; 4-byte Folded Reload
	buffer_load_dword v33, off, s[0:3], s33 offset:188 ; 4-byte Folded Reload
	;; [unrolled: 1-line block ×4, first 2 shown]
	v_and_b32_e32 v22, 0xffff0000, v24
	v_max_f32_e32 v22, v22, v22
	s_waitcnt vmcnt(3)
	v_and_b32_e32 v23, 0xffff0000, v32
	v_max_f32_e32 v23, v23, v23
	v_min_f32_e32 v24, v22, v23
	v_max_f32_e32 v22, v22, v23
	v_cndmask_b32_e64 v22, v22, v24, s[28:29]
	v_and_b32_e32 v23, 0x7f800000, v22
	v_cmp_ne_u32_e32 vcc, s56, v23
                                        ; implicit-def: $vgpr24
	s_and_saveexec_b64 s[94:95], vcc
	s_xor_b64 s[94:95], exec, s[94:95]
; %bb.2157:                             ;   in Loop: Header=BB12_2087 Depth=3
	v_bfe_u32 v23, v22, 16, 1
	v_add3_u32 v24, v22, v23, s57
                                        ; implicit-def: $vgpr22
; %bb.2158:                             ;   in Loop: Header=BB12_2087 Depth=3
	s_andn2_saveexec_b64 s[94:95], s[94:95]
	s_cbranch_execz .LBB12_2160
; %bb.2159:                             ;   in Loop: Header=BB12_2087 Depth=3
	buffer_load_dword v32, off, s[0:3], s33 offset:128 ; 4-byte Folded Reload
	buffer_load_dword v33, off, s[0:3], s33 offset:132 ; 4-byte Folded Reload
	v_or_b32_e32 v23, 0x10000, v22
	s_waitcnt vmcnt(1)
	v_cmp_eq_u32_sdwa vcc, v22, v32 src0_sel:WORD_0 src1_sel:DWORD
	v_cndmask_b32_e32 v24, v23, v22, vcc
.LBB12_2160:                            ;   in Loop: Header=BB12_2087 Depth=3
	s_or_b64 exec, exec, s[94:95]
	buffer_load_dword v32, off, s[0:3], s33 offset:184 ; 4-byte Folded Reload
	buffer_load_dword v33, off, s[0:3], s33 offset:188 ; 4-byte Folded Reload
	buffer_load_dword v34, off, s[0:3], s33 offset:192 ; 4-byte Folded Reload
	buffer_load_dword v35, off, s[0:3], s33 offset:196 ; 4-byte Folded Reload
	v_lshlrev_b32_e32 v22, 16, v25
	v_max_f32_e32 v22, v22, v22
                                        ; implicit-def: $vgpr61
	s_waitcnt vmcnt(2)
	v_lshlrev_b32_e32 v23, 16, v33
	v_max_f32_e32 v23, v23, v23
	v_min_f32_e32 v32, v22, v23
	v_max_f32_e32 v22, v22, v23
	v_cndmask_b32_e64 v22, v22, v32, s[28:29]
	v_and_b32_e32 v23, 0x7f800000, v22
	v_cmp_ne_u32_e32 vcc, s56, v23
	s_and_saveexec_b64 s[94:95], vcc
	s_xor_b64 s[94:95], exec, s[94:95]
; %bb.2161:                             ;   in Loop: Header=BB12_2087 Depth=3
	v_bfe_u32 v23, v22, 16, 1
	v_add3_u32 v61, v22, v23, s57
                                        ; implicit-def: $vgpr22
; %bb.2162:                             ;   in Loop: Header=BB12_2087 Depth=3
	s_andn2_saveexec_b64 s[94:95], s[94:95]
	s_cbranch_execz .LBB12_2164
; %bb.2163:                             ;   in Loop: Header=BB12_2087 Depth=3
	buffer_load_dword v32, off, s[0:3], s33 offset:128 ; 4-byte Folded Reload
	buffer_load_dword v33, off, s[0:3], s33 offset:132 ; 4-byte Folded Reload
	v_or_b32_e32 v23, 0x10000, v22
	s_waitcnt vmcnt(1)
	v_cmp_eq_u32_sdwa vcc, v22, v32 src0_sel:WORD_0 src1_sel:DWORD
	v_cndmask_b32_e32 v61, v23, v22, vcc
.LBB12_2164:                            ;   in Loop: Header=BB12_2087 Depth=3
	s_or_b64 exec, exec, s[94:95]
	buffer_load_dword v32, off, s[0:3], s33 offset:184 ; 4-byte Folded Reload
	buffer_load_dword v33, off, s[0:3], s33 offset:188 ; 4-byte Folded Reload
	;; [unrolled: 1-line block ×4, first 2 shown]
	v_and_b32_e32 v22, 0xffff0000, v25
	v_max_f32_e32 v22, v22, v22
	s_waitcnt vmcnt(2)
	v_and_b32_e32 v23, 0xffff0000, v33
	v_max_f32_e32 v23, v23, v23
	v_min_f32_e32 v25, v22, v23
	v_max_f32_e32 v22, v22, v23
	v_cndmask_b32_e64 v22, v22, v25, s[28:29]
	v_and_b32_e32 v23, 0x7f800000, v22
	v_cmp_ne_u32_e32 vcc, s56, v23
                                        ; implicit-def: $vgpr25
	s_and_saveexec_b64 s[94:95], vcc
	s_xor_b64 s[94:95], exec, s[94:95]
; %bb.2165:                             ;   in Loop: Header=BB12_2087 Depth=3
	v_bfe_u32 v23, v22, 16, 1
	v_add3_u32 v25, v22, v23, s57
                                        ; implicit-def: $vgpr22
; %bb.2166:                             ;   in Loop: Header=BB12_2087 Depth=3
	s_andn2_saveexec_b64 s[94:95], s[94:95]
	s_cbranch_execz .LBB12_2168
; %bb.2167:                             ;   in Loop: Header=BB12_2087 Depth=3
	buffer_load_dword v32, off, s[0:3], s33 offset:128 ; 4-byte Folded Reload
	buffer_load_dword v33, off, s[0:3], s33 offset:132 ; 4-byte Folded Reload
	v_or_b32_e32 v23, 0x10000, v22
	s_waitcnt vmcnt(1)
	v_cmp_eq_u32_sdwa vcc, v22, v32 src0_sel:WORD_0 src1_sel:DWORD
	v_cndmask_b32_e32 v25, v23, v22, vcc
.LBB12_2168:                            ;   in Loop: Header=BB12_2087 Depth=3
	s_or_b64 exec, exec, s[94:95]
	buffer_load_dword v32, off, s[0:3], s33 offset:184 ; 4-byte Folded Reload
	buffer_load_dword v33, off, s[0:3], s33 offset:188 ; 4-byte Folded Reload
	;; [unrolled: 1-line block ×4, first 2 shown]
	v_lshlrev_b32_e32 v22, 16, v26
	v_max_f32_e32 v22, v22, v22
                                        ; implicit-def: $vgpr59
	s_waitcnt vmcnt(1)
	v_lshlrev_b32_e32 v23, 16, v34
	v_max_f32_e32 v23, v23, v23
	v_min_f32_e32 v32, v22, v23
	v_max_f32_e32 v22, v22, v23
	v_cndmask_b32_e64 v22, v22, v32, s[28:29]
	v_and_b32_e32 v23, 0x7f800000, v22
	v_cmp_ne_u32_e32 vcc, s56, v23
	s_and_saveexec_b64 s[94:95], vcc
	s_xor_b64 s[94:95], exec, s[94:95]
; %bb.2169:                             ;   in Loop: Header=BB12_2087 Depth=3
	v_bfe_u32 v23, v22, 16, 1
	v_add3_u32 v59, v22, v23, s57
                                        ; implicit-def: $vgpr22
; %bb.2170:                             ;   in Loop: Header=BB12_2087 Depth=3
	s_andn2_saveexec_b64 s[94:95], s[94:95]
	s_cbranch_execz .LBB12_2172
; %bb.2171:                             ;   in Loop: Header=BB12_2087 Depth=3
	buffer_load_dword v32, off, s[0:3], s33 offset:128 ; 4-byte Folded Reload
	buffer_load_dword v33, off, s[0:3], s33 offset:132 ; 4-byte Folded Reload
	v_or_b32_e32 v23, 0x10000, v22
	s_waitcnt vmcnt(1)
	v_cmp_eq_u32_sdwa vcc, v22, v32 src0_sel:WORD_0 src1_sel:DWORD
	v_cndmask_b32_e32 v59, v23, v22, vcc
.LBB12_2172:                            ;   in Loop: Header=BB12_2087 Depth=3
	s_or_b64 exec, exec, s[94:95]
	buffer_load_dword v32, off, s[0:3], s33 offset:184 ; 4-byte Folded Reload
	buffer_load_dword v33, off, s[0:3], s33 offset:188 ; 4-byte Folded Reload
	;; [unrolled: 1-line block ×4, first 2 shown]
	v_and_b32_e32 v22, 0xffff0000, v26
	v_max_f32_e32 v22, v22, v22
	s_waitcnt vmcnt(1)
	v_and_b32_e32 v23, 0xffff0000, v34
	v_max_f32_e32 v23, v23, v23
	v_min_f32_e32 v26, v22, v23
	v_max_f32_e32 v22, v22, v23
	v_cndmask_b32_e64 v22, v22, v26, s[28:29]
	v_and_b32_e32 v23, 0x7f800000, v22
	v_cmp_ne_u32_e32 vcc, s56, v23
                                        ; implicit-def: $vgpr26
	s_and_saveexec_b64 s[94:95], vcc
	s_xor_b64 s[94:95], exec, s[94:95]
; %bb.2173:                             ;   in Loop: Header=BB12_2087 Depth=3
	v_bfe_u32 v23, v22, 16, 1
	v_add3_u32 v26, v22, v23, s57
                                        ; implicit-def: $vgpr22
; %bb.2174:                             ;   in Loop: Header=BB12_2087 Depth=3
	s_andn2_saveexec_b64 s[94:95], s[94:95]
	s_cbranch_execz .LBB12_2176
; %bb.2175:                             ;   in Loop: Header=BB12_2087 Depth=3
	buffer_load_dword v32, off, s[0:3], s33 offset:128 ; 4-byte Folded Reload
	buffer_load_dword v33, off, s[0:3], s33 offset:132 ; 4-byte Folded Reload
	v_or_b32_e32 v23, 0x10000, v22
	s_waitcnt vmcnt(1)
	v_cmp_eq_u32_sdwa vcc, v22, v32 src0_sel:WORD_0 src1_sel:DWORD
	v_cndmask_b32_e32 v26, v23, v22, vcc
.LBB12_2176:                            ;   in Loop: Header=BB12_2087 Depth=3
	s_or_b64 exec, exec, s[94:95]
	buffer_load_dword v32, off, s[0:3], s33 offset:184 ; 4-byte Folded Reload
	buffer_load_dword v33, off, s[0:3], s33 offset:188 ; 4-byte Folded Reload
	;; [unrolled: 1-line block ×4, first 2 shown]
	v_lshlrev_b32_e32 v22, 16, v27
	v_max_f32_e32 v22, v22, v22
                                        ; implicit-def: $vgpr56
	s_waitcnt vmcnt(0)
	v_lshlrev_b32_e32 v23, 16, v35
	v_max_f32_e32 v23, v23, v23
	v_min_f32_e32 v32, v22, v23
	v_max_f32_e32 v22, v22, v23
	v_cndmask_b32_e64 v22, v22, v32, s[28:29]
	v_and_b32_e32 v23, 0x7f800000, v22
	v_cmp_ne_u32_e32 vcc, s56, v23
	s_and_saveexec_b64 s[94:95], vcc
	s_xor_b64 s[94:95], exec, s[94:95]
; %bb.2177:                             ;   in Loop: Header=BB12_2087 Depth=3
	v_bfe_u32 v23, v22, 16, 1
	v_add3_u32 v56, v22, v23, s57
                                        ; implicit-def: $vgpr22
; %bb.2178:                             ;   in Loop: Header=BB12_2087 Depth=3
	s_andn2_saveexec_b64 s[94:95], s[94:95]
	s_cbranch_execz .LBB12_2180
; %bb.2179:                             ;   in Loop: Header=BB12_2087 Depth=3
	buffer_load_dword v32, off, s[0:3], s33 offset:128 ; 4-byte Folded Reload
	buffer_load_dword v33, off, s[0:3], s33 offset:132 ; 4-byte Folded Reload
	v_or_b32_e32 v23, 0x10000, v22
	s_waitcnt vmcnt(1)
	v_cmp_eq_u32_sdwa vcc, v22, v32 src0_sel:WORD_0 src1_sel:DWORD
	v_cndmask_b32_e32 v56, v23, v22, vcc
.LBB12_2180:                            ;   in Loop: Header=BB12_2087 Depth=3
	s_or_b64 exec, exec, s[94:95]
	buffer_load_dword v32, off, s[0:3], s33 offset:184 ; 4-byte Folded Reload
	buffer_load_dword v33, off, s[0:3], s33 offset:188 ; 4-byte Folded Reload
	;; [unrolled: 1-line block ×4, first 2 shown]
	v_and_b32_e32 v22, 0xffff0000, v27
	v_max_f32_e32 v22, v22, v22
	s_waitcnt vmcnt(0)
	v_and_b32_e32 v23, 0xffff0000, v35
	v_max_f32_e32 v23, v23, v23
	v_min_f32_e32 v27, v22, v23
	v_max_f32_e32 v22, v22, v23
	v_cndmask_b32_e64 v22, v22, v27, s[28:29]
	v_and_b32_e32 v23, 0x7f800000, v22
	v_cmp_ne_u32_e32 vcc, s56, v23
                                        ; implicit-def: $vgpr27
	s_and_saveexec_b64 s[94:95], vcc
	s_xor_b64 s[94:95], exec, s[94:95]
; %bb.2181:                             ;   in Loop: Header=BB12_2087 Depth=3
	v_bfe_u32 v23, v22, 16, 1
	v_add3_u32 v27, v22, v23, s57
                                        ; implicit-def: $vgpr22
; %bb.2182:                             ;   in Loop: Header=BB12_2087 Depth=3
	s_andn2_saveexec_b64 s[94:95], s[94:95]
	s_cbranch_execz .LBB12_2184
; %bb.2183:                             ;   in Loop: Header=BB12_2087 Depth=3
	buffer_load_dword v32, off, s[0:3], s33 offset:128 ; 4-byte Folded Reload
	buffer_load_dword v33, off, s[0:3], s33 offset:132 ; 4-byte Folded Reload
	v_or_b32_e32 v23, 0x10000, v22
	s_waitcnt vmcnt(1)
	v_cmp_eq_u32_sdwa vcc, v22, v32 src0_sel:WORD_0 src1_sel:DWORD
	v_cndmask_b32_e32 v27, v23, v22, vcc
.LBB12_2184:                            ;   in Loop: Header=BB12_2087 Depth=3
	s_or_b64 exec, exec, s[94:95]
	buffer_load_dword v32, off, s[0:3], s33 offset:168 ; 4-byte Folded Reload
	buffer_load_dword v33, off, s[0:3], s33 offset:172 ; 4-byte Folded Reload
	;; [unrolled: 1-line block ×4, first 2 shown]
	v_lshlrev_b32_e32 v22, 16, v12
	v_max_f32_e32 v22, v22, v22
                                        ; implicit-def: $vgpr60
	s_waitcnt vmcnt(3)
	v_lshlrev_b32_e32 v23, 16, v32
	v_max_f32_e32 v23, v23, v23
	v_min_f32_e32 v32, v22, v23
	v_max_f32_e32 v22, v22, v23
	v_cndmask_b32_e64 v22, v22, v32, s[28:29]
	v_and_b32_e32 v23, 0x7f800000, v22
	v_cmp_ne_u32_e32 vcc, s56, v23
	s_and_saveexec_b64 s[94:95], vcc
	s_xor_b64 s[94:95], exec, s[94:95]
; %bb.2185:                             ;   in Loop: Header=BB12_2087 Depth=3
	v_bfe_u32 v23, v22, 16, 1
	v_add3_u32 v60, v22, v23, s57
                                        ; implicit-def: $vgpr22
; %bb.2186:                             ;   in Loop: Header=BB12_2087 Depth=3
	s_andn2_saveexec_b64 s[94:95], s[94:95]
	s_cbranch_execz .LBB12_2188
; %bb.2187:                             ;   in Loop: Header=BB12_2087 Depth=3
	buffer_load_dword v32, off, s[0:3], s33 offset:128 ; 4-byte Folded Reload
	buffer_load_dword v33, off, s[0:3], s33 offset:132 ; 4-byte Folded Reload
	v_or_b32_e32 v23, 0x10000, v22
	s_waitcnt vmcnt(1)
	v_cmp_eq_u32_sdwa vcc, v22, v32 src0_sel:WORD_0 src1_sel:DWORD
	v_cndmask_b32_e32 v60, v23, v22, vcc
.LBB12_2188:                            ;   in Loop: Header=BB12_2087 Depth=3
	s_or_b64 exec, exec, s[94:95]
	buffer_load_dword v32, off, s[0:3], s33 offset:168 ; 4-byte Folded Reload
	buffer_load_dword v33, off, s[0:3], s33 offset:172 ; 4-byte Folded Reload
	;; [unrolled: 1-line block ×4, first 2 shown]
	v_and_b32_e32 v12, 0xffff0000, v12
	v_max_f32_e32 v12, v12, v12
	s_waitcnt vmcnt(3)
	v_and_b32_e32 v22, 0xffff0000, v32
	v_max_f32_e32 v22, v22, v22
	v_min_f32_e32 v23, v12, v22
	v_max_f32_e32 v12, v12, v22
	v_cndmask_b32_e64 v22, v12, v23, s[28:29]
	v_and_b32_e32 v12, 0x7f800000, v22
	v_cmp_ne_u32_e32 vcc, s56, v12
                                        ; implicit-def: $vgpr12
	s_and_saveexec_b64 s[94:95], vcc
	s_xor_b64 s[94:95], exec, s[94:95]
; %bb.2189:                             ;   in Loop: Header=BB12_2087 Depth=3
	v_bfe_u32 v12, v22, 16, 1
	v_add3_u32 v12, v22, v12, s57
                                        ; implicit-def: $vgpr22
; %bb.2190:                             ;   in Loop: Header=BB12_2087 Depth=3
	s_andn2_saveexec_b64 s[94:95], s[94:95]
	s_cbranch_execz .LBB12_2192
; %bb.2191:                             ;   in Loop: Header=BB12_2087 Depth=3
	buffer_load_dword v32, off, s[0:3], s33 offset:128 ; 4-byte Folded Reload
	buffer_load_dword v33, off, s[0:3], s33 offset:132 ; 4-byte Folded Reload
	v_or_b32_e32 v12, 0x10000, v22
	s_waitcnt vmcnt(1)
	v_cmp_eq_u32_sdwa vcc, v22, v32 src0_sel:WORD_0 src1_sel:DWORD
	v_cndmask_b32_e32 v12, v12, v22, vcc
.LBB12_2192:                            ;   in Loop: Header=BB12_2087 Depth=3
	s_or_b64 exec, exec, s[94:95]
	buffer_load_dword v32, off, s[0:3], s33 offset:168 ; 4-byte Folded Reload
	buffer_load_dword v33, off, s[0:3], s33 offset:172 ; 4-byte Folded Reload
	;; [unrolled: 1-line block ×4, first 2 shown]
	v_lshlrev_b32_e32 v22, 16, v13
	v_max_f32_e32 v22, v22, v22
	s_waitcnt vmcnt(2)
	v_lshlrev_b32_e32 v23, 16, v33
	v_max_f32_e32 v23, v23, v23
	v_min_f32_e32 v32, v22, v23
	v_max_f32_e32 v22, v22, v23
	v_cndmask_b32_e64 v23, v22, v32, s[28:29]
	v_and_b32_e32 v22, 0x7f800000, v23
	v_cmp_ne_u32_e32 vcc, s56, v22
                                        ; implicit-def: $vgpr22
	s_and_saveexec_b64 s[94:95], vcc
	s_xor_b64 s[94:95], exec, s[94:95]
; %bb.2193:                             ;   in Loop: Header=BB12_2087 Depth=3
	v_bfe_u32 v22, v23, 16, 1
	v_add3_u32 v22, v23, v22, s57
                                        ; implicit-def: $vgpr23
; %bb.2194:                             ;   in Loop: Header=BB12_2087 Depth=3
	s_andn2_saveexec_b64 s[94:95], s[94:95]
	s_cbranch_execz .LBB12_2196
; %bb.2195:                             ;   in Loop: Header=BB12_2087 Depth=3
	buffer_load_dword v32, off, s[0:3], s33 offset:128 ; 4-byte Folded Reload
	buffer_load_dword v33, off, s[0:3], s33 offset:132 ; 4-byte Folded Reload
	v_or_b32_e32 v22, 0x10000, v23
	s_waitcnt vmcnt(1)
	v_cmp_eq_u32_sdwa vcc, v23, v32 src0_sel:WORD_0 src1_sel:DWORD
	v_cndmask_b32_e32 v22, v22, v23, vcc
.LBB12_2196:                            ;   in Loop: Header=BB12_2087 Depth=3
	s_or_b64 exec, exec, s[94:95]
	buffer_load_dword v32, off, s[0:3], s33 offset:168 ; 4-byte Folded Reload
	buffer_load_dword v33, off, s[0:3], s33 offset:172 ; 4-byte Folded Reload
	;; [unrolled: 1-line block ×4, first 2 shown]
	v_and_b32_e32 v13, 0xffff0000, v13
	v_max_f32_e32 v13, v13, v13
	s_waitcnt vmcnt(2)
	v_and_b32_e32 v23, 0xffff0000, v33
	v_max_f32_e32 v23, v23, v23
	v_min_f32_e32 v32, v13, v23
	v_max_f32_e32 v13, v13, v23
	v_cndmask_b32_e64 v23, v13, v32, s[28:29]
	v_and_b32_e32 v13, 0x7f800000, v23
	v_cmp_ne_u32_e32 vcc, s56, v13
                                        ; implicit-def: $vgpr13
	s_and_saveexec_b64 s[94:95], vcc
	s_xor_b64 s[94:95], exec, s[94:95]
; %bb.2197:                             ;   in Loop: Header=BB12_2087 Depth=3
	v_bfe_u32 v13, v23, 16, 1
	v_add3_u32 v13, v23, v13, s57
                                        ; implicit-def: $vgpr23
; %bb.2198:                             ;   in Loop: Header=BB12_2087 Depth=3
	s_andn2_saveexec_b64 s[94:95], s[94:95]
	s_cbranch_execz .LBB12_2200
; %bb.2199:                             ;   in Loop: Header=BB12_2087 Depth=3
	buffer_load_dword v32, off, s[0:3], s33 offset:128 ; 4-byte Folded Reload
	buffer_load_dword v33, off, s[0:3], s33 offset:132 ; 4-byte Folded Reload
	v_or_b32_e32 v13, 0x10000, v23
	s_waitcnt vmcnt(1)
	v_cmp_eq_u32_sdwa vcc, v23, v32 src0_sel:WORD_0 src1_sel:DWORD
	v_cndmask_b32_e32 v13, v13, v23, vcc
.LBB12_2200:                            ;   in Loop: Header=BB12_2087 Depth=3
	s_or_b64 exec, exec, s[94:95]
	buffer_load_dword v32, off, s[0:3], s33 offset:168 ; 4-byte Folded Reload
	buffer_load_dword v33, off, s[0:3], s33 offset:172 ; 4-byte Folded Reload
	;; [unrolled: 1-line block ×4, first 2 shown]
	v_lshlrev_b32_e32 v23, 16, v14
	v_max_f32_e32 v23, v23, v23
	s_waitcnt vmcnt(1)
	v_lshlrev_b32_e32 v32, 16, v34
	v_max_f32_e32 v32, v32, v32
	v_min_f32_e32 v33, v23, v32
	v_max_f32_e32 v23, v23, v32
	v_cndmask_b32_e64 v32, v23, v33, s[28:29]
	v_and_b32_e32 v23, 0x7f800000, v32
	v_cmp_ne_u32_e32 vcc, s56, v23
                                        ; implicit-def: $vgpr23
	s_and_saveexec_b64 s[94:95], vcc
	s_xor_b64 s[94:95], exec, s[94:95]
; %bb.2201:                             ;   in Loop: Header=BB12_2087 Depth=3
	v_bfe_u32 v23, v32, 16, 1
	v_add3_u32 v23, v32, v23, s57
                                        ; implicit-def: $vgpr32
; %bb.2202:                             ;   in Loop: Header=BB12_2087 Depth=3
	s_andn2_saveexec_b64 s[94:95], s[94:95]
	s_cbranch_execz .LBB12_2204
; %bb.2203:                             ;   in Loop: Header=BB12_2087 Depth=3
	buffer_load_dword v33, off, s[0:3], s33 offset:128 ; 4-byte Folded Reload
	buffer_load_dword v34, off, s[0:3], s33 offset:132 ; 4-byte Folded Reload
	v_or_b32_e32 v23, 0x10000, v32
	s_waitcnt vmcnt(1)
	v_cmp_eq_u32_sdwa vcc, v32, v33 src0_sel:WORD_0 src1_sel:DWORD
	v_cndmask_b32_e32 v23, v23, v32, vcc
.LBB12_2204:                            ;   in Loop: Header=BB12_2087 Depth=3
	s_or_b64 exec, exec, s[94:95]
	buffer_load_dword v32, off, s[0:3], s33 offset:168 ; 4-byte Folded Reload
	buffer_load_dword v33, off, s[0:3], s33 offset:172 ; 4-byte Folded Reload
	;; [unrolled: 1-line block ×4, first 2 shown]
	v_and_b32_e32 v14, 0xffff0000, v14
	v_max_f32_e32 v14, v14, v14
	s_waitcnt vmcnt(1)
	v_and_b32_e32 v32, 0xffff0000, v34
	v_max_f32_e32 v32, v32, v32
	v_min_f32_e32 v33, v14, v32
	v_max_f32_e32 v14, v14, v32
	v_cndmask_b32_e64 v32, v14, v33, s[28:29]
	v_and_b32_e32 v14, 0x7f800000, v32
	v_cmp_ne_u32_e32 vcc, s56, v14
                                        ; implicit-def: $vgpr14
	s_and_saveexec_b64 s[94:95], vcc
	s_xor_b64 s[94:95], exec, s[94:95]
; %bb.2205:                             ;   in Loop: Header=BB12_2087 Depth=3
	v_bfe_u32 v14, v32, 16, 1
	v_add3_u32 v14, v32, v14, s57
                                        ; implicit-def: $vgpr32
; %bb.2206:                             ;   in Loop: Header=BB12_2087 Depth=3
	s_andn2_saveexec_b64 s[94:95], s[94:95]
	s_cbranch_execz .LBB12_2208
; %bb.2207:                             ;   in Loop: Header=BB12_2087 Depth=3
	buffer_load_dword v33, off, s[0:3], s33 offset:128 ; 4-byte Folded Reload
	buffer_load_dword v34, off, s[0:3], s33 offset:132 ; 4-byte Folded Reload
	v_or_b32_e32 v14, 0x10000, v32
	s_waitcnt vmcnt(1)
	v_cmp_eq_u32_sdwa vcc, v32, v33 src0_sel:WORD_0 src1_sel:DWORD
	v_cndmask_b32_e32 v14, v14, v32, vcc
.LBB12_2208:                            ;   in Loop: Header=BB12_2087 Depth=3
	s_or_b64 exec, exec, s[94:95]
	buffer_load_dword v33, off, s[0:3], s33 offset:168 ; 4-byte Folded Reload
	buffer_load_dword v34, off, s[0:3], s33 offset:172 ; 4-byte Folded Reload
	;; [unrolled: 1-line block ×4, first 2 shown]
	v_lshlrev_b32_e32 v32, 16, v15
	v_max_f32_e32 v32, v32, v32
	s_waitcnt vmcnt(0)
	v_lshlrev_b32_e32 v33, 16, v36
	v_max_f32_e32 v33, v33, v33
	v_min_f32_e32 v34, v32, v33
	v_max_f32_e32 v32, v32, v33
	v_cndmask_b32_e64 v33, v32, v34, s[28:29]
	v_and_b32_e32 v32, 0x7f800000, v33
	v_cmp_ne_u32_e32 vcc, s56, v32
                                        ; implicit-def: $vgpr32
	s_and_saveexec_b64 s[94:95], vcc
	s_xor_b64 s[94:95], exec, s[94:95]
; %bb.2209:                             ;   in Loop: Header=BB12_2087 Depth=3
	v_bfe_u32 v32, v33, 16, 1
	v_add3_u32 v32, v33, v32, s57
                                        ; implicit-def: $vgpr33
; %bb.2210:                             ;   in Loop: Header=BB12_2087 Depth=3
	s_andn2_saveexec_b64 s[94:95], s[94:95]
	s_cbranch_execz .LBB12_2212
; %bb.2211:                             ;   in Loop: Header=BB12_2087 Depth=3
	buffer_load_dword v34, off, s[0:3], s33 offset:128 ; 4-byte Folded Reload
	buffer_load_dword v35, off, s[0:3], s33 offset:132 ; 4-byte Folded Reload
	v_or_b32_e32 v32, 0x10000, v33
	s_waitcnt vmcnt(1)
	v_cmp_eq_u32_sdwa vcc, v33, v34 src0_sel:WORD_0 src1_sel:DWORD
	v_cndmask_b32_e32 v32, v32, v33, vcc
.LBB12_2212:                            ;   in Loop: Header=BB12_2087 Depth=3
	s_or_b64 exec, exec, s[94:95]
	buffer_load_dword v33, off, s[0:3], s33 offset:168 ; 4-byte Folded Reload
	buffer_load_dword v34, off, s[0:3], s33 offset:172 ; 4-byte Folded Reload
	;; [unrolled: 1-line block ×4, first 2 shown]
	v_and_b32_e32 v15, 0xffff0000, v15
	v_max_f32_e32 v15, v15, v15
	s_waitcnt vmcnt(0)
	v_and_b32_e32 v33, 0xffff0000, v36
	v_max_f32_e32 v33, v33, v33
	v_min_f32_e32 v34, v15, v33
	v_max_f32_e32 v15, v15, v33
	v_cndmask_b32_e64 v33, v15, v34, s[28:29]
	v_and_b32_e32 v15, 0x7f800000, v33
	v_cmp_ne_u32_e32 vcc, s56, v15
                                        ; implicit-def: $vgpr15
	s_and_saveexec_b64 s[94:95], vcc
	s_xor_b64 s[94:95], exec, s[94:95]
; %bb.2213:                             ;   in Loop: Header=BB12_2087 Depth=3
	v_bfe_u32 v15, v33, 16, 1
	v_add3_u32 v15, v33, v15, s57
                                        ; implicit-def: $vgpr33
; %bb.2214:                             ;   in Loop: Header=BB12_2087 Depth=3
	s_andn2_saveexec_b64 s[94:95], s[94:95]
	s_cbranch_execz .LBB12_2216
; %bb.2215:                             ;   in Loop: Header=BB12_2087 Depth=3
	buffer_load_dword v34, off, s[0:3], s33 offset:128 ; 4-byte Folded Reload
	buffer_load_dword v35, off, s[0:3], s33 offset:132 ; 4-byte Folded Reload
	v_or_b32_e32 v15, 0x10000, v33
	s_waitcnt vmcnt(1)
	v_cmp_eq_u32_sdwa vcc, v33, v34 src0_sel:WORD_0 src1_sel:DWORD
	v_cndmask_b32_e32 v15, v15, v33, vcc
.LBB12_2216:                            ;   in Loop: Header=BB12_2087 Depth=3
	s_or_b64 exec, exec, s[94:95]
	v_lshrrev_b32_e32 v33, 16, v61
	v_and_or_b32 v25, v25, s46, v33
	v_lshrrev_b32_e32 v33, 16, v58
	v_and_or_b32 v24, v24, s46, v33
	;; [unrolled: 2-line block ×4, first 2 shown]
	buffer_load_dword v33, off, s[0:3], s33 offset:388 ; 4-byte Folded Reload
	v_lshrrev_b32_e32 v22, 16, v22
	v_and_or_b32 v13, v13, s46, v22
	v_lshrrev_b32_e32 v22, 16, v60
	v_and_or_b32 v12, v12, s46, v22
	;; [unrolled: 2-line block ×4, first 2 shown]
	buffer_load_dword v34, off, s[0:3], s33 offset:384 ; 4-byte Folded Reload
	s_waitcnt vmcnt(1)
	v_lshrrev_b32_e32 v33, 16, v33
	v_and_or_b32 v37, v37, s46, v33
	buffer_load_dword v33, off, s[0:3], s33 offset:380 ; 4-byte Folded Reload
	s_waitcnt vmcnt(0)
	v_lshrrev_b32_e32 v33, 16, v33
	v_and_or_b32 v36, v34, s46, v33
	buffer_load_dword v33, off, s[0:3], s33 offset:392 ; 4-byte Folded Reload
	buffer_load_dword v34, off, s[0:3], s33 offset:308 ; 4-byte Folded Reload
	s_waitcnt vmcnt(1)
	v_lshrrev_b32_e32 v33, 16, v33
	v_and_or_b32 v38, v38, s46, v33
	v_lshrrev_b32_e32 v33, 16, v57
	v_and_or_b32 v39, v39, s46, v33
	buffer_load_dword v33, off, s[0:3], s33 offset:300 ; 4-byte Folded Reload
	s_waitcnt vmcnt(0)
	v_lshrrev_b32_e32 v33, 16, v33
	v_and_or_b32 v57, v34, s46, v33
	buffer_load_dword v33, off, s[0:3], s33 offset:284 ; 4-byte Folded Reload
	buffer_load_dword v34, off, s[0:3], s33 offset:292 ; 4-byte Folded Reload
	s_waitcnt vmcnt(1)
	v_lshrrev_b32_e32 v33, 16, v33
	s_waitcnt vmcnt(0)
	v_and_or_b32 v56, v34, s46, v33
	buffer_load_dword v33, off, s[0:3], s33 offset:352 ; 4-byte Folded Reload
	buffer_load_dword v34, off, s[0:3], s33 offset:360 ; 4-byte Folded Reload
	s_waitcnt vmcnt(1)
	v_lshrrev_b32_e32 v33, 16, v33
	s_waitcnt vmcnt(0)
	;; [unrolled: 6-line block ×3, first 2 shown]
	v_and_or_b32 v59, v34, s46, v33
	global_store_dwordx4 v[0:1], v[56:59], off glc slc
	global_store_dwordx4 v[0:1], v[36:39], off offset:1024 glc slc
	global_store_dwordx4 v[0:1], v[24:27], off offset:2048 glc slc
	;; [unrolled: 1-line block ×3, first 2 shown]
	buffer_load_dword v22, off, s[0:3], s33 offset:264 ; 4-byte Folded Reload
	s_waitcnt vmcnt(0)
	v_add_co_u32_e32 v0, vcc, v0, v22
	buffer_load_dword v22, off, s[0:3], s33 offset:268 ; 4-byte Folded Reload
	s_waitcnt vmcnt(0)
	v_addc_co_u32_e32 v1, vcc, v1, v22, vcc
.LBB12_2217:                            ;   in Loop: Header=BB12_2087 Depth=3
	s_or_b64 exec, exec, s[30:31]
	buffer_load_dword v22, off, s[0:3], s33 offset:264 ; 4-byte Folded Reload
	buffer_load_dword v23, off, s[0:3], s33 offset:268 ; 4-byte Folded Reload
	s_waitcnt vmcnt(1)
	v_add_co_u32_e32 v20, vcc, v20, v22
	s_waitcnt vmcnt(0)
	v_addc_co_u32_e32 v21, vcc, v21, v23, vcc
	v_add_co_u32_e32 v10, vcc, v10, v22
	v_addc_co_u32_e32 v11, vcc, v11, v23, vcc
	buffer_load_dword v22, off, s[0:3], s33 offset:152 ; 4-byte Folded Reload
	buffer_load_dword v23, off, s[0:3], s33 offset:240 ; 4-byte Folded Reload
	s_waitcnt vmcnt(0)
	v_sub_u32_e32 v23, v23, v22
	v_cmp_lt_i32_e64 s[94:95], 0, v23
	buffer_store_dword v23, off, s[0:3], s33 offset:240 ; 4-byte Folded Spill
	s_and_saveexec_b64 s[30:31], s[94:95]
	s_cbranch_execz .LBB12_2219
; %bb.2218:                             ;   in Loop: Header=BB12_2087 Depth=3
	global_load_dwordx4 v[56:59], v[20:21], off glc slc
	global_load_dwordx4 v[36:39], v[20:21], off offset:1024 glc slc
	global_load_dwordx4 v[24:27], v[20:21], off offset:2048 glc slc
	;; [unrolled: 1-line block ×3, first 2 shown]
	global_load_dwordx4 v[32:35], v[10:11], off glc slc
	v_add_co_u32_e32 v20, vcc, s81, v20
	v_addc_co_u32_e32 v21, vcc, 0, v21, vcc
	s_waitcnt vmcnt(0)
	buffer_store_dword v32, off, s[0:3], s33 offset:216 ; 4-byte Folded Spill
	s_nop 0
	buffer_store_dword v33, off, s[0:3], s33 offset:220 ; 4-byte Folded Spill
	buffer_store_dword v34, off, s[0:3], s33 offset:224 ; 4-byte Folded Spill
	buffer_store_dword v35, off, s[0:3], s33 offset:228 ; 4-byte Folded Spill
	global_load_dwordx4 v[32:35], v[10:11], off offset:1024 glc slc
	s_waitcnt vmcnt(0)
	buffer_store_dword v32, off, s[0:3], s33 offset:200 ; 4-byte Folded Spill
	s_nop 0
	buffer_store_dword v33, off, s[0:3], s33 offset:204 ; 4-byte Folded Spill
	buffer_store_dword v34, off, s[0:3], s33 offset:208 ; 4-byte Folded Spill
	buffer_store_dword v35, off, s[0:3], s33 offset:212 ; 4-byte Folded Spill
	global_load_dwordx4 v[32:35], v[10:11], off offset:2048 glc slc
	;; [unrolled: 7-line block ×3, first 2 shown]
	v_add_co_u32_e32 v10, vcc, 0x1000, v10
	v_addc_co_u32_e32 v11, vcc, 0, v11, vcc
	s_waitcnt vmcnt(0)
	buffer_store_dword v32, off, s[0:3], s33 offset:168 ; 4-byte Folded Spill
	s_nop 0
	buffer_store_dword v33, off, s[0:3], s33 offset:172 ; 4-byte Folded Spill
	buffer_store_dword v34, off, s[0:3], s33 offset:176 ; 4-byte Folded Spill
	;; [unrolled: 1-line block ×3, first 2 shown]
.LBB12_2219:                            ;   in Loop: Header=BB12_2087 Depth=3
	s_or_b64 exec, exec, s[30:31]
	v_lshlrev_b32_e32 v22, 16, v6
	v_lshlrev_b32_e32 v23, 16, v16
	v_max_f32_e32 v23, v23, v23
	v_max_f32_e32 v22, v22, v22
	v_min_f32_e32 v32, v22, v23
	v_max_f32_e32 v22, v22, v23
	v_cndmask_b32_e64 v22, v22, v32, s[28:29]
	v_and_b32_e32 v23, 0x7f800000, v22
	v_cmp_ne_u32_e32 vcc, s56, v23
                                        ; implicit-def: $vgpr60
	s_and_saveexec_b64 s[30:31], vcc
	s_xor_b64 vcc, exec, s[30:31]
; %bb.2220:                             ;   in Loop: Header=BB12_2087 Depth=3
	v_bfe_u32 v23, v22, 16, 1
	v_add3_u32 v60, v22, v23, s57
                                        ; implicit-def: $vgpr22
; %bb.2221:                             ;   in Loop: Header=BB12_2087 Depth=3
	s_andn2_saveexec_b64 s[30:31], vcc
	s_cbranch_execz .LBB12_2223
; %bb.2222:                             ;   in Loop: Header=BB12_2087 Depth=3
	buffer_load_dword v32, off, s[0:3], s33 offset:128 ; 4-byte Folded Reload
	buffer_load_dword v33, off, s[0:3], s33 offset:132 ; 4-byte Folded Reload
	v_or_b32_e32 v23, 0x10000, v22
	s_waitcnt vmcnt(1)
	v_cmp_eq_u32_sdwa vcc, v22, v32 src0_sel:WORD_0 src1_sel:DWORD
	v_cndmask_b32_e32 v60, v23, v22, vcc
.LBB12_2223:                            ;   in Loop: Header=BB12_2087 Depth=3
	s_or_b64 exec, exec, s[30:31]
	v_and_b32_e32 v6, 0xffff0000, v6
	v_and_b32_e32 v16, 0xffff0000, v16
	v_max_f32_e32 v16, v16, v16
	v_max_f32_e32 v6, v6, v6
	v_min_f32_e32 v22, v6, v16
	v_max_f32_e32 v6, v6, v16
	v_cndmask_b32_e64 v16, v6, v22, s[28:29]
	v_and_b32_e32 v6, 0x7f800000, v16
	v_cmp_ne_u32_e32 vcc, s56, v6
                                        ; implicit-def: $vgpr6
	s_and_saveexec_b64 s[30:31], vcc
	s_xor_b64 vcc, exec, s[30:31]
; %bb.2224:                             ;   in Loop: Header=BB12_2087 Depth=3
	v_bfe_u32 v6, v16, 16, 1
	v_add3_u32 v6, v16, v6, s57
                                        ; implicit-def: $vgpr16
; %bb.2225:                             ;   in Loop: Header=BB12_2087 Depth=3
	s_andn2_saveexec_b64 s[30:31], vcc
	s_cbranch_execz .LBB12_2227
; %bb.2226:                             ;   in Loop: Header=BB12_2087 Depth=3
	buffer_load_dword v22, off, s[0:3], s33 offset:128 ; 4-byte Folded Reload
	buffer_load_dword v23, off, s[0:3], s33 offset:132 ; 4-byte Folded Reload
	v_or_b32_e32 v6, 0x10000, v16
	s_waitcnt vmcnt(1)
	v_cmp_eq_u32_sdwa vcc, v16, v22 src0_sel:WORD_0 src1_sel:DWORD
	v_cndmask_b32_e32 v6, v6, v16, vcc
.LBB12_2227:                            ;   in Loop: Header=BB12_2087 Depth=3
	s_or_b64 exec, exec, s[30:31]
	v_lshlrev_b32_e32 v16, 16, v7
	v_lshlrev_b32_e32 v22, 16, v17
	v_max_f32_e32 v22, v22, v22
	v_max_f32_e32 v16, v16, v16
	s_waitcnt vmcnt(0)
	v_min_f32_e32 v23, v16, v22
	v_max_f32_e32 v16, v16, v22
	v_cndmask_b32_e64 v22, v16, v23, s[28:29]
	v_and_b32_e32 v16, 0x7f800000, v22
	v_cmp_ne_u32_e32 vcc, s56, v16
                                        ; implicit-def: $vgpr16
	s_and_saveexec_b64 s[30:31], vcc
	s_xor_b64 vcc, exec, s[30:31]
; %bb.2228:                             ;   in Loop: Header=BB12_2087 Depth=3
	v_bfe_u32 v16, v22, 16, 1
	v_add3_u32 v16, v22, v16, s57
                                        ; implicit-def: $vgpr22
; %bb.2229:                             ;   in Loop: Header=BB12_2087 Depth=3
	s_andn2_saveexec_b64 s[30:31], vcc
	s_cbranch_execz .LBB12_2231
; %bb.2230:                             ;   in Loop: Header=BB12_2087 Depth=3
	buffer_load_dword v32, off, s[0:3], s33 offset:128 ; 4-byte Folded Reload
	buffer_load_dword v33, off, s[0:3], s33 offset:132 ; 4-byte Folded Reload
	v_or_b32_e32 v16, 0x10000, v22
	s_waitcnt vmcnt(1)
	v_cmp_eq_u32_sdwa vcc, v22, v32 src0_sel:WORD_0 src1_sel:DWORD
	v_cndmask_b32_e32 v16, v16, v22, vcc
.LBB12_2231:                            ;   in Loop: Header=BB12_2087 Depth=3
	s_or_b64 exec, exec, s[30:31]
	v_and_b32_e32 v7, 0xffff0000, v7
	v_and_b32_e32 v17, 0xffff0000, v17
	v_max_f32_e32 v17, v17, v17
	v_max_f32_e32 v7, v7, v7
	v_min_f32_e32 v22, v7, v17
	v_max_f32_e32 v7, v7, v17
	v_cndmask_b32_e64 v17, v7, v22, s[28:29]
	v_and_b32_e32 v7, 0x7f800000, v17
	v_cmp_ne_u32_e32 vcc, s56, v7
                                        ; implicit-def: $vgpr7
	s_and_saveexec_b64 s[30:31], vcc
	s_xor_b64 vcc, exec, s[30:31]
; %bb.2232:                             ;   in Loop: Header=BB12_2087 Depth=3
	v_bfe_u32 v7, v17, 16, 1
	v_add3_u32 v7, v17, v7, s57
                                        ; implicit-def: $vgpr17
; %bb.2233:                             ;   in Loop: Header=BB12_2087 Depth=3
	s_andn2_saveexec_b64 s[30:31], vcc
	s_cbranch_execz .LBB12_2235
; %bb.2234:                             ;   in Loop: Header=BB12_2087 Depth=3
	buffer_load_dword v22, off, s[0:3], s33 offset:128 ; 4-byte Folded Reload
	buffer_load_dword v23, off, s[0:3], s33 offset:132 ; 4-byte Folded Reload
	v_or_b32_e32 v7, 0x10000, v17
	s_waitcnt vmcnt(1)
	v_cmp_eq_u32_sdwa vcc, v17, v22 src0_sel:WORD_0 src1_sel:DWORD
	v_cndmask_b32_e32 v7, v7, v17, vcc
.LBB12_2235:                            ;   in Loop: Header=BB12_2087 Depth=3
	s_or_b64 exec, exec, s[30:31]
	v_lshlrev_b32_e32 v17, 16, v8
	v_lshlrev_b32_e32 v22, 16, v18
	v_max_f32_e32 v22, v22, v22
	v_max_f32_e32 v17, v17, v17
	s_waitcnt vmcnt(0)
	v_min_f32_e32 v23, v17, v22
	v_max_f32_e32 v17, v17, v22
	v_cndmask_b32_e64 v22, v17, v23, s[28:29]
	v_and_b32_e32 v17, 0x7f800000, v22
	v_cmp_ne_u32_e32 vcc, s56, v17
                                        ; implicit-def: $vgpr17
	s_and_saveexec_b64 s[30:31], vcc
	s_xor_b64 vcc, exec, s[30:31]
; %bb.2236:                             ;   in Loop: Header=BB12_2087 Depth=3
	v_bfe_u32 v17, v22, 16, 1
	v_add3_u32 v17, v22, v17, s57
                                        ; implicit-def: $vgpr22
; %bb.2237:                             ;   in Loop: Header=BB12_2087 Depth=3
	s_andn2_saveexec_b64 s[30:31], vcc
	s_cbranch_execz .LBB12_2239
; %bb.2238:                             ;   in Loop: Header=BB12_2087 Depth=3
	buffer_load_dword v32, off, s[0:3], s33 offset:128 ; 4-byte Folded Reload
	buffer_load_dword v33, off, s[0:3], s33 offset:132 ; 4-byte Folded Reload
	v_or_b32_e32 v17, 0x10000, v22
	s_waitcnt vmcnt(1)
	v_cmp_eq_u32_sdwa vcc, v22, v32 src0_sel:WORD_0 src1_sel:DWORD
	v_cndmask_b32_e32 v17, v17, v22, vcc
.LBB12_2239:                            ;   in Loop: Header=BB12_2087 Depth=3
	s_or_b64 exec, exec, s[30:31]
	v_and_b32_e32 v8, 0xffff0000, v8
	v_and_b32_e32 v18, 0xffff0000, v18
	v_max_f32_e32 v18, v18, v18
	v_max_f32_e32 v8, v8, v8
	v_min_f32_e32 v22, v8, v18
	v_max_f32_e32 v8, v8, v18
	v_cndmask_b32_e64 v18, v8, v22, s[28:29]
	v_and_b32_e32 v8, 0x7f800000, v18
	v_cmp_ne_u32_e32 vcc, s56, v8
                                        ; implicit-def: $vgpr8
	s_and_saveexec_b64 s[30:31], vcc
	s_xor_b64 vcc, exec, s[30:31]
; %bb.2240:                             ;   in Loop: Header=BB12_2087 Depth=3
	v_bfe_u32 v8, v18, 16, 1
	v_add3_u32 v8, v18, v8, s57
                                        ; implicit-def: $vgpr18
; %bb.2241:                             ;   in Loop: Header=BB12_2087 Depth=3
	s_andn2_saveexec_b64 s[30:31], vcc
	s_cbranch_execz .LBB12_2243
; %bb.2242:                             ;   in Loop: Header=BB12_2087 Depth=3
	buffer_load_dword v22, off, s[0:3], s33 offset:128 ; 4-byte Folded Reload
	buffer_load_dword v23, off, s[0:3], s33 offset:132 ; 4-byte Folded Reload
	v_or_b32_e32 v8, 0x10000, v18
	s_waitcnt vmcnt(1)
	v_cmp_eq_u32_sdwa vcc, v18, v22 src0_sel:WORD_0 src1_sel:DWORD
	v_cndmask_b32_e32 v8, v8, v18, vcc
.LBB12_2243:                            ;   in Loop: Header=BB12_2087 Depth=3
	s_or_b64 exec, exec, s[30:31]
	v_lshlrev_b32_e32 v18, 16, v9
	v_lshlrev_b32_e32 v22, 16, v19
	v_max_f32_e32 v22, v22, v22
	v_max_f32_e32 v18, v18, v18
	s_waitcnt vmcnt(0)
	v_min_f32_e32 v23, v18, v22
	v_max_f32_e32 v18, v18, v22
	v_cndmask_b32_e64 v22, v18, v23, s[28:29]
	v_and_b32_e32 v18, 0x7f800000, v22
	v_cmp_ne_u32_e32 vcc, s56, v18
                                        ; implicit-def: $vgpr18
	s_and_saveexec_b64 s[30:31], vcc
	s_xor_b64 vcc, exec, s[30:31]
; %bb.2244:                             ;   in Loop: Header=BB12_2087 Depth=3
	v_bfe_u32 v18, v22, 16, 1
	v_add3_u32 v18, v22, v18, s57
                                        ; implicit-def: $vgpr22
; %bb.2245:                             ;   in Loop: Header=BB12_2087 Depth=3
	s_andn2_saveexec_b64 s[30:31], vcc
	s_cbranch_execz .LBB12_2247
; %bb.2246:                             ;   in Loop: Header=BB12_2087 Depth=3
	buffer_load_dword v32, off, s[0:3], s33 offset:128 ; 4-byte Folded Reload
	buffer_load_dword v33, off, s[0:3], s33 offset:132 ; 4-byte Folded Reload
	v_or_b32_e32 v18, 0x10000, v22
	s_waitcnt vmcnt(1)
	v_cmp_eq_u32_sdwa vcc, v22, v32 src0_sel:WORD_0 src1_sel:DWORD
	v_cndmask_b32_e32 v18, v18, v22, vcc
.LBB12_2247:                            ;   in Loop: Header=BB12_2087 Depth=3
	s_or_b64 exec, exec, s[30:31]
	v_and_b32_e32 v9, 0xffff0000, v9
	v_and_b32_e32 v19, 0xffff0000, v19
	v_max_f32_e32 v19, v19, v19
	v_max_f32_e32 v9, v9, v9
	v_min_f32_e32 v22, v9, v19
	v_max_f32_e32 v9, v9, v19
	v_cndmask_b32_e64 v19, v9, v22, s[28:29]
	v_and_b32_e32 v9, 0x7f800000, v19
	v_cmp_ne_u32_e32 vcc, s56, v9
                                        ; implicit-def: $vgpr9
	s_and_saveexec_b64 s[30:31], vcc
	s_xor_b64 vcc, exec, s[30:31]
; %bb.2248:                             ;   in Loop: Header=BB12_2087 Depth=3
	v_bfe_u32 v9, v19, 16, 1
	v_add3_u32 v9, v19, v9, s57
                                        ; implicit-def: $vgpr19
; %bb.2249:                             ;   in Loop: Header=BB12_2087 Depth=3
	s_andn2_saveexec_b64 s[30:31], vcc
	s_cbranch_execz .LBB12_2251
; %bb.2250:                             ;   in Loop: Header=BB12_2087 Depth=3
	buffer_load_dword v22, off, s[0:3], s33 offset:128 ; 4-byte Folded Reload
	buffer_load_dword v23, off, s[0:3], s33 offset:132 ; 4-byte Folded Reload
	v_or_b32_e32 v9, 0x10000, v19
	s_waitcnt vmcnt(1)
	v_cmp_eq_u32_sdwa vcc, v19, v22 src0_sel:WORD_0 src1_sel:DWORD
	v_cndmask_b32_e32 v9, v9, v19, vcc
.LBB12_2251:                            ;   in Loop: Header=BB12_2087 Depth=3
	s_or_b64 exec, exec, s[30:31]
	v_lshlrev_b32_e32 v19, 16, v2
	v_lshlrev_b32_e32 v22, 16, v28
	v_max_f32_e32 v22, v22, v22
	v_max_f32_e32 v19, v19, v19
	s_waitcnt vmcnt(0)
	v_min_f32_e32 v23, v19, v22
	v_max_f32_e32 v19, v19, v22
	v_cndmask_b32_e64 v22, v19, v23, s[28:29]
	v_and_b32_e32 v19, 0x7f800000, v22
	v_cmp_ne_u32_e32 vcc, s56, v19
                                        ; implicit-def: $vgpr19
	s_and_saveexec_b64 s[30:31], vcc
	s_xor_b64 vcc, exec, s[30:31]
; %bb.2252:                             ;   in Loop: Header=BB12_2087 Depth=3
	v_bfe_u32 v19, v22, 16, 1
	v_add3_u32 v19, v22, v19, s57
                                        ; implicit-def: $vgpr22
; %bb.2253:                             ;   in Loop: Header=BB12_2087 Depth=3
	s_andn2_saveexec_b64 s[30:31], vcc
	s_cbranch_execz .LBB12_2255
; %bb.2254:                             ;   in Loop: Header=BB12_2087 Depth=3
	buffer_load_dword v32, off, s[0:3], s33 offset:128 ; 4-byte Folded Reload
	buffer_load_dword v33, off, s[0:3], s33 offset:132 ; 4-byte Folded Reload
	v_or_b32_e32 v19, 0x10000, v22
	s_waitcnt vmcnt(1)
	v_cmp_eq_u32_sdwa vcc, v22, v32 src0_sel:WORD_0 src1_sel:DWORD
	v_cndmask_b32_e32 v19, v19, v22, vcc
.LBB12_2255:                            ;   in Loop: Header=BB12_2087 Depth=3
	s_or_b64 exec, exec, s[30:31]
	v_and_b32_e32 v2, 0xffff0000, v2
	v_and_b32_e32 v22, 0xffff0000, v28
	v_max_f32_e32 v22, v22, v22
	v_max_f32_e32 v2, v2, v2
	v_min_f32_e32 v23, v2, v22
	v_max_f32_e32 v2, v2, v22
	v_cndmask_b32_e64 v22, v2, v23, s[28:29]
	v_and_b32_e32 v2, 0x7f800000, v22
	v_cmp_ne_u32_e32 vcc, s56, v2
                                        ; implicit-def: $vgpr2
	s_and_saveexec_b64 s[30:31], vcc
	s_xor_b64 vcc, exec, s[30:31]
; %bb.2256:                             ;   in Loop: Header=BB12_2087 Depth=3
	v_bfe_u32 v2, v22, 16, 1
	v_add3_u32 v2, v22, v2, s57
                                        ; implicit-def: $vgpr22
; %bb.2257:                             ;   in Loop: Header=BB12_2087 Depth=3
	s_andn2_saveexec_b64 s[30:31], vcc
	s_cbranch_execz .LBB12_2259
; %bb.2258:                             ;   in Loop: Header=BB12_2087 Depth=3
	buffer_load_dword v32, off, s[0:3], s33 offset:128 ; 4-byte Folded Reload
	buffer_load_dword v33, off, s[0:3], s33 offset:132 ; 4-byte Folded Reload
	v_or_b32_e32 v2, 0x10000, v22
	s_waitcnt vmcnt(1)
	v_cmp_eq_u32_sdwa vcc, v22, v32 src0_sel:WORD_0 src1_sel:DWORD
	v_cndmask_b32_e32 v2, v2, v22, vcc
.LBB12_2259:                            ;   in Loop: Header=BB12_2087 Depth=3
	s_or_b64 exec, exec, s[30:31]
	v_lshlrev_b32_e32 v22, 16, v3
	v_lshlrev_b32_e32 v23, 16, v29
	v_max_f32_e32 v23, v23, v23
	v_max_f32_e32 v22, v22, v22
	v_min_f32_e32 v28, v22, v23
	v_max_f32_e32 v22, v22, v23
	v_cndmask_b32_e64 v22, v22, v28, s[28:29]
	v_and_b32_e32 v23, 0x7f800000, v22
	v_cmp_ne_u32_e32 vcc, s56, v23
                                        ; implicit-def: $vgpr23
	s_and_saveexec_b64 s[30:31], vcc
	s_xor_b64 vcc, exec, s[30:31]
; %bb.2260:                             ;   in Loop: Header=BB12_2087 Depth=3
	v_bfe_u32 v23, v22, 16, 1
	v_add3_u32 v23, v22, v23, s57
                                        ; implicit-def: $vgpr22
; %bb.2261:                             ;   in Loop: Header=BB12_2087 Depth=3
	s_andn2_saveexec_b64 s[30:31], vcc
	s_cbranch_execz .LBB12_2263
; %bb.2262:                             ;   in Loop: Header=BB12_2087 Depth=3
	buffer_load_dword v32, off, s[0:3], s33 offset:128 ; 4-byte Folded Reload
	buffer_load_dword v33, off, s[0:3], s33 offset:132 ; 4-byte Folded Reload
	v_or_b32_e32 v23, 0x10000, v22
	s_waitcnt vmcnt(1)
	v_cmp_eq_u32_sdwa vcc, v22, v32 src0_sel:WORD_0 src1_sel:DWORD
	v_cndmask_b32_e32 v23, v23, v22, vcc
.LBB12_2263:                            ;   in Loop: Header=BB12_2087 Depth=3
	s_or_b64 exec, exec, s[30:31]
	v_and_b32_e32 v3, 0xffff0000, v3
	v_and_b32_e32 v22, 0xffff0000, v29
	v_max_f32_e32 v22, v22, v22
	v_max_f32_e32 v3, v3, v3
	v_min_f32_e32 v28, v3, v22
	v_max_f32_e32 v3, v3, v22
	v_cndmask_b32_e64 v22, v3, v28, s[28:29]
	v_and_b32_e32 v3, 0x7f800000, v22
	v_cmp_ne_u32_e32 vcc, s56, v3
                                        ; implicit-def: $vgpr3
	s_and_saveexec_b64 s[30:31], vcc
	s_xor_b64 vcc, exec, s[30:31]
; %bb.2264:                             ;   in Loop: Header=BB12_2087 Depth=3
	v_bfe_u32 v3, v22, 16, 1
	v_add3_u32 v3, v22, v3, s57
                                        ; implicit-def: $vgpr22
; %bb.2265:                             ;   in Loop: Header=BB12_2087 Depth=3
	s_andn2_saveexec_b64 s[30:31], vcc
	s_cbranch_execz .LBB12_2267
; %bb.2266:                             ;   in Loop: Header=BB12_2087 Depth=3
	buffer_load_dword v28, off, s[0:3], s33 offset:128 ; 4-byte Folded Reload
	buffer_load_dword v29, off, s[0:3], s33 offset:132 ; 4-byte Folded Reload
	v_or_b32_e32 v3, 0x10000, v22
	s_waitcnt vmcnt(1)
	v_cmp_eq_u32_sdwa vcc, v22, v28 src0_sel:WORD_0 src1_sel:DWORD
	v_cndmask_b32_e32 v3, v3, v22, vcc
.LBB12_2267:                            ;   in Loop: Header=BB12_2087 Depth=3
	s_or_b64 exec, exec, s[30:31]
	v_lshlrev_b32_e32 v22, 16, v4
	v_lshlrev_b32_e32 v28, 16, v30
	v_max_f32_e32 v28, v28, v28
	v_max_f32_e32 v22, v22, v22
	s_waitcnt vmcnt(0)
	v_min_f32_e32 v29, v22, v28
	v_max_f32_e32 v22, v22, v28
	v_cndmask_b32_e64 v22, v22, v29, s[28:29]
	v_and_b32_e32 v28, 0x7f800000, v22
	v_cmp_ne_u32_e32 vcc, s56, v28
                                        ; implicit-def: $vgpr28
	s_and_saveexec_b64 s[30:31], vcc
	s_xor_b64 vcc, exec, s[30:31]
; %bb.2268:                             ;   in Loop: Header=BB12_2087 Depth=3
	v_bfe_u32 v28, v22, 16, 1
	v_add3_u32 v28, v22, v28, s57
                                        ; implicit-def: $vgpr22
; %bb.2269:                             ;   in Loop: Header=BB12_2087 Depth=3
	s_andn2_saveexec_b64 s[30:31], vcc
	s_cbranch_execz .LBB12_2271
; %bb.2270:                             ;   in Loop: Header=BB12_2087 Depth=3
	buffer_load_dword v32, off, s[0:3], s33 offset:128 ; 4-byte Folded Reload
	buffer_load_dword v33, off, s[0:3], s33 offset:132 ; 4-byte Folded Reload
	v_or_b32_e32 v28, 0x10000, v22
	s_waitcnt vmcnt(1)
	v_cmp_eq_u32_sdwa vcc, v22, v32 src0_sel:WORD_0 src1_sel:DWORD
	v_cndmask_b32_e32 v28, v28, v22, vcc
.LBB12_2271:                            ;   in Loop: Header=BB12_2087 Depth=3
	s_or_b64 exec, exec, s[30:31]
	v_and_b32_e32 v4, 0xffff0000, v4
	v_and_b32_e32 v22, 0xffff0000, v30
	v_max_f32_e32 v22, v22, v22
	v_max_f32_e32 v4, v4, v4
	v_min_f32_e32 v29, v4, v22
	v_max_f32_e32 v4, v4, v22
	v_cndmask_b32_e64 v22, v4, v29, s[28:29]
	v_and_b32_e32 v4, 0x7f800000, v22
	v_cmp_ne_u32_e32 vcc, s56, v4
                                        ; implicit-def: $vgpr4
	s_and_saveexec_b64 s[30:31], vcc
	s_xor_b64 vcc, exec, s[30:31]
; %bb.2272:                             ;   in Loop: Header=BB12_2087 Depth=3
	v_bfe_u32 v4, v22, 16, 1
	v_add3_u32 v4, v22, v4, s57
                                        ; implicit-def: $vgpr22
; %bb.2273:                             ;   in Loop: Header=BB12_2087 Depth=3
	s_andn2_saveexec_b64 s[30:31], vcc
	s_cbranch_execz .LBB12_2275
; %bb.2274:                             ;   in Loop: Header=BB12_2087 Depth=3
	buffer_load_dword v29, off, s[0:3], s33 offset:128 ; 4-byte Folded Reload
	buffer_load_dword v30, off, s[0:3], s33 offset:132 ; 4-byte Folded Reload
	v_or_b32_e32 v4, 0x10000, v22
	s_waitcnt vmcnt(1)
	v_cmp_eq_u32_sdwa vcc, v22, v29 src0_sel:WORD_0 src1_sel:DWORD
	v_cndmask_b32_e32 v4, v4, v22, vcc
.LBB12_2275:                            ;   in Loop: Header=BB12_2087 Depth=3
	s_or_b64 exec, exec, s[30:31]
	v_lshlrev_b32_e32 v22, 16, v5
	v_lshlrev_b32_e32 v29, 16, v31
	v_max_f32_e32 v29, v29, v29
	v_max_f32_e32 v22, v22, v22
	s_waitcnt vmcnt(0)
	v_min_f32_e32 v30, v22, v29
	v_max_f32_e32 v22, v22, v29
	v_cndmask_b32_e64 v22, v22, v30, s[28:29]
	v_and_b32_e32 v29, 0x7f800000, v22
	v_cmp_ne_u32_e32 vcc, s56, v29
                                        ; implicit-def: $vgpr29
	s_and_saveexec_b64 s[30:31], vcc
	s_xor_b64 vcc, exec, s[30:31]
; %bb.2276:                             ;   in Loop: Header=BB12_2087 Depth=3
	v_bfe_u32 v29, v22, 16, 1
	v_add3_u32 v29, v22, v29, s57
                                        ; implicit-def: $vgpr22
; %bb.2277:                             ;   in Loop: Header=BB12_2087 Depth=3
	s_andn2_saveexec_b64 s[30:31], vcc
	s_cbranch_execz .LBB12_2279
; %bb.2278:                             ;   in Loop: Header=BB12_2087 Depth=3
	buffer_load_dword v32, off, s[0:3], s33 offset:128 ; 4-byte Folded Reload
	buffer_load_dword v33, off, s[0:3], s33 offset:132 ; 4-byte Folded Reload
	v_or_b32_e32 v29, 0x10000, v22
	s_waitcnt vmcnt(1)
	v_cmp_eq_u32_sdwa vcc, v22, v32 src0_sel:WORD_0 src1_sel:DWORD
	v_cndmask_b32_e32 v29, v29, v22, vcc
.LBB12_2279:                            ;   in Loop: Header=BB12_2087 Depth=3
	s_or_b64 exec, exec, s[30:31]
	v_and_b32_e32 v5, 0xffff0000, v5
	v_and_b32_e32 v22, 0xffff0000, v31
	v_max_f32_e32 v22, v22, v22
	v_max_f32_e32 v5, v5, v5
	v_min_f32_e32 v30, v5, v22
	v_max_f32_e32 v5, v5, v22
	v_cndmask_b32_e64 v22, v5, v30, s[28:29]
	v_and_b32_e32 v5, 0x7f800000, v22
	v_cmp_ne_u32_e32 vcc, s56, v5
                                        ; implicit-def: $vgpr5
	s_and_saveexec_b64 s[30:31], vcc
	s_xor_b64 vcc, exec, s[30:31]
; %bb.2280:                             ;   in Loop: Header=BB12_2087 Depth=3
	v_bfe_u32 v5, v22, 16, 1
	v_add3_u32 v5, v22, v5, s57
                                        ; implicit-def: $vgpr22
; %bb.2281:                             ;   in Loop: Header=BB12_2087 Depth=3
	s_andn2_saveexec_b64 s[30:31], vcc
	s_cbranch_execz .LBB12_2283
; %bb.2282:                             ;   in Loop: Header=BB12_2087 Depth=3
	buffer_load_dword v30, off, s[0:3], s33 offset:128 ; 4-byte Folded Reload
	buffer_load_dword v31, off, s[0:3], s33 offset:132 ; 4-byte Folded Reload
	v_or_b32_e32 v5, 0x10000, v22
	s_waitcnt vmcnt(1)
	v_cmp_eq_u32_sdwa vcc, v22, v30 src0_sel:WORD_0 src1_sel:DWORD
	v_cndmask_b32_e32 v5, v5, v22, vcc
.LBB12_2283:                            ;   in Loop: Header=BB12_2087 Depth=3
	s_or_b64 exec, exec, s[30:31]
	v_lshlrev_b32_e32 v22, 16, v40
	v_lshlrev_b32_e32 v30, 16, v44
	v_max_f32_e32 v30, v30, v30
	v_max_f32_e32 v22, v22, v22
	s_waitcnt vmcnt(0)
	v_min_f32_e32 v31, v22, v30
	v_max_f32_e32 v22, v22, v30
	v_cndmask_b32_e64 v22, v22, v31, s[28:29]
	v_and_b32_e32 v30, 0x7f800000, v22
	v_cmp_ne_u32_e32 vcc, s56, v30
                                        ; implicit-def: $vgpr30
	s_and_saveexec_b64 s[30:31], vcc
	s_xor_b64 vcc, exec, s[30:31]
; %bb.2284:                             ;   in Loop: Header=BB12_2087 Depth=3
	v_bfe_u32 v30, v22, 16, 1
	v_add3_u32 v30, v22, v30, s57
                                        ; implicit-def: $vgpr22
; %bb.2285:                             ;   in Loop: Header=BB12_2087 Depth=3
	s_andn2_saveexec_b64 s[30:31], vcc
	s_cbranch_execz .LBB12_2287
; %bb.2286:                             ;   in Loop: Header=BB12_2087 Depth=3
	buffer_load_dword v31, off, s[0:3], s33 offset:128 ; 4-byte Folded Reload
	buffer_load_dword v32, off, s[0:3], s33 offset:132 ; 4-byte Folded Reload
	v_or_b32_e32 v30, 0x10000, v22
	s_waitcnt vmcnt(1)
	v_cmp_eq_u32_sdwa vcc, v22, v31 src0_sel:WORD_0 src1_sel:DWORD
	v_cndmask_b32_e32 v30, v30, v22, vcc
.LBB12_2287:                            ;   in Loop: Header=BB12_2087 Depth=3
	s_or_b64 exec, exec, s[30:31]
	v_and_b32_e32 v22, 0xffff0000, v40
	v_and_b32_e32 v31, 0xffff0000, v44
	v_max_f32_e32 v31, v31, v31
	v_max_f32_e32 v22, v22, v22
	s_waitcnt vmcnt(0)
	v_min_f32_e32 v32, v22, v31
	v_max_f32_e32 v22, v22, v31
	v_cndmask_b32_e64 v22, v22, v32, s[28:29]
	v_and_b32_e32 v31, 0x7f800000, v22
	v_cmp_ne_u32_e32 vcc, s56, v31
                                        ; implicit-def: $vgpr31
	s_and_saveexec_b64 s[30:31], vcc
	s_xor_b64 vcc, exec, s[30:31]
; %bb.2288:                             ;   in Loop: Header=BB12_2087 Depth=3
	v_bfe_u32 v31, v22, 16, 1
	v_add3_u32 v31, v22, v31, s57
                                        ; implicit-def: $vgpr22
; %bb.2289:                             ;   in Loop: Header=BB12_2087 Depth=3
	s_andn2_saveexec_b64 s[30:31], vcc
	s_cbranch_execz .LBB12_2291
; %bb.2290:                             ;   in Loop: Header=BB12_2087 Depth=3
	buffer_load_dword v32, off, s[0:3], s33 offset:128 ; 4-byte Folded Reload
	buffer_load_dword v33, off, s[0:3], s33 offset:132 ; 4-byte Folded Reload
	v_or_b32_e32 v31, 0x10000, v22
	s_waitcnt vmcnt(1)
	v_cmp_eq_u32_sdwa vcc, v22, v32 src0_sel:WORD_0 src1_sel:DWORD
	v_cndmask_b32_e32 v31, v31, v22, vcc
.LBB12_2291:                            ;   in Loop: Header=BB12_2087 Depth=3
	s_or_b64 exec, exec, s[30:31]
	v_lshlrev_b32_e32 v22, 16, v41
	v_lshlrev_b32_e32 v32, 16, v45
	v_max_f32_e32 v32, v32, v32
	v_max_f32_e32 v22, v22, v22
	s_waitcnt vmcnt(0)
	v_min_f32_e32 v33, v22, v32
	v_max_f32_e32 v22, v22, v32
	v_cndmask_b32_e64 v22, v22, v33, s[28:29]
	v_and_b32_e32 v32, 0x7f800000, v22
	v_cmp_ne_u32_e32 vcc, s56, v32
                                        ; implicit-def: $vgpr40
	s_and_saveexec_b64 s[30:31], vcc
	s_xor_b64 vcc, exec, s[30:31]
; %bb.2292:                             ;   in Loop: Header=BB12_2087 Depth=3
	v_bfe_u32 v32, v22, 16, 1
	v_add3_u32 v40, v22, v32, s57
                                        ; implicit-def: $vgpr22
; %bb.2293:                             ;   in Loop: Header=BB12_2087 Depth=3
	s_andn2_saveexec_b64 s[30:31], vcc
	s_cbranch_execz .LBB12_2295
; %bb.2294:                             ;   in Loop: Header=BB12_2087 Depth=3
	buffer_load_dword v33, off, s[0:3], s33 offset:128 ; 4-byte Folded Reload
	buffer_load_dword v34, off, s[0:3], s33 offset:132 ; 4-byte Folded Reload
	v_or_b32_e32 v32, 0x10000, v22
	s_waitcnt vmcnt(1)
	v_cmp_eq_u32_sdwa vcc, v22, v33 src0_sel:WORD_0 src1_sel:DWORD
	v_cndmask_b32_e32 v40, v32, v22, vcc
.LBB12_2295:                            ;   in Loop: Header=BB12_2087 Depth=3
	s_or_b64 exec, exec, s[30:31]
	v_and_b32_e32 v22, 0xffff0000, v41
	v_and_b32_e32 v32, 0xffff0000, v45
	v_max_f32_e32 v32, v32, v32
	v_max_f32_e32 v22, v22, v22
	v_min_f32_e32 v33, v22, v32
	v_max_f32_e32 v22, v22, v32
	v_cndmask_b32_e64 v22, v22, v33, s[28:29]
	v_and_b32_e32 v32, 0x7f800000, v22
	v_cmp_ne_u32_e32 vcc, s56, v32
                                        ; implicit-def: $vgpr41
	s_and_saveexec_b64 s[30:31], vcc
	s_xor_b64 vcc, exec, s[30:31]
; %bb.2296:                             ;   in Loop: Header=BB12_2087 Depth=3
	v_bfe_u32 v32, v22, 16, 1
	v_add3_u32 v41, v22, v32, s57
                                        ; implicit-def: $vgpr22
; %bb.2297:                             ;   in Loop: Header=BB12_2087 Depth=3
	s_andn2_saveexec_b64 s[30:31], vcc
	s_cbranch_execz .LBB12_2299
; %bb.2298:                             ;   in Loop: Header=BB12_2087 Depth=3
	buffer_load_dword v33, off, s[0:3], s33 offset:128 ; 4-byte Folded Reload
	buffer_load_dword v34, off, s[0:3], s33 offset:132 ; 4-byte Folded Reload
	v_or_b32_e32 v32, 0x10000, v22
	s_waitcnt vmcnt(1)
	v_cmp_eq_u32_sdwa vcc, v22, v33 src0_sel:WORD_0 src1_sel:DWORD
	v_cndmask_b32_e32 v41, v32, v22, vcc
.LBB12_2299:                            ;   in Loop: Header=BB12_2087 Depth=3
	s_or_b64 exec, exec, s[30:31]
	v_lshlrev_b32_e32 v22, 16, v42
	v_lshlrev_b32_e32 v32, 16, v46
	v_max_f32_e32 v32, v32, v32
	v_max_f32_e32 v22, v22, v22
	v_min_f32_e32 v33, v22, v32
	v_max_f32_e32 v22, v22, v32
	v_cndmask_b32_e64 v22, v22, v33, s[28:29]
	v_and_b32_e32 v32, 0x7f800000, v22
	v_cmp_ne_u32_e32 vcc, s56, v32
                                        ; implicit-def: $vgpr44
	s_and_saveexec_b64 s[30:31], vcc
	s_xor_b64 vcc, exec, s[30:31]
; %bb.2300:                             ;   in Loop: Header=BB12_2087 Depth=3
	v_bfe_u32 v32, v22, 16, 1
	v_add3_u32 v44, v22, v32, s57
                                        ; implicit-def: $vgpr22
; %bb.2301:                             ;   in Loop: Header=BB12_2087 Depth=3
	s_andn2_saveexec_b64 s[30:31], vcc
	s_cbranch_execz .LBB12_2303
; %bb.2302:                             ;   in Loop: Header=BB12_2087 Depth=3
	buffer_load_dword v33, off, s[0:3], s33 offset:128 ; 4-byte Folded Reload
	buffer_load_dword v34, off, s[0:3], s33 offset:132 ; 4-byte Folded Reload
	v_or_b32_e32 v32, 0x10000, v22
	s_waitcnt vmcnt(1)
	v_cmp_eq_u32_sdwa vcc, v22, v33 src0_sel:WORD_0 src1_sel:DWORD
	v_cndmask_b32_e32 v44, v32, v22, vcc
.LBB12_2303:                            ;   in Loop: Header=BB12_2087 Depth=3
	s_or_b64 exec, exec, s[30:31]
	v_and_b32_e32 v22, 0xffff0000, v42
	v_and_b32_e32 v32, 0xffff0000, v46
	v_max_f32_e32 v32, v32, v32
	v_max_f32_e32 v22, v22, v22
	v_min_f32_e32 v33, v22, v32
	v_max_f32_e32 v22, v22, v32
	v_cndmask_b32_e64 v22, v22, v33, s[28:29]
	v_and_b32_e32 v32, 0x7f800000, v22
	v_cmp_ne_u32_e32 vcc, s56, v32
                                        ; implicit-def: $vgpr42
	s_and_saveexec_b64 s[30:31], vcc
	s_xor_b64 vcc, exec, s[30:31]
; %bb.2304:                             ;   in Loop: Header=BB12_2087 Depth=3
	v_bfe_u32 v32, v22, 16, 1
	v_add3_u32 v42, v22, v32, s57
                                        ; implicit-def: $vgpr22
; %bb.2305:                             ;   in Loop: Header=BB12_2087 Depth=3
	s_andn2_saveexec_b64 s[30:31], vcc
	s_cbranch_execz .LBB12_2307
; %bb.2306:                             ;   in Loop: Header=BB12_2087 Depth=3
	buffer_load_dword v33, off, s[0:3], s33 offset:128 ; 4-byte Folded Reload
	buffer_load_dword v34, off, s[0:3], s33 offset:132 ; 4-byte Folded Reload
	v_or_b32_e32 v32, 0x10000, v22
	s_waitcnt vmcnt(1)
	v_cmp_eq_u32_sdwa vcc, v22, v33 src0_sel:WORD_0 src1_sel:DWORD
	v_cndmask_b32_e32 v42, v32, v22, vcc
.LBB12_2307:                            ;   in Loop: Header=BB12_2087 Depth=3
	s_or_b64 exec, exec, s[30:31]
	v_lshlrev_b32_e32 v22, 16, v43
	v_lshlrev_b32_e32 v32, 16, v47
	v_max_f32_e32 v32, v32, v32
	v_max_f32_e32 v22, v22, v22
	v_min_f32_e32 v33, v22, v32
	v_max_f32_e32 v22, v22, v32
	v_cndmask_b32_e64 v22, v22, v33, s[28:29]
	v_and_b32_e32 v32, 0x7f800000, v22
	v_cmp_ne_u32_e32 vcc, s56, v32
                                        ; implicit-def: $vgpr45
	s_and_saveexec_b64 s[30:31], vcc
	s_xor_b64 vcc, exec, s[30:31]
; %bb.2308:                             ;   in Loop: Header=BB12_2087 Depth=3
	v_bfe_u32 v32, v22, 16, 1
	v_add3_u32 v45, v22, v32, s57
                                        ; implicit-def: $vgpr22
; %bb.2309:                             ;   in Loop: Header=BB12_2087 Depth=3
	s_andn2_saveexec_b64 s[30:31], vcc
	s_cbranch_execz .LBB12_2311
; %bb.2310:                             ;   in Loop: Header=BB12_2087 Depth=3
	buffer_load_dword v33, off, s[0:3], s33 offset:128 ; 4-byte Folded Reload
	buffer_load_dword v34, off, s[0:3], s33 offset:132 ; 4-byte Folded Reload
	v_or_b32_e32 v32, 0x10000, v22
	s_waitcnt vmcnt(1)
	v_cmp_eq_u32_sdwa vcc, v22, v33 src0_sel:WORD_0 src1_sel:DWORD
	v_cndmask_b32_e32 v45, v32, v22, vcc
.LBB12_2311:                            ;   in Loop: Header=BB12_2087 Depth=3
	s_or_b64 exec, exec, s[30:31]
	v_and_b32_e32 v22, 0xffff0000, v43
	v_and_b32_e32 v32, 0xffff0000, v47
	v_max_f32_e32 v32, v32, v32
	v_max_f32_e32 v22, v22, v22
	v_min_f32_e32 v33, v22, v32
	v_max_f32_e32 v22, v22, v32
	v_cndmask_b32_e64 v22, v22, v33, s[28:29]
	v_and_b32_e32 v32, 0x7f800000, v22
	v_cmp_ne_u32_e32 vcc, s56, v32
                                        ; implicit-def: $vgpr43
	s_and_saveexec_b64 s[30:31], vcc
	s_xor_b64 vcc, exec, s[30:31]
; %bb.2312:                             ;   in Loop: Header=BB12_2087 Depth=3
	v_bfe_u32 v32, v22, 16, 1
	v_add3_u32 v43, v22, v32, s57
                                        ; implicit-def: $vgpr22
; %bb.2313:                             ;   in Loop: Header=BB12_2087 Depth=3
	s_andn2_saveexec_b64 s[30:31], vcc
	s_cbranch_execz .LBB12_2315
; %bb.2314:                             ;   in Loop: Header=BB12_2087 Depth=3
	buffer_load_dword v33, off, s[0:3], s33 offset:128 ; 4-byte Folded Reload
	buffer_load_dword v34, off, s[0:3], s33 offset:132 ; 4-byte Folded Reload
	v_or_b32_e32 v32, 0x10000, v22
	s_waitcnt vmcnt(1)
	v_cmp_eq_u32_sdwa vcc, v22, v33 src0_sel:WORD_0 src1_sel:DWORD
	v_cndmask_b32_e32 v43, v32, v22, vcc
.LBB12_2315:                            ;   in Loop: Header=BB12_2087 Depth=3
	s_or_b64 exec, exec, s[30:31]
	v_lshlrev_b32_e32 v22, 16, v48
	v_lshlrev_b32_e32 v32, 16, v52
	v_max_f32_e32 v32, v32, v32
	v_max_f32_e32 v22, v22, v22
	v_min_f32_e32 v33, v22, v32
	v_max_f32_e32 v22, v22, v32
	v_cndmask_b32_e64 v22, v22, v33, s[28:29]
	v_and_b32_e32 v32, 0x7f800000, v22
	v_cmp_ne_u32_e32 vcc, s56, v32
                                        ; implicit-def: $vgpr46
	s_and_saveexec_b64 s[30:31], vcc
	s_xor_b64 vcc, exec, s[30:31]
; %bb.2316:                             ;   in Loop: Header=BB12_2087 Depth=3
	v_bfe_u32 v32, v22, 16, 1
	v_add3_u32 v46, v22, v32, s57
                                        ; implicit-def: $vgpr22
; %bb.2317:                             ;   in Loop: Header=BB12_2087 Depth=3
	s_andn2_saveexec_b64 s[30:31], vcc
	s_cbranch_execz .LBB12_2319
; %bb.2318:                             ;   in Loop: Header=BB12_2087 Depth=3
	buffer_load_dword v33, off, s[0:3], s33 offset:128 ; 4-byte Folded Reload
	buffer_load_dword v34, off, s[0:3], s33 offset:132 ; 4-byte Folded Reload
	v_or_b32_e32 v32, 0x10000, v22
	s_waitcnt vmcnt(1)
	v_cmp_eq_u32_sdwa vcc, v22, v33 src0_sel:WORD_0 src1_sel:DWORD
	v_cndmask_b32_e32 v46, v32, v22, vcc
.LBB12_2319:                            ;   in Loop: Header=BB12_2087 Depth=3
	s_or_b64 exec, exec, s[30:31]
	v_and_b32_e32 v22, 0xffff0000, v48
	v_and_b32_e32 v32, 0xffff0000, v52
	v_max_f32_e32 v32, v32, v32
	v_max_f32_e32 v22, v22, v22
	v_min_f32_e32 v33, v22, v32
	v_max_f32_e32 v22, v22, v32
	v_cndmask_b32_e64 v22, v22, v33, s[28:29]
	v_and_b32_e32 v32, 0x7f800000, v22
	v_cmp_ne_u32_e32 vcc, s56, v32
                                        ; implicit-def: $vgpr48
	s_and_saveexec_b64 s[30:31], vcc
	s_xor_b64 vcc, exec, s[30:31]
; %bb.2320:                             ;   in Loop: Header=BB12_2087 Depth=3
	v_bfe_u32 v32, v22, 16, 1
	v_add3_u32 v48, v22, v32, s57
                                        ; implicit-def: $vgpr22
; %bb.2321:                             ;   in Loop: Header=BB12_2087 Depth=3
	s_andn2_saveexec_b64 s[30:31], vcc
	s_cbranch_execz .LBB12_2323
; %bb.2322:                             ;   in Loop: Header=BB12_2087 Depth=3
	buffer_load_dword v33, off, s[0:3], s33 offset:128 ; 4-byte Folded Reload
	buffer_load_dword v34, off, s[0:3], s33 offset:132 ; 4-byte Folded Reload
	v_or_b32_e32 v32, 0x10000, v22
	s_waitcnt vmcnt(1)
	v_cmp_eq_u32_sdwa vcc, v22, v33 src0_sel:WORD_0 src1_sel:DWORD
	v_cndmask_b32_e32 v48, v32, v22, vcc
.LBB12_2323:                            ;   in Loop: Header=BB12_2087 Depth=3
	s_or_b64 exec, exec, s[30:31]
	v_lshlrev_b32_e32 v22, 16, v49
	v_lshlrev_b32_e32 v32, 16, v53
	v_max_f32_e32 v32, v32, v32
	v_max_f32_e32 v22, v22, v22
	v_min_f32_e32 v33, v22, v32
	v_max_f32_e32 v22, v22, v32
	v_cndmask_b32_e64 v32, v22, v33, s[28:29]
	v_and_b32_e32 v22, 0x7f800000, v32
	v_cmp_ne_u32_e32 vcc, s56, v22
                                        ; implicit-def: $vgpr22
	s_and_saveexec_b64 s[30:31], vcc
	s_xor_b64 vcc, exec, s[30:31]
; %bb.2324:                             ;   in Loop: Header=BB12_2087 Depth=3
	v_bfe_u32 v22, v32, 16, 1
	v_add3_u32 v22, v32, v22, s57
                                        ; implicit-def: $vgpr32
; %bb.2325:                             ;   in Loop: Header=BB12_2087 Depth=3
	s_andn2_saveexec_b64 s[30:31], vcc
	s_cbranch_execz .LBB12_2327
; %bb.2326:                             ;   in Loop: Header=BB12_2087 Depth=3
	buffer_load_dword v33, off, s[0:3], s33 offset:128 ; 4-byte Folded Reload
	buffer_load_dword v34, off, s[0:3], s33 offset:132 ; 4-byte Folded Reload
	v_or_b32_e32 v22, 0x10000, v32
	s_waitcnt vmcnt(1)
	v_cmp_eq_u32_sdwa vcc, v32, v33 src0_sel:WORD_0 src1_sel:DWORD
	v_cndmask_b32_e32 v22, v22, v32, vcc
.LBB12_2327:                            ;   in Loop: Header=BB12_2087 Depth=3
	s_or_b64 exec, exec, s[30:31]
	v_and_b32_e32 v32, 0xffff0000, v49
	v_and_b32_e32 v33, 0xffff0000, v53
	v_max_f32_e32 v33, v33, v33
	v_max_f32_e32 v32, v32, v32
	s_waitcnt vmcnt(0)
	v_min_f32_e32 v34, v32, v33
	v_max_f32_e32 v32, v32, v33
	v_cndmask_b32_e64 v32, v32, v34, s[28:29]
	v_and_b32_e32 v33, 0x7f800000, v32
	v_cmp_ne_u32_e32 vcc, s56, v33
                                        ; implicit-def: $vgpr49
	s_and_saveexec_b64 s[30:31], vcc
	s_xor_b64 vcc, exec, s[30:31]
; %bb.2328:                             ;   in Loop: Header=BB12_2087 Depth=3
	v_bfe_u32 v33, v32, 16, 1
	v_add3_u32 v49, v32, v33, s57
                                        ; implicit-def: $vgpr32
; %bb.2329:                             ;   in Loop: Header=BB12_2087 Depth=3
	s_andn2_saveexec_b64 s[30:31], vcc
	s_cbranch_execz .LBB12_2331
; %bb.2330:                             ;   in Loop: Header=BB12_2087 Depth=3
	buffer_load_dword v34, off, s[0:3], s33 offset:128 ; 4-byte Folded Reload
	buffer_load_dword v35, off, s[0:3], s33 offset:132 ; 4-byte Folded Reload
	v_or_b32_e32 v33, 0x10000, v32
	s_waitcnt vmcnt(1)
	v_cmp_eq_u32_sdwa vcc, v32, v34 src0_sel:WORD_0 src1_sel:DWORD
	v_cndmask_b32_e32 v49, v33, v32, vcc
.LBB12_2331:                            ;   in Loop: Header=BB12_2087 Depth=3
	s_or_b64 exec, exec, s[30:31]
	v_lshlrev_b32_e32 v32, 16, v50
	v_lshlrev_b32_e32 v33, 16, v54
	v_max_f32_e32 v33, v33, v33
	v_max_f32_e32 v32, v32, v32
	v_min_f32_e32 v34, v32, v33
	v_max_f32_e32 v32, v32, v33
	v_cndmask_b32_e64 v32, v32, v34, s[28:29]
	v_and_b32_e32 v33, 0x7f800000, v32
	v_cmp_ne_u32_e32 vcc, s56, v33
                                        ; implicit-def: $vgpr52
	s_and_saveexec_b64 s[30:31], vcc
	s_xor_b64 vcc, exec, s[30:31]
; %bb.2332:                             ;   in Loop: Header=BB12_2087 Depth=3
	v_bfe_u32 v33, v32, 16, 1
	v_add3_u32 v52, v32, v33, s57
                                        ; implicit-def: $vgpr32
; %bb.2333:                             ;   in Loop: Header=BB12_2087 Depth=3
	s_andn2_saveexec_b64 s[30:31], vcc
	s_cbranch_execz .LBB12_2335
; %bb.2334:                             ;   in Loop: Header=BB12_2087 Depth=3
	buffer_load_dword v34, off, s[0:3], s33 offset:128 ; 4-byte Folded Reload
	buffer_load_dword v35, off, s[0:3], s33 offset:132 ; 4-byte Folded Reload
	v_or_b32_e32 v33, 0x10000, v32
	s_waitcnt vmcnt(1)
	v_cmp_eq_u32_sdwa vcc, v32, v34 src0_sel:WORD_0 src1_sel:DWORD
	v_cndmask_b32_e32 v52, v33, v32, vcc
.LBB12_2335:                            ;   in Loop: Header=BB12_2087 Depth=3
	s_or_b64 exec, exec, s[30:31]
	v_and_b32_e32 v32, 0xffff0000, v50
	v_and_b32_e32 v33, 0xffff0000, v54
	v_max_f32_e32 v33, v33, v33
	v_max_f32_e32 v32, v32, v32
	v_min_f32_e32 v34, v32, v33
	v_max_f32_e32 v32, v32, v33
	v_cndmask_b32_e64 v32, v32, v34, s[28:29]
	v_and_b32_e32 v33, 0x7f800000, v32
	v_cmp_ne_u32_e32 vcc, s56, v33
                                        ; implicit-def: $vgpr50
	s_and_saveexec_b64 s[30:31], vcc
	s_xor_b64 vcc, exec, s[30:31]
; %bb.2336:                             ;   in Loop: Header=BB12_2087 Depth=3
	v_bfe_u32 v33, v32, 16, 1
	v_add3_u32 v50, v32, v33, s57
                                        ; implicit-def: $vgpr32
; %bb.2337:                             ;   in Loop: Header=BB12_2087 Depth=3
	s_andn2_saveexec_b64 s[30:31], vcc
	s_cbranch_execz .LBB12_2339
; %bb.2338:                             ;   in Loop: Header=BB12_2087 Depth=3
	buffer_load_dword v34, off, s[0:3], s33 offset:128 ; 4-byte Folded Reload
	buffer_load_dword v35, off, s[0:3], s33 offset:132 ; 4-byte Folded Reload
	v_or_b32_e32 v33, 0x10000, v32
	s_waitcnt vmcnt(1)
	v_cmp_eq_u32_sdwa vcc, v32, v34 src0_sel:WORD_0 src1_sel:DWORD
	v_cndmask_b32_e32 v50, v33, v32, vcc
.LBB12_2339:                            ;   in Loop: Header=BB12_2087 Depth=3
	s_or_b64 exec, exec, s[30:31]
	v_lshlrev_b32_e32 v32, 16, v51
	v_lshlrev_b32_e32 v33, 16, v55
	v_max_f32_e32 v33, v33, v33
	v_max_f32_e32 v32, v32, v32
	v_min_f32_e32 v34, v32, v33
	v_max_f32_e32 v32, v32, v33
	v_cndmask_b32_e64 v33, v32, v34, s[28:29]
	v_and_b32_e32 v32, 0x7f800000, v33
	v_cmp_ne_u32_e32 vcc, s56, v32
                                        ; implicit-def: $vgpr32
	s_and_saveexec_b64 s[30:31], vcc
	s_xor_b64 vcc, exec, s[30:31]
; %bb.2340:                             ;   in Loop: Header=BB12_2087 Depth=3
	v_bfe_u32 v32, v33, 16, 1
	v_add3_u32 v32, v33, v32, s57
                                        ; implicit-def: $vgpr33
; %bb.2341:                             ;   in Loop: Header=BB12_2087 Depth=3
	s_andn2_saveexec_b64 s[30:31], vcc
	s_cbranch_execz .LBB12_2343
; %bb.2342:                             ;   in Loop: Header=BB12_2087 Depth=3
	buffer_load_dword v34, off, s[0:3], s33 offset:128 ; 4-byte Folded Reload
	buffer_load_dword v35, off, s[0:3], s33 offset:132 ; 4-byte Folded Reload
	v_or_b32_e32 v32, 0x10000, v33
	s_waitcnt vmcnt(1)
	v_cmp_eq_u32_sdwa vcc, v33, v34 src0_sel:WORD_0 src1_sel:DWORD
	v_cndmask_b32_e32 v32, v32, v33, vcc
.LBB12_2343:                            ;   in Loop: Header=BB12_2087 Depth=3
	s_or_b64 exec, exec, s[30:31]
	v_and_b32_e32 v33, 0xffff0000, v51
	v_and_b32_e32 v34, 0xffff0000, v55
	v_max_f32_e32 v34, v34, v34
	v_max_f32_e32 v33, v33, v33
	s_waitcnt vmcnt(0)
	v_min_f32_e32 v35, v33, v34
	v_max_f32_e32 v33, v33, v34
	v_cndmask_b32_e64 v34, v33, v35, s[28:29]
	v_and_b32_e32 v33, 0x7f800000, v34
	v_cmp_ne_u32_e32 vcc, s56, v33
                                        ; implicit-def: $vgpr33
	s_and_saveexec_b64 s[30:31], vcc
	s_xor_b64 vcc, exec, s[30:31]
; %bb.2344:                             ;   in Loop: Header=BB12_2087 Depth=3
	v_bfe_u32 v33, v34, 16, 1
	v_add3_u32 v33, v34, v33, s57
                                        ; implicit-def: $vgpr34
; %bb.2345:                             ;   in Loop: Header=BB12_2087 Depth=3
	s_andn2_saveexec_b64 s[30:31], vcc
	s_cbranch_execz .LBB12_2347
; %bb.2346:                             ;   in Loop: Header=BB12_2087 Depth=3
	buffer_load_dword v53, off, s[0:3], s33 offset:128 ; 4-byte Folded Reload
	buffer_load_dword v54, off, s[0:3], s33 offset:132 ; 4-byte Folded Reload
	v_or_b32_e32 v33, 0x10000, v34
	s_waitcnt vmcnt(1)
	v_cmp_eq_u32_sdwa vcc, v34, v53 src0_sel:WORD_0 src1_sel:DWORD
	v_cndmask_b32_e32 v33, v33, v34, vcc
.LBB12_2347:                            ;   in Loop: Header=BB12_2087 Depth=3
	s_or_b64 exec, exec, s[30:31]
	v_lshrrev_b32_e32 v16, 16, v16
	v_and_or_b32 v7, v7, s46, v16
	v_lshrrev_b32_e32 v16, 16, v60
	v_lshrrev_b32_e32 v19, 16, v19
	v_and_or_b32 v6, v6, s46, v16
	v_lshrrev_b32_e32 v16, 16, v17
	;; [unrolled: 3-line block ×3, first 2 shown]
	v_and_or_b32 v8, v8, s46, v16
	v_lshrrev_b32_e32 v16, 16, v18
	v_lshrrev_b32_e32 v34, 16, v40
	v_and_or_b32 v40, v31, s46, v30
	v_lshrrev_b32_e32 v30, 16, v44
	v_and_or_b32 v4, v4, s46, v19
	;; [unrolled: 2-line block ×4, first 2 shown]
	v_lshrrev_b32_e32 v30, 16, v45
	v_lshrrev_b32_e32 v23, 16, v23
	v_and_or_b32 v5, v5, s46, v19
	v_and_or_b32 v17, v49, s46, v16
	v_lshrrev_b32_e32 v16, 16, v46
	v_lshrrev_b32_e32 v18, 16, v52
	;; [unrolled: 1-line block ×3, first 2 shown]
	v_and_or_b32 v41, v41, s46, v34
	v_and_or_b32 v43, v43, s46, v30
	;; [unrolled: 1-line block ×6, first 2 shown]
	global_store_dwordx4 v[0:1], v[6:9], off glc slc
	global_store_dwordx4 v[0:1], v[2:5], off offset:1024 glc slc
	global_store_dwordx4 v[0:1], v[40:43], off offset:2048 glc slc
	;; [unrolled: 1-line block ×3, first 2 shown]
	v_add_co_u32_e32 v0, vcc, 0x1000, v0
	v_addc_co_u32_e32 v1, vcc, 0, v1, vcc
	s_and_saveexec_b64 s[30:31], s[94:95]
	s_cbranch_execz .LBB12_2086
; %bb.2348:                             ;   in Loop: Header=BB12_2087 Depth=3
	buffer_load_dword v2, off, s[0:3], s33 offset:152 ; 4-byte Folded Reload
	buffer_load_dword v3, off, s[0:3], s33 offset:240 ; 4-byte Folded Reload
	s_waitcnt vmcnt(0)
	v_sub_u32_e32 v3, v3, v2
	buffer_store_dword v3, off, s[0:3], s33 offset:240 ; 4-byte Folded Spill
	buffer_load_dword v2, off, s[0:3], s33 offset:332 ; 4-byte Folded Reload
	s_nop 0
	buffer_load_dword v3, off, s[0:3], s33 offset:336 ; 4-byte Folded Reload
	s_waitcnt vmcnt(1)
	v_add_co_u32_e32 v0, vcc, v0, v2
	s_waitcnt vmcnt(0)
	v_addc_co_u32_e32 v1, vcc, v1, v3, vcc
	v_add_co_u32_e32 v10, vcc, v10, v2
	v_addc_co_u32_e32 v11, vcc, v11, v3, vcc
	v_add_co_u32_e32 v20, vcc, v20, v2
	v_addc_co_u32_e32 v21, vcc, v21, v3, vcc
	s_branch .LBB12_2086
.LBB12_2349:                            ;   in Loop: Header=BB12_1245 Depth=2
	v_cmp_lt_i32_e64 s[28:29], 0, v54
	s_and_saveexec_b64 s[40:41], s[10:11]
	s_cbranch_execnz .LBB12_2827
	s_branch .LBB12_2845
.LBB12_2350:                            ;   in Loop: Header=BB12_1245 Depth=2
	s_mov_b64 s[44:45], 0
                                        ; implicit-def: $sgpr9
	s_andn2_b64 vcc, exec, s[40:41]
	v_mov_b32_e32 v6, 0
	s_cbranch_vccz .LBB12_2084
.LBB12_2351:                            ;   in Loop: Header=BB12_1245 Depth=2
	buffer_load_dword v0, off, s[0:3], s33 offset:484 ; 4-byte Folded Reload
	v_mov_b32_e32 v7, v41
	s_and_saveexec_b64 s[42:43], s[44:45]
	s_cbranch_execnz .LBB12_2599
	s_branch .LBB12_2826
.LBB12_2352:                            ;   in Loop: Header=BB12_1245 Depth=2
	s_or_b64 exec, exec, s[42:43]
	buffer_load_dword v41, off, s[0:3], s33 offset:524 ; 4-byte Folded Reload
	buffer_load_dword v44, off, s[0:3], s33 offset:528 ; 4-byte Folded Reload
	;; [unrolled: 1-line block ×12, first 2 shown]
	s_and_b64 s[28:29], s[92:93], exec
.LBB12_2353:                            ;   in Loop: Header=BB12_1245 Depth=2
	s_or_b64 exec, exec, s[40:41]
	s_and_saveexec_b64 s[40:41], s[28:29]
	s_cbranch_execz .LBB12_2483
; %bb.2354:                             ;   in Loop: Header=BB12_1245 Depth=2
	buffer_load_dword v3, off, s[0:3], s33 offset:216 ; 4-byte Folded Reload
	buffer_load_dword v4, off, s[0:3], s33 offset:220 ; 4-byte Folded Reload
	;; [unrolled: 1-line block ×4, first 2 shown]
	s_and_b32 s28, 0xffff, s9
	v_lshlrev_b32_e32 v2, 16, v56
	s_cmp_eq_u32 s28, 0
	v_max_f32_e32 v2, v2, v2
	s_cselect_b64 vcc, -1, 0
	s_waitcnt vmcnt(0)
	v_lshlrev_b32_e32 v3, 16, v3
	v_max_f32_e32 v3, v3, v3
	v_min_f32_e32 v4, v2, v3
	v_max_f32_e32 v2, v2, v3
	v_cndmask_b32_e32 v3, v2, v4, vcc
	v_and_b32_e32 v2, 0x7f800000, v3
	v_cmp_ne_u32_e64 s[28:29], s56, v2
                                        ; implicit-def: $vgpr2
	s_and_saveexec_b64 s[42:43], s[28:29]
	s_xor_b64 s[28:29], exec, s[42:43]
; %bb.2355:                             ;   in Loop: Header=BB12_1245 Depth=2
	v_bfe_u32 v2, v3, 16, 1
	v_add3_u32 v2, v3, v2, s57
                                        ; implicit-def: $vgpr3
; %bb.2356:                             ;   in Loop: Header=BB12_1245 Depth=2
	s_andn2_saveexec_b64 s[42:43], s[28:29]
	s_cbranch_execz .LBB12_2358
; %bb.2357:                             ;   in Loop: Header=BB12_1245 Depth=2
	buffer_load_dword v4, off, s[0:3], s33 offset:128 ; 4-byte Folded Reload
	buffer_load_dword v5, off, s[0:3], s33 offset:132 ; 4-byte Folded Reload
	v_or_b32_e32 v2, 0x10000, v3
	s_waitcnt vmcnt(0)
	v_cmp_eq_u32_sdwa s[28:29], v3, v4 src0_sel:WORD_0 src1_sel:DWORD
	v_cndmask_b32_e64 v2, v2, v3, s[28:29]
.LBB12_2358:                            ;   in Loop: Header=BB12_1245 Depth=2
	s_or_b64 exec, exec, s[42:43]
	buffer_load_dword v4, off, s[0:3], s33 offset:216 ; 4-byte Folded Reload
	buffer_load_dword v5, off, s[0:3], s33 offset:220 ; 4-byte Folded Reload
	;; [unrolled: 1-line block ×4, first 2 shown]
	v_and_b32_e32 v3, 0xffff0000, v56
	v_max_f32_e32 v3, v3, v3
	s_waitcnt vmcnt(0)
	v_and_b32_e32 v4, 0xffff0000, v4
	v_max_f32_e32 v4, v4, v4
	v_min_f32_e32 v5, v3, v4
	v_max_f32_e32 v3, v3, v4
	v_cndmask_b32_e32 v4, v3, v5, vcc
	v_and_b32_e32 v3, 0x7f800000, v4
	v_cmp_ne_u32_e64 s[28:29], s56, v3
                                        ; implicit-def: $vgpr3
	s_and_saveexec_b64 s[42:43], s[28:29]
	s_xor_b64 s[28:29], exec, s[42:43]
; %bb.2359:                             ;   in Loop: Header=BB12_1245 Depth=2
	v_bfe_u32 v3, v4, 16, 1
	v_add3_u32 v3, v4, v3, s57
                                        ; implicit-def: $vgpr4
; %bb.2360:                             ;   in Loop: Header=BB12_1245 Depth=2
	s_andn2_saveexec_b64 s[42:43], s[28:29]
	s_cbranch_execz .LBB12_2362
; %bb.2361:                             ;   in Loop: Header=BB12_1245 Depth=2
	buffer_load_dword v5, off, s[0:3], s33 offset:128 ; 4-byte Folded Reload
	buffer_load_dword v6, off, s[0:3], s33 offset:132 ; 4-byte Folded Reload
	v_or_b32_e32 v3, 0x10000, v4
	s_waitcnt vmcnt(0)
	v_cmp_eq_u32_sdwa s[28:29], v4, v5 src0_sel:WORD_0 src1_sel:DWORD
	v_cndmask_b32_e64 v3, v3, v4, s[28:29]
.LBB12_2362:                            ;   in Loop: Header=BB12_1245 Depth=2
	s_or_b64 exec, exec, s[42:43]
	buffer_load_dword v5, off, s[0:3], s33 offset:216 ; 4-byte Folded Reload
	buffer_load_dword v6, off, s[0:3], s33 offset:220 ; 4-byte Folded Reload
	;; [unrolled: 1-line block ×4, first 2 shown]
	v_lshlrev_b32_e32 v4, 16, v57
	v_max_f32_e32 v4, v4, v4
	s_waitcnt vmcnt(0)
	v_lshlrev_b32_e32 v5, 16, v6
	v_max_f32_e32 v5, v5, v5
	v_min_f32_e32 v6, v4, v5
	v_max_f32_e32 v4, v4, v5
	v_cndmask_b32_e32 v5, v4, v6, vcc
	v_and_b32_e32 v4, 0x7f800000, v5
	v_cmp_ne_u32_e64 s[28:29], s56, v4
                                        ; implicit-def: $vgpr4
	s_and_saveexec_b64 s[42:43], s[28:29]
	s_xor_b64 s[28:29], exec, s[42:43]
; %bb.2363:                             ;   in Loop: Header=BB12_1245 Depth=2
	v_bfe_u32 v4, v5, 16, 1
	v_add3_u32 v4, v5, v4, s57
                                        ; implicit-def: $vgpr5
; %bb.2364:                             ;   in Loop: Header=BB12_1245 Depth=2
	s_andn2_saveexec_b64 s[42:43], s[28:29]
	s_cbranch_execz .LBB12_2366
; %bb.2365:                             ;   in Loop: Header=BB12_1245 Depth=2
	buffer_load_dword v6, off, s[0:3], s33 offset:128 ; 4-byte Folded Reload
	buffer_load_dword v7, off, s[0:3], s33 offset:132 ; 4-byte Folded Reload
	v_or_b32_e32 v4, 0x10000, v5
	s_waitcnt vmcnt(0)
	v_cmp_eq_u32_sdwa s[28:29], v5, v6 src0_sel:WORD_0 src1_sel:DWORD
	v_cndmask_b32_e64 v4, v4, v5, s[28:29]
.LBB12_2366:                            ;   in Loop: Header=BB12_1245 Depth=2
	s_or_b64 exec, exec, s[42:43]
	buffer_load_dword v6, off, s[0:3], s33 offset:216 ; 4-byte Folded Reload
	buffer_load_dword v7, off, s[0:3], s33 offset:220 ; 4-byte Folded Reload
	;; [unrolled: 1-line block ×4, first 2 shown]
	v_and_b32_e32 v5, 0xffff0000, v57
	v_max_f32_e32 v5, v5, v5
	s_waitcnt vmcnt(0)
	v_and_b32_e32 v6, 0xffff0000, v7
	v_max_f32_e32 v6, v6, v6
	v_min_f32_e32 v7, v5, v6
	v_max_f32_e32 v5, v5, v6
	v_cndmask_b32_e32 v6, v5, v7, vcc
	v_and_b32_e32 v5, 0x7f800000, v6
	v_cmp_ne_u32_e64 s[28:29], s56, v5
                                        ; implicit-def: $vgpr5
	s_and_saveexec_b64 s[42:43], s[28:29]
	s_xor_b64 s[28:29], exec, s[42:43]
; %bb.2367:                             ;   in Loop: Header=BB12_1245 Depth=2
	v_bfe_u32 v5, v6, 16, 1
	v_add3_u32 v5, v6, v5, s57
                                        ; implicit-def: $vgpr6
; %bb.2368:                             ;   in Loop: Header=BB12_1245 Depth=2
	s_andn2_saveexec_b64 s[42:43], s[28:29]
	s_cbranch_execz .LBB12_2370
; %bb.2369:                             ;   in Loop: Header=BB12_1245 Depth=2
	buffer_load_dword v7, off, s[0:3], s33 offset:128 ; 4-byte Folded Reload
	buffer_load_dword v8, off, s[0:3], s33 offset:132 ; 4-byte Folded Reload
	v_or_b32_e32 v5, 0x10000, v6
	s_waitcnt vmcnt(0)
	v_cmp_eq_u32_sdwa s[28:29], v6, v7 src0_sel:WORD_0 src1_sel:DWORD
	v_cndmask_b32_e64 v5, v5, v6, s[28:29]
.LBB12_2370:                            ;   in Loop: Header=BB12_1245 Depth=2
	s_or_b64 exec, exec, s[42:43]
	buffer_load_dword v7, off, s[0:3], s33 offset:216 ; 4-byte Folded Reload
	buffer_load_dword v8, off, s[0:3], s33 offset:220 ; 4-byte Folded Reload
	;; [unrolled: 1-line block ×4, first 2 shown]
	v_lshlrev_b32_e32 v6, 16, v58
	v_max_f32_e32 v6, v6, v6
	s_waitcnt vmcnt(0)
	v_lshlrev_b32_e32 v7, 16, v9
	v_max_f32_e32 v7, v7, v7
	v_min_f32_e32 v8, v6, v7
	v_max_f32_e32 v6, v6, v7
	v_cndmask_b32_e32 v7, v6, v8, vcc
	v_and_b32_e32 v6, 0x7f800000, v7
	v_cmp_ne_u32_e64 s[28:29], s56, v6
                                        ; implicit-def: $vgpr6
	s_and_saveexec_b64 s[42:43], s[28:29]
	s_xor_b64 s[28:29], exec, s[42:43]
; %bb.2371:                             ;   in Loop: Header=BB12_1245 Depth=2
	v_bfe_u32 v6, v7, 16, 1
	v_add3_u32 v6, v7, v6, s57
                                        ; implicit-def: $vgpr7
; %bb.2372:                             ;   in Loop: Header=BB12_1245 Depth=2
	s_andn2_saveexec_b64 s[42:43], s[28:29]
	s_cbranch_execz .LBB12_2374
; %bb.2373:                             ;   in Loop: Header=BB12_1245 Depth=2
	buffer_load_dword v8, off, s[0:3], s33 offset:128 ; 4-byte Folded Reload
	buffer_load_dword v9, off, s[0:3], s33 offset:132 ; 4-byte Folded Reload
	v_or_b32_e32 v6, 0x10000, v7
	s_waitcnt vmcnt(0)
	v_cmp_eq_u32_sdwa s[28:29], v7, v8 src0_sel:WORD_0 src1_sel:DWORD
	v_cndmask_b32_e64 v6, v6, v7, s[28:29]
.LBB12_2374:                            ;   in Loop: Header=BB12_1245 Depth=2
	s_or_b64 exec, exec, s[42:43]
	buffer_load_dword v8, off, s[0:3], s33 offset:216 ; 4-byte Folded Reload
	buffer_load_dword v9, off, s[0:3], s33 offset:220 ; 4-byte Folded Reload
	;; [unrolled: 1-line block ×4, first 2 shown]
	v_and_b32_e32 v7, 0xffff0000, v58
	v_max_f32_e32 v7, v7, v7
	s_waitcnt vmcnt(0)
	v_and_b32_e32 v8, 0xffff0000, v10
	v_max_f32_e32 v8, v8, v8
	v_min_f32_e32 v9, v7, v8
	v_max_f32_e32 v7, v7, v8
	v_cndmask_b32_e32 v8, v7, v9, vcc
	v_and_b32_e32 v7, 0x7f800000, v8
	v_cmp_ne_u32_e64 s[28:29], s56, v7
                                        ; implicit-def: $vgpr7
	s_and_saveexec_b64 s[42:43], s[28:29]
	s_xor_b64 s[28:29], exec, s[42:43]
; %bb.2375:                             ;   in Loop: Header=BB12_1245 Depth=2
	v_bfe_u32 v7, v8, 16, 1
	v_add3_u32 v7, v8, v7, s57
                                        ; implicit-def: $vgpr8
; %bb.2376:                             ;   in Loop: Header=BB12_1245 Depth=2
	s_andn2_saveexec_b64 s[42:43], s[28:29]
	s_cbranch_execz .LBB12_2378
; %bb.2377:                             ;   in Loop: Header=BB12_1245 Depth=2
	buffer_load_dword v9, off, s[0:3], s33 offset:128 ; 4-byte Folded Reload
	buffer_load_dword v10, off, s[0:3], s33 offset:132 ; 4-byte Folded Reload
	v_or_b32_e32 v7, 0x10000, v8
	s_waitcnt vmcnt(0)
	v_cmp_eq_u32_sdwa s[28:29], v8, v9 src0_sel:WORD_0 src1_sel:DWORD
	v_cndmask_b32_e64 v7, v7, v8, s[28:29]
.LBB12_2378:                            ;   in Loop: Header=BB12_1245 Depth=2
	s_or_b64 exec, exec, s[42:43]
	buffer_load_dword v16, off, s[0:3], s33 offset:216 ; 4-byte Folded Reload
	buffer_load_dword v17, off, s[0:3], s33 offset:220 ; 4-byte Folded Reload
	buffer_load_dword v18, off, s[0:3], s33 offset:224 ; 4-byte Folded Reload
	buffer_load_dword v19, off, s[0:3], s33 offset:228 ; 4-byte Folded Reload
	v_lshlrev_b32_e32 v8, 16, v59
	v_max_f32_e32 v8, v8, v8
	s_waitcnt vmcnt(0)
	v_lshlrev_b32_e32 v9, 16, v19
	v_max_f32_e32 v9, v9, v9
	v_min_f32_e32 v10, v8, v9
	v_max_f32_e32 v8, v8, v9
	v_cndmask_b32_e32 v9, v8, v10, vcc
	v_and_b32_e32 v8, 0x7f800000, v9
	v_cmp_ne_u32_e64 s[28:29], s56, v8
                                        ; implicit-def: $vgpr8
	s_and_saveexec_b64 s[42:43], s[28:29]
	s_xor_b64 s[28:29], exec, s[42:43]
; %bb.2379:                             ;   in Loop: Header=BB12_1245 Depth=2
	v_bfe_u32 v8, v9, 16, 1
	v_add3_u32 v8, v9, v8, s57
                                        ; implicit-def: $vgpr9
; %bb.2380:                             ;   in Loop: Header=BB12_1245 Depth=2
	s_andn2_saveexec_b64 s[42:43], s[28:29]
	s_cbranch_execz .LBB12_2382
; %bb.2381:                             ;   in Loop: Header=BB12_1245 Depth=2
	buffer_load_dword v10, off, s[0:3], s33 offset:128 ; 4-byte Folded Reload
	buffer_load_dword v11, off, s[0:3], s33 offset:132 ; 4-byte Folded Reload
	v_or_b32_e32 v8, 0x10000, v9
	s_waitcnt vmcnt(0)
	v_cmp_eq_u32_sdwa s[28:29], v9, v10 src0_sel:WORD_0 src1_sel:DWORD
	v_cndmask_b32_e64 v8, v8, v9, s[28:29]
.LBB12_2382:                            ;   in Loop: Header=BB12_1245 Depth=2
	s_or_b64 exec, exec, s[42:43]
	buffer_load_dword v16, off, s[0:3], s33 offset:216 ; 4-byte Folded Reload
	buffer_load_dword v17, off, s[0:3], s33 offset:220 ; 4-byte Folded Reload
	buffer_load_dword v18, off, s[0:3], s33 offset:224 ; 4-byte Folded Reload
	buffer_load_dword v19, off, s[0:3], s33 offset:228 ; 4-byte Folded Reload
	v_and_b32_e32 v9, 0xffff0000, v59
	v_max_f32_e32 v9, v9, v9
	s_waitcnt vmcnt(0)
	v_and_b32_e32 v10, 0xffff0000, v19
	v_max_f32_e32 v10, v10, v10
	v_min_f32_e32 v11, v9, v10
	v_max_f32_e32 v9, v9, v10
	v_cndmask_b32_e32 v10, v9, v11, vcc
	v_and_b32_e32 v9, 0x7f800000, v10
	v_cmp_ne_u32_e64 s[28:29], s56, v9
                                        ; implicit-def: $vgpr9
	s_and_saveexec_b64 s[42:43], s[28:29]
	s_xor_b64 s[28:29], exec, s[42:43]
; %bb.2383:                             ;   in Loop: Header=BB12_1245 Depth=2
	v_bfe_u32 v9, v10, 16, 1
	v_add3_u32 v9, v10, v9, s57
                                        ; implicit-def: $vgpr10
; %bb.2384:                             ;   in Loop: Header=BB12_1245 Depth=2
	s_andn2_saveexec_b64 s[42:43], s[28:29]
	s_cbranch_execz .LBB12_2386
; %bb.2385:                             ;   in Loop: Header=BB12_1245 Depth=2
	buffer_load_dword v16, off, s[0:3], s33 offset:128 ; 4-byte Folded Reload
	buffer_load_dword v17, off, s[0:3], s33 offset:132 ; 4-byte Folded Reload
	v_or_b32_e32 v9, 0x10000, v10
	s_waitcnt vmcnt(0)
	v_cmp_eq_u32_sdwa s[28:29], v10, v16 src0_sel:WORD_0 src1_sel:DWORD
	v_cndmask_b32_e64 v9, v9, v10, s[28:29]
.LBB12_2386:                            ;   in Loop: Header=BB12_1245 Depth=2
	s_or_b64 exec, exec, s[42:43]
	buffer_load_dword v16, off, s[0:3], s33 offset:200 ; 4-byte Folded Reload
	buffer_load_dword v17, off, s[0:3], s33 offset:204 ; 4-byte Folded Reload
	;; [unrolled: 1-line block ×4, first 2 shown]
	v_lshlrev_b32_e32 v10, 16, v36
	v_max_f32_e32 v10, v10, v10
	s_waitcnt vmcnt(0)
	v_lshlrev_b32_e32 v11, 16, v16
	v_max_f32_e32 v11, v11, v11
	v_min_f32_e32 v16, v10, v11
	v_max_f32_e32 v10, v10, v11
	v_cndmask_b32_e32 v11, v10, v16, vcc
	v_and_b32_e32 v10, 0x7f800000, v11
	v_cmp_ne_u32_e64 s[28:29], s56, v10
                                        ; implicit-def: $vgpr10
	s_and_saveexec_b64 s[42:43], s[28:29]
	s_xor_b64 s[28:29], exec, s[42:43]
; %bb.2387:                             ;   in Loop: Header=BB12_1245 Depth=2
	v_bfe_u32 v10, v11, 16, 1
	v_add3_u32 v10, v11, v10, s57
                                        ; implicit-def: $vgpr11
; %bb.2388:                             ;   in Loop: Header=BB12_1245 Depth=2
	s_andn2_saveexec_b64 s[42:43], s[28:29]
	s_cbranch_execz .LBB12_2390
; %bb.2389:                             ;   in Loop: Header=BB12_1245 Depth=2
	buffer_load_dword v16, off, s[0:3], s33 offset:128 ; 4-byte Folded Reload
	buffer_load_dword v17, off, s[0:3], s33 offset:132 ; 4-byte Folded Reload
	v_or_b32_e32 v10, 0x10000, v11
	s_waitcnt vmcnt(0)
	v_cmp_eq_u32_sdwa s[28:29], v11, v16 src0_sel:WORD_0 src1_sel:DWORD
	v_cndmask_b32_e64 v10, v10, v11, s[28:29]
.LBB12_2390:                            ;   in Loop: Header=BB12_1245 Depth=2
	s_or_b64 exec, exec, s[42:43]
	buffer_load_dword v16, off, s[0:3], s33 offset:200 ; 4-byte Folded Reload
	buffer_load_dword v17, off, s[0:3], s33 offset:204 ; 4-byte Folded Reload
	;; [unrolled: 1-line block ×4, first 2 shown]
	v_and_b32_e32 v11, 0xffff0000, v36
	v_max_f32_e32 v11, v11, v11
	s_waitcnt vmcnt(0)
	v_and_b32_e32 v16, 0xffff0000, v16
	v_max_f32_e32 v16, v16, v16
	v_min_f32_e32 v17, v11, v16
	v_max_f32_e32 v11, v11, v16
	v_cndmask_b32_e32 v16, v11, v17, vcc
	v_and_b32_e32 v11, 0x7f800000, v16
	v_cmp_ne_u32_e64 s[28:29], s56, v11
                                        ; implicit-def: $vgpr11
	s_and_saveexec_b64 s[42:43], s[28:29]
	s_xor_b64 s[28:29], exec, s[42:43]
; %bb.2391:                             ;   in Loop: Header=BB12_1245 Depth=2
	v_bfe_u32 v11, v16, 16, 1
	v_add3_u32 v11, v16, v11, s57
                                        ; implicit-def: $vgpr16
; %bb.2392:                             ;   in Loop: Header=BB12_1245 Depth=2
	s_andn2_saveexec_b64 s[42:43], s[28:29]
	s_cbranch_execz .LBB12_2394
; %bb.2393:                             ;   in Loop: Header=BB12_1245 Depth=2
	buffer_load_dword v17, off, s[0:3], s33 offset:128 ; 4-byte Folded Reload
	buffer_load_dword v18, off, s[0:3], s33 offset:132 ; 4-byte Folded Reload
	v_or_b32_e32 v11, 0x10000, v16
	s_waitcnt vmcnt(0)
	v_cmp_eq_u32_sdwa s[28:29], v16, v17 src0_sel:WORD_0 src1_sel:DWORD
	v_cndmask_b32_e64 v11, v11, v16, s[28:29]
.LBB12_2394:                            ;   in Loop: Header=BB12_1245 Depth=2
	s_or_b64 exec, exec, s[42:43]
	buffer_load_dword v17, off, s[0:3], s33 offset:200 ; 4-byte Folded Reload
	buffer_load_dword v18, off, s[0:3], s33 offset:204 ; 4-byte Folded Reload
	;; [unrolled: 1-line block ×4, first 2 shown]
	v_lshlrev_b32_e32 v16, 16, v37
	v_max_f32_e32 v16, v16, v16
	s_waitcnt vmcnt(0)
	v_lshlrev_b32_e32 v17, 16, v18
	v_max_f32_e32 v17, v17, v17
	v_min_f32_e32 v18, v16, v17
	v_max_f32_e32 v16, v16, v17
	v_cndmask_b32_e32 v17, v16, v18, vcc
	v_and_b32_e32 v16, 0x7f800000, v17
	v_cmp_ne_u32_e64 s[28:29], s56, v16
                                        ; implicit-def: $vgpr16
	s_and_saveexec_b64 s[42:43], s[28:29]
	s_xor_b64 s[28:29], exec, s[42:43]
; %bb.2395:                             ;   in Loop: Header=BB12_1245 Depth=2
	v_bfe_u32 v16, v17, 16, 1
	v_add3_u32 v16, v17, v16, s57
                                        ; implicit-def: $vgpr17
; %bb.2396:                             ;   in Loop: Header=BB12_1245 Depth=2
	s_andn2_saveexec_b64 s[42:43], s[28:29]
	s_cbranch_execz .LBB12_2398
; %bb.2397:                             ;   in Loop: Header=BB12_1245 Depth=2
	buffer_load_dword v18, off, s[0:3], s33 offset:128 ; 4-byte Folded Reload
	buffer_load_dword v19, off, s[0:3], s33 offset:132 ; 4-byte Folded Reload
	v_or_b32_e32 v16, 0x10000, v17
	s_waitcnt vmcnt(0)
	v_cmp_eq_u32_sdwa s[28:29], v17, v18 src0_sel:WORD_0 src1_sel:DWORD
	v_cndmask_b32_e64 v16, v16, v17, s[28:29]
.LBB12_2398:                            ;   in Loop: Header=BB12_1245 Depth=2
	s_or_b64 exec, exec, s[42:43]
	buffer_load_dword v18, off, s[0:3], s33 offset:200 ; 4-byte Folded Reload
	buffer_load_dword v19, off, s[0:3], s33 offset:204 ; 4-byte Folded Reload
	;; [unrolled: 1-line block ×4, first 2 shown]
	v_and_b32_e32 v17, 0xffff0000, v37
	v_max_f32_e32 v17, v17, v17
	s_waitcnt vmcnt(0)
	v_and_b32_e32 v18, 0xffff0000, v19
	v_max_f32_e32 v18, v18, v18
	v_min_f32_e32 v19, v17, v18
	v_max_f32_e32 v17, v17, v18
	v_cndmask_b32_e32 v18, v17, v19, vcc
	v_and_b32_e32 v17, 0x7f800000, v18
	v_cmp_ne_u32_e64 s[28:29], s56, v17
                                        ; implicit-def: $vgpr17
	s_and_saveexec_b64 s[42:43], s[28:29]
	s_xor_b64 s[28:29], exec, s[42:43]
; %bb.2399:                             ;   in Loop: Header=BB12_1245 Depth=2
	v_bfe_u32 v17, v18, 16, 1
	v_add3_u32 v17, v18, v17, s57
                                        ; implicit-def: $vgpr18
; %bb.2400:                             ;   in Loop: Header=BB12_1245 Depth=2
	s_andn2_saveexec_b64 s[42:43], s[28:29]
	s_cbranch_execz .LBB12_2402
; %bb.2401:                             ;   in Loop: Header=BB12_1245 Depth=2
	buffer_load_dword v19, off, s[0:3], s33 offset:128 ; 4-byte Folded Reload
	buffer_load_dword v20, off, s[0:3], s33 offset:132 ; 4-byte Folded Reload
	v_or_b32_e32 v17, 0x10000, v18
	s_waitcnt vmcnt(0)
	v_cmp_eq_u32_sdwa s[28:29], v18, v19 src0_sel:WORD_0 src1_sel:DWORD
	v_cndmask_b32_e64 v17, v17, v18, s[28:29]
.LBB12_2402:                            ;   in Loop: Header=BB12_1245 Depth=2
	s_or_b64 exec, exec, s[42:43]
	buffer_load_dword v19, off, s[0:3], s33 offset:200 ; 4-byte Folded Reload
	buffer_load_dword v20, off, s[0:3], s33 offset:204 ; 4-byte Folded Reload
	;; [unrolled: 1-line block ×4, first 2 shown]
	v_lshlrev_b32_e32 v18, 16, v38
	v_max_f32_e32 v18, v18, v18
	s_waitcnt vmcnt(0)
	v_lshlrev_b32_e32 v19, 16, v21
	v_max_f32_e32 v19, v19, v19
	v_min_f32_e32 v20, v18, v19
	v_max_f32_e32 v18, v18, v19
	v_cndmask_b32_e32 v19, v18, v20, vcc
	v_and_b32_e32 v18, 0x7f800000, v19
	v_cmp_ne_u32_e64 s[28:29], s56, v18
                                        ; implicit-def: $vgpr18
	s_and_saveexec_b64 s[42:43], s[28:29]
	s_xor_b64 s[28:29], exec, s[42:43]
; %bb.2403:                             ;   in Loop: Header=BB12_1245 Depth=2
	v_bfe_u32 v18, v19, 16, 1
	v_add3_u32 v18, v19, v18, s57
                                        ; implicit-def: $vgpr19
; %bb.2404:                             ;   in Loop: Header=BB12_1245 Depth=2
	s_andn2_saveexec_b64 s[42:43], s[28:29]
	s_cbranch_execz .LBB12_2406
; %bb.2405:                             ;   in Loop: Header=BB12_1245 Depth=2
	buffer_load_dword v20, off, s[0:3], s33 offset:128 ; 4-byte Folded Reload
	buffer_load_dword v21, off, s[0:3], s33 offset:132 ; 4-byte Folded Reload
	v_or_b32_e32 v18, 0x10000, v19
	s_waitcnt vmcnt(0)
	v_cmp_eq_u32_sdwa s[28:29], v19, v20 src0_sel:WORD_0 src1_sel:DWORD
	v_cndmask_b32_e64 v18, v18, v19, s[28:29]
.LBB12_2406:                            ;   in Loop: Header=BB12_1245 Depth=2
	s_or_b64 exec, exec, s[42:43]
	buffer_load_dword v20, off, s[0:3], s33 offset:200 ; 4-byte Folded Reload
	buffer_load_dword v21, off, s[0:3], s33 offset:204 ; 4-byte Folded Reload
	;; [unrolled: 1-line block ×4, first 2 shown]
	v_and_b32_e32 v19, 0xffff0000, v38
	v_max_f32_e32 v19, v19, v19
	s_waitcnt vmcnt(0)
	v_and_b32_e32 v20, 0xffff0000, v22
	v_max_f32_e32 v20, v20, v20
	v_min_f32_e32 v21, v19, v20
	v_max_f32_e32 v19, v19, v20
	v_cndmask_b32_e32 v20, v19, v21, vcc
	v_and_b32_e32 v19, 0x7f800000, v20
	v_cmp_ne_u32_e64 s[28:29], s56, v19
                                        ; implicit-def: $vgpr19
	s_and_saveexec_b64 s[42:43], s[28:29]
	s_xor_b64 s[28:29], exec, s[42:43]
; %bb.2407:                             ;   in Loop: Header=BB12_1245 Depth=2
	v_bfe_u32 v19, v20, 16, 1
	v_add3_u32 v19, v20, v19, s57
                                        ; implicit-def: $vgpr20
; %bb.2408:                             ;   in Loop: Header=BB12_1245 Depth=2
	s_andn2_saveexec_b64 s[42:43], s[28:29]
	s_cbranch_execz .LBB12_2410
; %bb.2409:                             ;   in Loop: Header=BB12_1245 Depth=2
	buffer_load_dword v21, off, s[0:3], s33 offset:128 ; 4-byte Folded Reload
	buffer_load_dword v22, off, s[0:3], s33 offset:132 ; 4-byte Folded Reload
	v_or_b32_e32 v19, 0x10000, v20
	s_waitcnt vmcnt(0)
	v_cmp_eq_u32_sdwa s[28:29], v20, v21 src0_sel:WORD_0 src1_sel:DWORD
	v_cndmask_b32_e64 v19, v19, v20, s[28:29]
.LBB12_2410:                            ;   in Loop: Header=BB12_1245 Depth=2
	s_or_b64 exec, exec, s[42:43]
	buffer_load_dword v28, off, s[0:3], s33 offset:200 ; 4-byte Folded Reload
	buffer_load_dword v29, off, s[0:3], s33 offset:204 ; 4-byte Folded Reload
	;; [unrolled: 1-line block ×4, first 2 shown]
	v_lshlrev_b32_e32 v20, 16, v39
	v_max_f32_e32 v20, v20, v20
	s_waitcnt vmcnt(0)
	v_lshlrev_b32_e32 v21, 16, v31
	v_max_f32_e32 v21, v21, v21
	v_min_f32_e32 v22, v20, v21
	v_max_f32_e32 v20, v20, v21
	v_cndmask_b32_e32 v21, v20, v22, vcc
	v_and_b32_e32 v20, 0x7f800000, v21
	v_cmp_ne_u32_e64 s[28:29], s56, v20
                                        ; implicit-def: $vgpr20
	s_and_saveexec_b64 s[42:43], s[28:29]
	s_xor_b64 s[28:29], exec, s[42:43]
; %bb.2411:                             ;   in Loop: Header=BB12_1245 Depth=2
	v_bfe_u32 v20, v21, 16, 1
	v_add3_u32 v20, v21, v20, s57
                                        ; implicit-def: $vgpr21
; %bb.2412:                             ;   in Loop: Header=BB12_1245 Depth=2
	s_andn2_saveexec_b64 s[42:43], s[28:29]
	s_cbranch_execz .LBB12_2414
; %bb.2413:                             ;   in Loop: Header=BB12_1245 Depth=2
	buffer_load_dword v22, off, s[0:3], s33 offset:128 ; 4-byte Folded Reload
	buffer_load_dword v23, off, s[0:3], s33 offset:132 ; 4-byte Folded Reload
	v_or_b32_e32 v20, 0x10000, v21
	s_waitcnt vmcnt(0)
	v_cmp_eq_u32_sdwa s[28:29], v21, v22 src0_sel:WORD_0 src1_sel:DWORD
	v_cndmask_b32_e64 v20, v20, v21, s[28:29]
.LBB12_2414:                            ;   in Loop: Header=BB12_1245 Depth=2
	s_or_b64 exec, exec, s[42:43]
	buffer_load_dword v28, off, s[0:3], s33 offset:200 ; 4-byte Folded Reload
	buffer_load_dword v29, off, s[0:3], s33 offset:204 ; 4-byte Folded Reload
	;; [unrolled: 1-line block ×4, first 2 shown]
	v_and_b32_e32 v21, 0xffff0000, v39
	v_max_f32_e32 v21, v21, v21
	s_waitcnt vmcnt(0)
	v_and_b32_e32 v22, 0xffff0000, v31
	v_max_f32_e32 v22, v22, v22
	v_min_f32_e32 v23, v21, v22
	v_max_f32_e32 v21, v21, v22
	v_cndmask_b32_e32 v22, v21, v23, vcc
	v_and_b32_e32 v21, 0x7f800000, v22
	v_cmp_ne_u32_e64 s[28:29], s56, v21
                                        ; implicit-def: $vgpr21
	s_and_saveexec_b64 s[42:43], s[28:29]
	s_xor_b64 s[28:29], exec, s[42:43]
; %bb.2415:                             ;   in Loop: Header=BB12_1245 Depth=2
	v_bfe_u32 v21, v22, 16, 1
	v_add3_u32 v21, v22, v21, s57
                                        ; implicit-def: $vgpr22
; %bb.2416:                             ;   in Loop: Header=BB12_1245 Depth=2
	s_andn2_saveexec_b64 s[42:43], s[28:29]
	s_cbranch_execz .LBB12_2418
; %bb.2417:                             ;   in Loop: Header=BB12_1245 Depth=2
	buffer_load_dword v28, off, s[0:3], s33 offset:128 ; 4-byte Folded Reload
	buffer_load_dword v29, off, s[0:3], s33 offset:132 ; 4-byte Folded Reload
	v_or_b32_e32 v21, 0x10000, v22
	s_waitcnt vmcnt(0)
	v_cmp_eq_u32_sdwa s[28:29], v22, v28 src0_sel:WORD_0 src1_sel:DWORD
	v_cndmask_b32_e64 v21, v21, v22, s[28:29]
.LBB12_2418:                            ;   in Loop: Header=BB12_1245 Depth=2
	s_or_b64 exec, exec, s[42:43]
	buffer_load_dword v28, off, s[0:3], s33 offset:184 ; 4-byte Folded Reload
	buffer_load_dword v29, off, s[0:3], s33 offset:188 ; 4-byte Folded Reload
	;; [unrolled: 1-line block ×4, first 2 shown]
	v_lshlrev_b32_e32 v22, 16, v24
	v_max_f32_e32 v22, v22, v22
	s_waitcnt vmcnt(0)
	v_lshlrev_b32_e32 v23, 16, v28
	v_max_f32_e32 v23, v23, v23
	v_min_f32_e32 v28, v22, v23
	v_max_f32_e32 v22, v22, v23
	v_cndmask_b32_e32 v22, v22, v28, vcc
	v_and_b32_e32 v23, 0x7f800000, v22
	v_cmp_ne_u32_e64 s[28:29], s56, v23
                                        ; implicit-def: $vgpr23
	s_and_saveexec_b64 s[42:43], s[28:29]
	s_xor_b64 s[28:29], exec, s[42:43]
; %bb.2419:                             ;   in Loop: Header=BB12_1245 Depth=2
	v_bfe_u32 v23, v22, 16, 1
	v_add3_u32 v23, v22, v23, s57
                                        ; implicit-def: $vgpr22
; %bb.2420:                             ;   in Loop: Header=BB12_1245 Depth=2
	s_andn2_saveexec_b64 s[42:43], s[28:29]
	s_cbranch_execz .LBB12_2422
; %bb.2421:                             ;   in Loop: Header=BB12_1245 Depth=2
	buffer_load_dword v28, off, s[0:3], s33 offset:128 ; 4-byte Folded Reload
	buffer_load_dword v29, off, s[0:3], s33 offset:132 ; 4-byte Folded Reload
	v_or_b32_e32 v23, 0x10000, v22
	s_waitcnt vmcnt(0)
	v_cmp_eq_u32_sdwa s[28:29], v22, v28 src0_sel:WORD_0 src1_sel:DWORD
	v_cndmask_b32_e64 v23, v23, v22, s[28:29]
.LBB12_2422:                            ;   in Loop: Header=BB12_1245 Depth=2
	s_or_b64 exec, exec, s[42:43]
	buffer_load_dword v28, off, s[0:3], s33 offset:184 ; 4-byte Folded Reload
	buffer_load_dword v29, off, s[0:3], s33 offset:188 ; 4-byte Folded Reload
	;; [unrolled: 1-line block ×4, first 2 shown]
	v_and_b32_e32 v22, 0xffff0000, v24
	v_max_f32_e32 v22, v22, v22
	s_waitcnt vmcnt(0)
	v_and_b32_e32 v24, 0xffff0000, v28
	v_max_f32_e32 v24, v24, v24
	v_min_f32_e32 v28, v22, v24
	v_max_f32_e32 v22, v22, v24
	v_cndmask_b32_e32 v22, v22, v28, vcc
	v_and_b32_e32 v24, 0x7f800000, v22
	v_cmp_ne_u32_e64 s[28:29], s56, v24
                                        ; implicit-def: $vgpr24
	s_and_saveexec_b64 s[42:43], s[28:29]
	s_xor_b64 s[28:29], exec, s[42:43]
; %bb.2423:                             ;   in Loop: Header=BB12_1245 Depth=2
	v_bfe_u32 v24, v22, 16, 1
	v_add3_u32 v24, v22, v24, s57
                                        ; implicit-def: $vgpr22
; %bb.2424:                             ;   in Loop: Header=BB12_1245 Depth=2
	s_andn2_saveexec_b64 s[42:43], s[28:29]
	s_cbranch_execz .LBB12_2426
; %bb.2425:                             ;   in Loop: Header=BB12_1245 Depth=2
	buffer_load_dword v28, off, s[0:3], s33 offset:128 ; 4-byte Folded Reload
	buffer_load_dword v29, off, s[0:3], s33 offset:132 ; 4-byte Folded Reload
	v_or_b32_e32 v24, 0x10000, v22
	s_waitcnt vmcnt(0)
	v_cmp_eq_u32_sdwa s[28:29], v22, v28 src0_sel:WORD_0 src1_sel:DWORD
	v_cndmask_b32_e64 v24, v24, v22, s[28:29]
.LBB12_2426:                            ;   in Loop: Header=BB12_1245 Depth=2
	s_or_b64 exec, exec, s[42:43]
	buffer_load_dword v28, off, s[0:3], s33 offset:184 ; 4-byte Folded Reload
	buffer_load_dword v29, off, s[0:3], s33 offset:188 ; 4-byte Folded Reload
	;; [unrolled: 1-line block ×4, first 2 shown]
	v_lshlrev_b32_e32 v22, 16, v25
	v_max_f32_e32 v22, v22, v22
	s_waitcnt vmcnt(0)
	v_lshlrev_b32_e32 v28, 16, v29
	v_max_f32_e32 v28, v28, v28
	v_min_f32_e32 v29, v22, v28
	v_max_f32_e32 v22, v22, v28
	v_cndmask_b32_e32 v22, v22, v29, vcc
	v_and_b32_e32 v28, 0x7f800000, v22
	v_cmp_ne_u32_e64 s[28:29], s56, v28
                                        ; implicit-def: $vgpr28
	s_and_saveexec_b64 s[42:43], s[28:29]
	s_xor_b64 s[28:29], exec, s[42:43]
; %bb.2427:                             ;   in Loop: Header=BB12_1245 Depth=2
	v_bfe_u32 v28, v22, 16, 1
	v_add3_u32 v28, v22, v28, s57
                                        ; implicit-def: $vgpr22
; %bb.2428:                             ;   in Loop: Header=BB12_1245 Depth=2
	s_andn2_saveexec_b64 s[42:43], s[28:29]
	s_cbranch_execz .LBB12_2430
; %bb.2429:                             ;   in Loop: Header=BB12_1245 Depth=2
	buffer_load_dword v29, off, s[0:3], s33 offset:128 ; 4-byte Folded Reload
	buffer_load_dword v30, off, s[0:3], s33 offset:132 ; 4-byte Folded Reload
	v_or_b32_e32 v28, 0x10000, v22
	s_waitcnt vmcnt(0)
	v_cmp_eq_u32_sdwa s[28:29], v22, v29 src0_sel:WORD_0 src1_sel:DWORD
	v_cndmask_b32_e64 v28, v28, v22, s[28:29]
.LBB12_2430:                            ;   in Loop: Header=BB12_1245 Depth=2
	s_or_b64 exec, exec, s[42:43]
	buffer_load_dword v29, off, s[0:3], s33 offset:184 ; 4-byte Folded Reload
	buffer_load_dword v30, off, s[0:3], s33 offset:188 ; 4-byte Folded Reload
	;; [unrolled: 1-line block ×4, first 2 shown]
	v_and_b32_e32 v22, 0xffff0000, v25
	v_max_f32_e32 v22, v22, v22
	s_waitcnt vmcnt(0)
	v_and_b32_e32 v25, 0xffff0000, v30
	v_max_f32_e32 v25, v25, v25
	v_min_f32_e32 v29, v22, v25
	v_max_f32_e32 v22, v22, v25
	v_cndmask_b32_e32 v22, v22, v29, vcc
	v_and_b32_e32 v25, 0x7f800000, v22
	v_cmp_ne_u32_e64 s[28:29], s56, v25
                                        ; implicit-def: $vgpr25
	s_and_saveexec_b64 s[42:43], s[28:29]
	s_xor_b64 s[28:29], exec, s[42:43]
; %bb.2431:                             ;   in Loop: Header=BB12_1245 Depth=2
	v_bfe_u32 v25, v22, 16, 1
	v_add3_u32 v25, v22, v25, s57
                                        ; implicit-def: $vgpr22
; %bb.2432:                             ;   in Loop: Header=BB12_1245 Depth=2
	s_andn2_saveexec_b64 s[42:43], s[28:29]
	s_cbranch_execz .LBB12_2434
; %bb.2433:                             ;   in Loop: Header=BB12_1245 Depth=2
	buffer_load_dword v29, off, s[0:3], s33 offset:128 ; 4-byte Folded Reload
	buffer_load_dword v30, off, s[0:3], s33 offset:132 ; 4-byte Folded Reload
	v_or_b32_e32 v25, 0x10000, v22
	s_waitcnt vmcnt(0)
	v_cmp_eq_u32_sdwa s[28:29], v22, v29 src0_sel:WORD_0 src1_sel:DWORD
	v_cndmask_b32_e64 v25, v25, v22, s[28:29]
.LBB12_2434:                            ;   in Loop: Header=BB12_1245 Depth=2
	s_or_b64 exec, exec, s[42:43]
	buffer_load_dword v29, off, s[0:3], s33 offset:184 ; 4-byte Folded Reload
	buffer_load_dword v30, off, s[0:3], s33 offset:188 ; 4-byte Folded Reload
	;; [unrolled: 1-line block ×4, first 2 shown]
	v_lshlrev_b32_e32 v22, 16, v26
	v_max_f32_e32 v22, v22, v22
	s_waitcnt vmcnt(0)
	v_lshlrev_b32_e32 v29, 16, v31
	v_max_f32_e32 v29, v29, v29
	v_min_f32_e32 v30, v22, v29
	v_max_f32_e32 v22, v22, v29
	v_cndmask_b32_e32 v22, v22, v30, vcc
	v_and_b32_e32 v29, 0x7f800000, v22
	v_cmp_ne_u32_e64 s[28:29], s56, v29
                                        ; implicit-def: $vgpr29
	s_and_saveexec_b64 s[42:43], s[28:29]
	s_xor_b64 s[28:29], exec, s[42:43]
; %bb.2435:                             ;   in Loop: Header=BB12_1245 Depth=2
	v_bfe_u32 v29, v22, 16, 1
	v_add3_u32 v29, v22, v29, s57
                                        ; implicit-def: $vgpr22
; %bb.2436:                             ;   in Loop: Header=BB12_1245 Depth=2
	s_andn2_saveexec_b64 s[42:43], s[28:29]
	s_cbranch_execz .LBB12_2438
; %bb.2437:                             ;   in Loop: Header=BB12_1245 Depth=2
	buffer_load_dword v30, off, s[0:3], s33 offset:128 ; 4-byte Folded Reload
	buffer_load_dword v31, off, s[0:3], s33 offset:132 ; 4-byte Folded Reload
	v_or_b32_e32 v29, 0x10000, v22
	s_waitcnt vmcnt(0)
	v_cmp_eq_u32_sdwa s[28:29], v22, v30 src0_sel:WORD_0 src1_sel:DWORD
	v_cndmask_b32_e64 v29, v29, v22, s[28:29]
.LBB12_2438:                            ;   in Loop: Header=BB12_1245 Depth=2
	s_or_b64 exec, exec, s[42:43]
	buffer_load_dword v30, off, s[0:3], s33 offset:184 ; 4-byte Folded Reload
	buffer_load_dword v31, off, s[0:3], s33 offset:188 ; 4-byte Folded Reload
	;; [unrolled: 1-line block ×4, first 2 shown]
	v_and_b32_e32 v22, 0xffff0000, v26
	v_max_f32_e32 v22, v22, v22
	s_waitcnt vmcnt(0)
	v_and_b32_e32 v26, 0xffff0000, v32
	v_max_f32_e32 v26, v26, v26
	v_min_f32_e32 v30, v22, v26
	v_max_f32_e32 v22, v22, v26
	v_cndmask_b32_e32 v22, v22, v30, vcc
	v_and_b32_e32 v26, 0x7f800000, v22
	v_cmp_ne_u32_e64 s[28:29], s56, v26
                                        ; implicit-def: $vgpr26
	s_and_saveexec_b64 s[42:43], s[28:29]
	s_xor_b64 s[28:29], exec, s[42:43]
; %bb.2439:                             ;   in Loop: Header=BB12_1245 Depth=2
	v_bfe_u32 v26, v22, 16, 1
	v_add3_u32 v26, v22, v26, s57
                                        ; implicit-def: $vgpr22
; %bb.2440:                             ;   in Loop: Header=BB12_1245 Depth=2
	s_andn2_saveexec_b64 s[42:43], s[28:29]
	s_cbranch_execz .LBB12_2442
; %bb.2441:                             ;   in Loop: Header=BB12_1245 Depth=2
	buffer_load_dword v30, off, s[0:3], s33 offset:128 ; 4-byte Folded Reload
	buffer_load_dword v31, off, s[0:3], s33 offset:132 ; 4-byte Folded Reload
	v_or_b32_e32 v26, 0x10000, v22
	s_waitcnt vmcnt(0)
	v_cmp_eq_u32_sdwa s[28:29], v22, v30 src0_sel:WORD_0 src1_sel:DWORD
	v_cndmask_b32_e64 v26, v26, v22, s[28:29]
.LBB12_2442:                            ;   in Loop: Header=BB12_1245 Depth=2
	s_or_b64 exec, exec, s[42:43]
	buffer_load_dword v30, off, s[0:3], s33 offset:184 ; 4-byte Folded Reload
	buffer_load_dword v31, off, s[0:3], s33 offset:188 ; 4-byte Folded Reload
	;; [unrolled: 1-line block ×4, first 2 shown]
	v_lshlrev_b32_e32 v22, 16, v27
	v_max_f32_e32 v22, v22, v22
	s_waitcnt vmcnt(0)
	v_lshlrev_b32_e32 v30, 16, v33
	v_max_f32_e32 v30, v30, v30
	v_min_f32_e32 v31, v22, v30
	v_max_f32_e32 v22, v22, v30
	v_cndmask_b32_e32 v22, v22, v31, vcc
	v_and_b32_e32 v30, 0x7f800000, v22
	v_cmp_ne_u32_e64 s[28:29], s56, v30
                                        ; implicit-def: $vgpr30
	s_and_saveexec_b64 s[42:43], s[28:29]
	s_xor_b64 s[28:29], exec, s[42:43]
; %bb.2443:                             ;   in Loop: Header=BB12_1245 Depth=2
	v_bfe_u32 v30, v22, 16, 1
	v_add3_u32 v30, v22, v30, s57
                                        ; implicit-def: $vgpr22
; %bb.2444:                             ;   in Loop: Header=BB12_1245 Depth=2
	s_andn2_saveexec_b64 s[42:43], s[28:29]
	s_cbranch_execz .LBB12_2446
; %bb.2445:                             ;   in Loop: Header=BB12_1245 Depth=2
	buffer_load_dword v31, off, s[0:3], s33 offset:128 ; 4-byte Folded Reload
	buffer_load_dword v32, off, s[0:3], s33 offset:132 ; 4-byte Folded Reload
	v_or_b32_e32 v30, 0x10000, v22
	s_waitcnt vmcnt(0)
	v_cmp_eq_u32_sdwa s[28:29], v22, v31 src0_sel:WORD_0 src1_sel:DWORD
	v_cndmask_b32_e64 v30, v30, v22, s[28:29]
.LBB12_2446:                            ;   in Loop: Header=BB12_1245 Depth=2
	s_or_b64 exec, exec, s[42:43]
	buffer_load_dword v31, off, s[0:3], s33 offset:184 ; 4-byte Folded Reload
	buffer_load_dword v32, off, s[0:3], s33 offset:188 ; 4-byte Folded Reload
	;; [unrolled: 1-line block ×4, first 2 shown]
	v_and_b32_e32 v22, 0xffff0000, v27
	v_max_f32_e32 v22, v22, v22
	s_waitcnt vmcnt(0)
	v_and_b32_e32 v27, 0xffff0000, v34
	v_max_f32_e32 v27, v27, v27
	v_min_f32_e32 v31, v22, v27
	v_max_f32_e32 v22, v22, v27
	v_cndmask_b32_e32 v22, v22, v31, vcc
	v_and_b32_e32 v27, 0x7f800000, v22
	v_cmp_ne_u32_e64 s[28:29], s56, v27
                                        ; implicit-def: $vgpr27
	s_and_saveexec_b64 s[42:43], s[28:29]
	s_xor_b64 s[28:29], exec, s[42:43]
; %bb.2447:                             ;   in Loop: Header=BB12_1245 Depth=2
	v_bfe_u32 v27, v22, 16, 1
	v_add3_u32 v27, v22, v27, s57
                                        ; implicit-def: $vgpr22
; %bb.2448:                             ;   in Loop: Header=BB12_1245 Depth=2
	s_andn2_saveexec_b64 s[42:43], s[28:29]
	s_cbranch_execz .LBB12_2450
; %bb.2449:                             ;   in Loop: Header=BB12_1245 Depth=2
	buffer_load_dword v31, off, s[0:3], s33 offset:128 ; 4-byte Folded Reload
	buffer_load_dword v32, off, s[0:3], s33 offset:132 ; 4-byte Folded Reload
	v_or_b32_e32 v27, 0x10000, v22
	s_waitcnt vmcnt(0)
	v_cmp_eq_u32_sdwa s[28:29], v22, v31 src0_sel:WORD_0 src1_sel:DWORD
	v_cndmask_b32_e64 v27, v27, v22, s[28:29]
.LBB12_2450:                            ;   in Loop: Header=BB12_1245 Depth=2
	s_or_b64 exec, exec, s[42:43]
	buffer_load_dword v31, off, s[0:3], s33 offset:168 ; 4-byte Folded Reload
	buffer_load_dword v32, off, s[0:3], s33 offset:172 ; 4-byte Folded Reload
	;; [unrolled: 1-line block ×4, first 2 shown]
	v_lshlrev_b32_e32 v22, 16, v12
	v_max_f32_e32 v22, v22, v22
	s_waitcnt vmcnt(0)
	v_lshlrev_b32_e32 v31, 16, v31
	v_max_f32_e32 v31, v31, v31
	v_min_f32_e32 v32, v22, v31
	v_max_f32_e32 v22, v22, v31
	v_cndmask_b32_e32 v22, v22, v32, vcc
	v_and_b32_e32 v31, 0x7f800000, v22
	v_cmp_ne_u32_e64 s[28:29], s56, v31
                                        ; implicit-def: $vgpr31
	s_and_saveexec_b64 s[42:43], s[28:29]
	s_xor_b64 s[28:29], exec, s[42:43]
; %bb.2451:                             ;   in Loop: Header=BB12_1245 Depth=2
	v_bfe_u32 v31, v22, 16, 1
	v_add3_u32 v31, v22, v31, s57
                                        ; implicit-def: $vgpr22
; %bb.2452:                             ;   in Loop: Header=BB12_1245 Depth=2
	s_andn2_saveexec_b64 s[42:43], s[28:29]
	s_cbranch_execz .LBB12_2454
; %bb.2453:                             ;   in Loop: Header=BB12_1245 Depth=2
	buffer_load_dword v32, off, s[0:3], s33 offset:128 ; 4-byte Folded Reload
	buffer_load_dword v33, off, s[0:3], s33 offset:132 ; 4-byte Folded Reload
	v_or_b32_e32 v31, 0x10000, v22
	s_waitcnt vmcnt(0)
	v_cmp_eq_u32_sdwa s[28:29], v22, v32 src0_sel:WORD_0 src1_sel:DWORD
	v_cndmask_b32_e64 v31, v31, v22, s[28:29]
.LBB12_2454:                            ;   in Loop: Header=BB12_1245 Depth=2
	s_or_b64 exec, exec, s[42:43]
	buffer_load_dword v32, off, s[0:3], s33 offset:168 ; 4-byte Folded Reload
	buffer_load_dword v33, off, s[0:3], s33 offset:172 ; 4-byte Folded Reload
	;; [unrolled: 1-line block ×4, first 2 shown]
	v_and_b32_e32 v12, 0xffff0000, v12
	v_max_f32_e32 v12, v12, v12
	s_waitcnt vmcnt(0)
	v_and_b32_e32 v22, 0xffff0000, v32
	v_max_f32_e32 v22, v22, v22
	v_min_f32_e32 v32, v12, v22
	v_max_f32_e32 v12, v12, v22
	v_cndmask_b32_e32 v22, v12, v32, vcc
	v_and_b32_e32 v12, 0x7f800000, v22
	v_cmp_ne_u32_e64 s[28:29], s56, v12
                                        ; implicit-def: $vgpr12
	s_and_saveexec_b64 s[42:43], s[28:29]
	s_xor_b64 s[28:29], exec, s[42:43]
; %bb.2455:                             ;   in Loop: Header=BB12_1245 Depth=2
	v_bfe_u32 v12, v22, 16, 1
	v_add3_u32 v12, v22, v12, s57
                                        ; implicit-def: $vgpr22
; %bb.2456:                             ;   in Loop: Header=BB12_1245 Depth=2
	s_andn2_saveexec_b64 s[42:43], s[28:29]
	s_cbranch_execz .LBB12_2458
; %bb.2457:                             ;   in Loop: Header=BB12_1245 Depth=2
	buffer_load_dword v32, off, s[0:3], s33 offset:128 ; 4-byte Folded Reload
	buffer_load_dword v33, off, s[0:3], s33 offset:132 ; 4-byte Folded Reload
	v_or_b32_e32 v12, 0x10000, v22
	s_waitcnt vmcnt(0)
	v_cmp_eq_u32_sdwa s[28:29], v22, v32 src0_sel:WORD_0 src1_sel:DWORD
	v_cndmask_b32_e64 v12, v12, v22, s[28:29]
.LBB12_2458:                            ;   in Loop: Header=BB12_1245 Depth=2
	s_or_b64 exec, exec, s[42:43]
	buffer_load_dword v32, off, s[0:3], s33 offset:168 ; 4-byte Folded Reload
	buffer_load_dword v33, off, s[0:3], s33 offset:172 ; 4-byte Folded Reload
	;; [unrolled: 1-line block ×4, first 2 shown]
	v_lshlrev_b32_e32 v22, 16, v13
	v_max_f32_e32 v22, v22, v22
	s_waitcnt vmcnt(0)
	v_lshlrev_b32_e32 v32, 16, v33
	v_max_f32_e32 v32, v32, v32
	v_min_f32_e32 v33, v22, v32
	v_max_f32_e32 v22, v22, v32
	v_cndmask_b32_e32 v32, v22, v33, vcc
	v_and_b32_e32 v22, 0x7f800000, v32
	v_cmp_ne_u32_e64 s[28:29], s56, v22
                                        ; implicit-def: $vgpr22
	s_and_saveexec_b64 s[42:43], s[28:29]
	s_xor_b64 s[28:29], exec, s[42:43]
; %bb.2459:                             ;   in Loop: Header=BB12_1245 Depth=2
	v_bfe_u32 v22, v32, 16, 1
	v_add3_u32 v22, v32, v22, s57
                                        ; implicit-def: $vgpr32
; %bb.2460:                             ;   in Loop: Header=BB12_1245 Depth=2
	s_andn2_saveexec_b64 s[42:43], s[28:29]
	s_cbranch_execz .LBB12_2462
; %bb.2461:                             ;   in Loop: Header=BB12_1245 Depth=2
	buffer_load_dword v33, off, s[0:3], s33 offset:128 ; 4-byte Folded Reload
	buffer_load_dword v34, off, s[0:3], s33 offset:132 ; 4-byte Folded Reload
	v_or_b32_e32 v22, 0x10000, v32
	s_waitcnt vmcnt(0)
	v_cmp_eq_u32_sdwa s[28:29], v32, v33 src0_sel:WORD_0 src1_sel:DWORD
	v_cndmask_b32_e64 v22, v22, v32, s[28:29]
.LBB12_2462:                            ;   in Loop: Header=BB12_1245 Depth=2
	s_or_b64 exec, exec, s[42:43]
	buffer_load_dword v32, off, s[0:3], s33 offset:168 ; 4-byte Folded Reload
	buffer_load_dword v33, off, s[0:3], s33 offset:172 ; 4-byte Folded Reload
	;; [unrolled: 1-line block ×4, first 2 shown]
	v_and_b32_e32 v13, 0xffff0000, v13
	v_max_f32_e32 v13, v13, v13
	s_waitcnt vmcnt(0)
	v_and_b32_e32 v32, 0xffff0000, v33
	v_max_f32_e32 v32, v32, v32
	v_min_f32_e32 v33, v13, v32
	v_max_f32_e32 v13, v13, v32
	v_cndmask_b32_e32 v32, v13, v33, vcc
	v_and_b32_e32 v13, 0x7f800000, v32
	v_cmp_ne_u32_e64 s[28:29], s56, v13
                                        ; implicit-def: $vgpr13
	s_and_saveexec_b64 s[42:43], s[28:29]
	s_xor_b64 s[28:29], exec, s[42:43]
; %bb.2463:                             ;   in Loop: Header=BB12_1245 Depth=2
	v_bfe_u32 v13, v32, 16, 1
	v_add3_u32 v13, v32, v13, s57
                                        ; implicit-def: $vgpr32
; %bb.2464:                             ;   in Loop: Header=BB12_1245 Depth=2
	s_andn2_saveexec_b64 s[42:43], s[28:29]
	s_cbranch_execz .LBB12_2466
; %bb.2465:                             ;   in Loop: Header=BB12_1245 Depth=2
	buffer_load_dword v33, off, s[0:3], s33 offset:128 ; 4-byte Folded Reload
	buffer_load_dword v34, off, s[0:3], s33 offset:132 ; 4-byte Folded Reload
	v_or_b32_e32 v13, 0x10000, v32
	s_waitcnt vmcnt(0)
	v_cmp_eq_u32_sdwa s[28:29], v32, v33 src0_sel:WORD_0 src1_sel:DWORD
	v_cndmask_b32_e64 v13, v13, v32, s[28:29]
.LBB12_2466:                            ;   in Loop: Header=BB12_1245 Depth=2
	s_or_b64 exec, exec, s[42:43]
	buffer_load_dword v33, off, s[0:3], s33 offset:168 ; 4-byte Folded Reload
	buffer_load_dword v34, off, s[0:3], s33 offset:172 ; 4-byte Folded Reload
	;; [unrolled: 1-line block ×4, first 2 shown]
	v_lshlrev_b32_e32 v32, 16, v14
	v_max_f32_e32 v32, v32, v32
	s_waitcnt vmcnt(0)
	v_lshlrev_b32_e32 v33, 16, v35
	v_max_f32_e32 v33, v33, v33
	v_min_f32_e32 v34, v32, v33
	v_max_f32_e32 v32, v32, v33
	v_cndmask_b32_e32 v33, v32, v34, vcc
	v_and_b32_e32 v32, 0x7f800000, v33
	v_cmp_ne_u32_e64 s[28:29], s56, v32
                                        ; implicit-def: $vgpr32
	s_and_saveexec_b64 s[42:43], s[28:29]
	s_xor_b64 s[28:29], exec, s[42:43]
; %bb.2467:                             ;   in Loop: Header=BB12_1245 Depth=2
	v_bfe_u32 v32, v33, 16, 1
	v_add3_u32 v32, v33, v32, s57
                                        ; implicit-def: $vgpr33
; %bb.2468:                             ;   in Loop: Header=BB12_1245 Depth=2
	s_andn2_saveexec_b64 s[42:43], s[28:29]
	s_cbranch_execz .LBB12_2470
; %bb.2469:                             ;   in Loop: Header=BB12_1245 Depth=2
	buffer_load_dword v34, off, s[0:3], s33 offset:128 ; 4-byte Folded Reload
	buffer_load_dword v35, off, s[0:3], s33 offset:132 ; 4-byte Folded Reload
	v_or_b32_e32 v32, 0x10000, v33
	s_waitcnt vmcnt(0)
	v_cmp_eq_u32_sdwa s[28:29], v33, v34 src0_sel:WORD_0 src1_sel:DWORD
	v_cndmask_b32_e64 v32, v32, v33, s[28:29]
.LBB12_2470:                            ;   in Loop: Header=BB12_1245 Depth=2
	s_or_b64 exec, exec, s[42:43]
	buffer_load_dword v33, off, s[0:3], s33 offset:168 ; 4-byte Folded Reload
	buffer_load_dword v34, off, s[0:3], s33 offset:172 ; 4-byte Folded Reload
	;; [unrolled: 1-line block ×4, first 2 shown]
	v_and_b32_e32 v14, 0xffff0000, v14
	v_max_f32_e32 v14, v14, v14
	s_waitcnt vmcnt(0)
	v_and_b32_e32 v33, 0xffff0000, v35
	v_max_f32_e32 v33, v33, v33
	v_min_f32_e32 v34, v14, v33
	v_max_f32_e32 v14, v14, v33
	v_cndmask_b32_e32 v33, v14, v34, vcc
	v_and_b32_e32 v14, 0x7f800000, v33
	v_cmp_ne_u32_e64 s[28:29], s56, v14
                                        ; implicit-def: $vgpr14
	s_and_saveexec_b64 s[42:43], s[28:29]
	s_xor_b64 s[28:29], exec, s[42:43]
; %bb.2471:                             ;   in Loop: Header=BB12_1245 Depth=2
	v_bfe_u32 v14, v33, 16, 1
	v_add3_u32 v14, v33, v14, s57
                                        ; implicit-def: $vgpr33
; %bb.2472:                             ;   in Loop: Header=BB12_1245 Depth=2
	s_andn2_saveexec_b64 s[42:43], s[28:29]
	s_cbranch_execz .LBB12_2474
; %bb.2473:                             ;   in Loop: Header=BB12_1245 Depth=2
	buffer_load_dword v34, off, s[0:3], s33 offset:128 ; 4-byte Folded Reload
	buffer_load_dword v35, off, s[0:3], s33 offset:132 ; 4-byte Folded Reload
	v_or_b32_e32 v14, 0x10000, v33
	s_waitcnt vmcnt(0)
	v_cmp_eq_u32_sdwa s[28:29], v33, v34 src0_sel:WORD_0 src1_sel:DWORD
	v_cndmask_b32_e64 v14, v14, v33, s[28:29]
.LBB12_2474:                            ;   in Loop: Header=BB12_1245 Depth=2
	s_or_b64 exec, exec, s[42:43]
	buffer_load_dword v34, off, s[0:3], s33 offset:168 ; 4-byte Folded Reload
	buffer_load_dword v35, off, s[0:3], s33 offset:172 ; 4-byte Folded Reload
	;; [unrolled: 1-line block ×4, first 2 shown]
	v_lshlrev_b32_e32 v33, 16, v15
	v_max_f32_e32 v33, v33, v33
	s_waitcnt vmcnt(0)
	v_lshlrev_b32_e32 v34, 16, v37
	v_max_f32_e32 v34, v34, v34
	v_min_f32_e32 v35, v33, v34
	v_max_f32_e32 v33, v33, v34
	v_cndmask_b32_e32 v34, v33, v35, vcc
	v_and_b32_e32 v33, 0x7f800000, v34
	v_cmp_ne_u32_e64 s[28:29], s56, v33
                                        ; implicit-def: $vgpr33
	s_and_saveexec_b64 s[42:43], s[28:29]
	s_xor_b64 s[28:29], exec, s[42:43]
; %bb.2475:                             ;   in Loop: Header=BB12_1245 Depth=2
	v_bfe_u32 v33, v34, 16, 1
	v_add3_u32 v33, v34, v33, s57
                                        ; implicit-def: $vgpr34
; %bb.2476:                             ;   in Loop: Header=BB12_1245 Depth=2
	s_andn2_saveexec_b64 s[42:43], s[28:29]
	s_cbranch_execz .LBB12_2478
; %bb.2477:                             ;   in Loop: Header=BB12_1245 Depth=2
	buffer_load_dword v35, off, s[0:3], s33 offset:128 ; 4-byte Folded Reload
	buffer_load_dword v36, off, s[0:3], s33 offset:132 ; 4-byte Folded Reload
	v_or_b32_e32 v33, 0x10000, v34
	s_waitcnt vmcnt(0)
	v_cmp_eq_u32_sdwa s[28:29], v34, v35 src0_sel:WORD_0 src1_sel:DWORD
	v_cndmask_b32_e64 v33, v33, v34, s[28:29]
.LBB12_2478:                            ;   in Loop: Header=BB12_1245 Depth=2
	s_or_b64 exec, exec, s[42:43]
	buffer_load_dword v34, off, s[0:3], s33 offset:168 ; 4-byte Folded Reload
	buffer_load_dword v35, off, s[0:3], s33 offset:172 ; 4-byte Folded Reload
	;; [unrolled: 1-line block ×4, first 2 shown]
	v_and_b32_e32 v15, 0xffff0000, v15
	v_max_f32_e32 v15, v15, v15
	s_waitcnt vmcnt(0)
	v_and_b32_e32 v34, 0xffff0000, v37
	v_max_f32_e32 v34, v34, v34
	v_min_f32_e32 v35, v15, v34
	v_max_f32_e32 v15, v15, v34
	v_cndmask_b32_e32 v34, v15, v35, vcc
	v_and_b32_e32 v15, 0x7f800000, v34
	v_cmp_ne_u32_e32 vcc, s56, v15
                                        ; implicit-def: $vgpr15
	s_and_saveexec_b64 s[28:29], vcc
	s_xor_b64 s[28:29], exec, s[28:29]
; %bb.2479:                             ;   in Loop: Header=BB12_1245 Depth=2
	v_bfe_u32 v15, v34, 16, 1
	v_add3_u32 v15, v34, v15, s57
                                        ; implicit-def: $vgpr34
; %bb.2480:                             ;   in Loop: Header=BB12_1245 Depth=2
	s_andn2_saveexec_b64 s[28:29], s[28:29]
	s_cbranch_execz .LBB12_2482
; %bb.2481:                             ;   in Loop: Header=BB12_1245 Depth=2
	buffer_load_dword v35, off, s[0:3], s33 offset:128 ; 4-byte Folded Reload
	buffer_load_dword v36, off, s[0:3], s33 offset:132 ; 4-byte Folded Reload
	v_or_b32_e32 v15, 0x10000, v34
	s_waitcnt vmcnt(0)
	v_cmp_eq_u32_sdwa vcc, v34, v35 src0_sel:WORD_0 src1_sel:DWORD
	v_cndmask_b32_e32 v15, v15, v34, vcc
.LBB12_2482:                            ;   in Loop: Header=BB12_1245 Depth=2
	s_or_b64 exec, exec, s[28:29]
	v_lshrrev_b32_e32 v2, 16, v2
	v_lshrrev_b32_e32 v4, 16, v4
	v_and_or_b32 v3, v3, s46, v2
	v_lshrrev_b32_e32 v2, 16, v6
	v_and_or_b32 v4, v5, s46, v4
	v_and_or_b32 v5, v7, s46, v2
	v_lshrrev_b32_e32 v2, 16, v8
	v_and_or_b32 v6, v9, s46, v2
	v_lshrrev_b32_e32 v2, 16, v22
	v_lshrrev_b32_e32 v23, 16, v23
	v_lshrrev_b32_e32 v16, 16, v16
	v_lshrrev_b32_e32 v10, 16, v10
	v_and_or_b32 v8, v13, s46, v2
	v_lshrrev_b32_e32 v2, 16, v31
	v_and_or_b32 v24, v24, s46, v23
	v_lshrrev_b32_e32 v23, 16, v29
	v_and_or_b32 v17, v17, s46, v16
	v_and_or_b32 v16, v11, s46, v10
	v_lshrrev_b32_e32 v10, 16, v18
	v_and_or_b32 v7, v12, s46, v2
	v_lshrrev_b32_e32 v2, 16, v32
	v_lshrrev_b32_e32 v28, 16, v28
	v_and_or_b32 v26, v26, s46, v23
	v_lshrrev_b32_e32 v23, 16, v30
	v_and_or_b32 v18, v19, s46, v10
	v_lshrrev_b32_e32 v10, 16, v20
	v_and_or_b32 v9, v14, s46, v2
	v_lshrrev_b32_e32 v2, 16, v33
	v_and_or_b32 v25, v25, s46, v28
	v_and_or_b32 v27, v27, s46, v23
	v_and_or_b32 v19, v21, s46, v10
	;; [unrolled: 1-line block ×3, first 2 shown]
	global_store_dwordx4 v[0:1], v[3:6], off glc slc
	global_store_dwordx4 v[0:1], v[16:19], off offset:1024 glc slc
	global_store_dwordx4 v[0:1], v[24:27], off offset:2048 glc slc
	;; [unrolled: 1-line block ×3, first 2 shown]
.LBB12_2483:                            ;   in Loop: Header=BB12_1245 Depth=2
	s_or_b64 exec, exec, s[40:41]
	buffer_load_dword v0, off, s[0:3], s33 offset:452 ; 4-byte Folded Reload
                                        ; implicit-def: $vgpr6
                                        ; implicit-def: $vgpr7
	s_waitcnt vmcnt(0)
	v_lshlrev_b32_e32 v2, 12, v0
	v_cmp_ne_u32_e32 vcc, v50, v2
                                        ; implicit-def: $vgpr0
	s_and_saveexec_b64 s[92:93], vcc
	s_cbranch_execz .LBB12_2598
; %bb.2484:                             ;   in Loop: Header=BB12_1245 Depth=2
	buffer_load_dword v1, off, s[0:3], s33 offset:240 ; 4-byte Folded Reload
	v_sub_u32_e32 v0, v50, v2
	s_mov_b64 s[40:41], 0
	s_waitcnt vmcnt(0)
	v_lshlrev_b32_e32 v1, 6, v1
	v_sub_u32_e32 v1, v41, v1
	v_ashrrev_i32_e32 v3, 31, v1
	v_lshrrev_b32_e32 v3, 26, v3
	v_add_u32_e32 v3, v1, v3
	v_ashrrev_i32_e32 v7, 6, v3
	v_and_b32_e32 v3, 0xffffffc0, v3
	v_sub_u32_e32 v3, v1, v3
	v_lshlrev_b32_e32 v1, 4, v3
	v_lshl_add_u32 v1, v7, 10, v1
	v_add_u32_e32 v10, v1, v2
	v_sub_u32_e32 v6, v0, v1
	v_ashrrev_i32_e32 v1, 31, v0
	v_lshrrev_b32_e32 v1, 22, v1
	v_add_u32_e32 v1, v0, v1
	v_and_b32_e32 v4, 0xfffffc00, v1
	v_sub_u32_e32 v5, v0, v4
	v_ashrrev_i32_e32 v8, 10, v1
	v_cmp_lt_i32_e64 s[28:29], 15, v5
	v_addc_co_u32_e64 v0, vcc, 0, v8, s[28:29]
	v_ashrrev_i32_e32 v11, 31, v10
	v_sub_u32_e32 v8, v0, v7
	v_add_co_u32_e32 v0, vcc, v10, v52
	v_addc_co_u32_e32 v1, vcc, v11, v53, vcc
	v_cmp_lt_i32_e32 vcc, 15, v6
	s_and_saveexec_b64 s[94:95], vcc
	s_cbranch_execz .LBB12_2561
; %bb.2485:                             ;   in Loop: Header=BB12_1245 Depth=2
	s_trap 2
	ds_read_b64 v[12:13], v0
	buffer_load_dword v14, off, s[0:3], s33 offset:500 ; 4-byte Folded Reload
	buffer_load_dword v15, off, s[0:3], s33 offset:504 ; 4-byte Folded Reload
	s_and_b32 s40, 0xffff, s9
	s_cmp_eq_u32 s40, 0
	s_mov_b64 s[36:37], 0
	s_mov_b64 s[30:31], 0
	s_cselect_b64 s[40:41], -1, 0
                                        ; implicit-def: $sgpr34_sgpr35
	s_waitcnt vmcnt(0)
	v_add_co_u32_e32 v7, vcc, v10, v14
	v_addc_co_u32_e32 v9, vcc, v11, v15, vcc
	s_waitcnt lgkmcnt(0)
	v_add_co_u32_e32 v10, vcc, v12, v10
	v_addc_co_u32_e32 v11, vcc, v13, v11, vcc
	s_branch .LBB12_2487
.LBB12_2486:                            ;   in Loop: Header=BB12_2487 Depth=3
	s_or_b64 exec, exec, s[42:43]
	v_cmp_gt_i32_e32 vcc, 16, v6
	s_or_b64 s[30:31], vcc, s[30:31]
	s_andn2_b64 s[42:43], s[34:35], exec
	s_and_b64 vcc, s[36:37], exec
	s_or_b64 s[34:35], s[42:43], vcc
	s_andn2_b64 exec, exec, s[30:31]
	s_cbranch_execz .LBB12_2560
.LBB12_2487:                            ;   Parent Loop BB12_47 Depth=1
                                        ;     Parent Loop BB12_1245 Depth=2
                                        ; =>    This Loop Header: Depth=3
                                        ;         Child Loop BB12_2488 Depth 4
                                        ;         Child Loop BB12_2525 Depth 4
	s_lshr_b32 s77, s33, 6
	s_add_i32 s77, s77, 64
	s_mov_b64 s[38:39], -1
	s_mov_b64 s[48:49], 0
.LBB12_2488:                            ;   Parent Loop BB12_47 Depth=1
                                        ;     Parent Loop BB12_1245 Depth=2
                                        ;       Parent Loop BB12_2487 Depth=3
                                        ; =>      This Inner Loop Header: Depth=4
	s_cmp_eq_u32 s48, 1
	s_cselect_b64 s[42:43], -1, 0
	v_cndmask_b32_e64 v17, v9, v11, s[42:43]
	v_cndmask_b32_e64 v16, v7, v10, s[42:43]
	global_load_dwordx4 v[12:15], v[16:17], off glc slc
	v_mov_b32_e32 v18, s77
	s_cmp_eq_u32 s48, 0
	s_mov_b64 s[48:49], 1
	s_mov_b32 s77, s85
	s_waitcnt vmcnt(0)
	buffer_store_dword v13, v18, s[0:3], 0 offen offset:4
	buffer_store_dword v12, v18, s[0:3], 0 offen
	buffer_store_dword v15, v18, s[0:3], 0 offen offset:12
	buffer_store_dword v14, v18, s[0:3], 0 offen offset:8
	v_add_co_u32_e32 v12, vcc, s55, v16
	v_addc_co_u32_e32 v13, vcc, 0, v17, vcc
	s_cselect_b64 vcc, -1, 0
	v_cndmask_b32_e32 v9, v9, v13, vcc
	v_cndmask_b32_e32 v7, v7, v12, vcc
	v_cndmask_b32_e64 v11, v11, v13, s[42:43]
	v_cndmask_b32_e64 v10, v10, v12, s[42:43]
	s_and_b64 vcc, exec, s[38:39]
	s_mov_b64 s[38:39], 0
	s_cbranch_vccnz .LBB12_2488
; %bb.2489:                             ;   in Loop: Header=BB12_2487 Depth=3
	s_and_saveexec_b64 s[42:43], s[36:37]
	s_cbranch_execz .LBB12_2523
; %bb.2490:                             ;   in Loop: Header=BB12_2487 Depth=3
	buffer_load_dword v15, off, s[0:3], s33 offset:96
	buffer_load_dword v16, off, s[0:3], s33 offset:112
	;; [unrolled: 1-line block ×8, first 2 shown]
	s_waitcnt vmcnt(7)
	v_lshlrev_b32_e32 v12, 16, v15
	s_waitcnt vmcnt(6)
	v_lshlrev_b32_e32 v21, 16, v16
	v_max_f32_e32 v21, v21, v21
	v_max_f32_e32 v12, v12, v12
	v_min_f32_e32 v22, v12, v21
	v_max_f32_e32 v12, v12, v21
	v_cndmask_b32_e64 v21, v12, v22, s[40:41]
	v_and_b32_e32 v12, 0x7f800000, v21
	v_cmp_ne_u32_e32 vcc, s56, v12
                                        ; implicit-def: $vgpr12
	s_and_saveexec_b64 s[36:37], vcc
	s_xor_b64 vcc, exec, s[36:37]
; %bb.2491:                             ;   in Loop: Header=BB12_2487 Depth=3
	v_bfe_u32 v12, v21, 16, 1
	v_add3_u32 v12, v21, v12, s57
                                        ; implicit-def: $vgpr21
; %bb.2492:                             ;   in Loop: Header=BB12_2487 Depth=3
	s_andn2_saveexec_b64 s[36:37], vcc
	s_cbranch_execz .LBB12_2494
; %bb.2493:                             ;   in Loop: Header=BB12_2487 Depth=3
	buffer_load_dword v22, off, s[0:3], s33 offset:128 ; 4-byte Folded Reload
	buffer_load_dword v23, off, s[0:3], s33 offset:132 ; 4-byte Folded Reload
	v_or_b32_e32 v12, 0x10000, v21
	s_waitcnt vmcnt(1)
	v_cmp_eq_u32_sdwa vcc, v21, v22 src0_sel:WORD_0 src1_sel:DWORD
	v_cndmask_b32_e32 v12, v12, v21, vcc
.LBB12_2494:                            ;   in Loop: Header=BB12_2487 Depth=3
	s_or_b64 exec, exec, s[36:37]
	v_and_b32_e32 v15, 0xffff0000, v15
	v_and_b32_e32 v16, 0xffff0000, v16
	v_max_f32_e32 v16, v16, v16
	v_max_f32_e32 v15, v15, v15
	v_min_f32_e32 v21, v15, v16
	v_max_f32_e32 v15, v15, v16
	v_cndmask_b32_e64 v16, v15, v21, s[40:41]
	v_and_b32_e32 v15, 0x7f800000, v16
	v_cmp_ne_u32_e32 vcc, s56, v15
                                        ; implicit-def: $vgpr15
	s_and_saveexec_b64 s[36:37], vcc
	s_xor_b64 vcc, exec, s[36:37]
; %bb.2495:                             ;   in Loop: Header=BB12_2487 Depth=3
	v_bfe_u32 v15, v16, 16, 1
	v_add3_u32 v15, v16, v15, s57
                                        ; implicit-def: $vgpr16
; %bb.2496:                             ;   in Loop: Header=BB12_2487 Depth=3
	s_andn2_saveexec_b64 s[36:37], vcc
	s_cbranch_execz .LBB12_2498
; %bb.2497:                             ;   in Loop: Header=BB12_2487 Depth=3
	buffer_load_dword v21, off, s[0:3], s33 offset:128 ; 4-byte Folded Reload
	buffer_load_dword v22, off, s[0:3], s33 offset:132 ; 4-byte Folded Reload
	v_or_b32_e32 v15, 0x10000, v16
	s_waitcnt vmcnt(1)
	v_cmp_eq_u32_sdwa vcc, v16, v21 src0_sel:WORD_0 src1_sel:DWORD
	v_cndmask_b32_e32 v15, v15, v16, vcc
.LBB12_2498:                            ;   in Loop: Header=BB12_2487 Depth=3
	s_or_b64 exec, exec, s[36:37]
	s_waitcnt vmcnt(5)
	v_lshlrev_b32_e32 v16, 16, v19
	s_waitcnt vmcnt(3)
	v_lshlrev_b32_e32 v21, 16, v20
	v_max_f32_e32 v21, v21, v21
	v_max_f32_e32 v16, v16, v16
	s_waitcnt vmcnt(0)
	v_min_f32_e32 v22, v16, v21
	v_max_f32_e32 v16, v16, v21
	v_cndmask_b32_e64 v21, v16, v22, s[40:41]
	v_and_b32_e32 v16, 0x7f800000, v21
	v_cmp_ne_u32_e32 vcc, s56, v16
                                        ; implicit-def: $vgpr16
	s_and_saveexec_b64 s[36:37], vcc
	s_xor_b64 vcc, exec, s[36:37]
; %bb.2499:                             ;   in Loop: Header=BB12_2487 Depth=3
	v_bfe_u32 v16, v21, 16, 1
	v_add3_u32 v16, v21, v16, s57
                                        ; implicit-def: $vgpr21
; %bb.2500:                             ;   in Loop: Header=BB12_2487 Depth=3
	s_andn2_saveexec_b64 s[36:37], vcc
	s_cbranch_execz .LBB12_2502
; %bb.2501:                             ;   in Loop: Header=BB12_2487 Depth=3
	buffer_load_dword v22, off, s[0:3], s33 offset:128 ; 4-byte Folded Reload
	buffer_load_dword v23, off, s[0:3], s33 offset:132 ; 4-byte Folded Reload
	v_or_b32_e32 v16, 0x10000, v21
	s_waitcnt vmcnt(1)
	v_cmp_eq_u32_sdwa vcc, v21, v22 src0_sel:WORD_0 src1_sel:DWORD
	v_cndmask_b32_e32 v16, v16, v21, vcc
.LBB12_2502:                            ;   in Loop: Header=BB12_2487 Depth=3
	s_or_b64 exec, exec, s[36:37]
	v_and_b32_e32 v19, 0xffff0000, v19
	v_and_b32_e32 v20, 0xffff0000, v20
	v_max_f32_e32 v20, v20, v20
	v_max_f32_e32 v19, v19, v19
	v_min_f32_e32 v21, v19, v20
	v_max_f32_e32 v19, v19, v20
	v_cndmask_b32_e64 v20, v19, v21, s[40:41]
	v_and_b32_e32 v19, 0x7f800000, v20
	v_cmp_ne_u32_e32 vcc, s56, v19
                                        ; implicit-def: $vgpr19
	s_and_saveexec_b64 s[36:37], vcc
	s_xor_b64 vcc, exec, s[36:37]
; %bb.2503:                             ;   in Loop: Header=BB12_2487 Depth=3
	v_bfe_u32 v19, v20, 16, 1
	v_add3_u32 v19, v20, v19, s57
                                        ; implicit-def: $vgpr20
; %bb.2504:                             ;   in Loop: Header=BB12_2487 Depth=3
	s_andn2_saveexec_b64 s[36:37], vcc
	s_cbranch_execz .LBB12_2506
; %bb.2505:                             ;   in Loop: Header=BB12_2487 Depth=3
	buffer_load_dword v21, off, s[0:3], s33 offset:128 ; 4-byte Folded Reload
	buffer_load_dword v22, off, s[0:3], s33 offset:132 ; 4-byte Folded Reload
	v_or_b32_e32 v19, 0x10000, v20
	s_waitcnt vmcnt(1)
	v_cmp_eq_u32_sdwa vcc, v20, v21 src0_sel:WORD_0 src1_sel:DWORD
	v_cndmask_b32_e32 v19, v19, v20, vcc
.LBB12_2506:                            ;   in Loop: Header=BB12_2487 Depth=3
	s_or_b64 exec, exec, s[36:37]
	v_lshlrev_b32_e32 v20, 16, v17
	v_lshlrev_b32_e32 v21, 16, v18
	v_max_f32_e32 v21, v21, v21
	v_max_f32_e32 v20, v20, v20
	s_waitcnt vmcnt(0)
	v_min_f32_e32 v22, v20, v21
	v_max_f32_e32 v20, v20, v21
	v_cndmask_b32_e64 v21, v20, v22, s[40:41]
	v_and_b32_e32 v20, 0x7f800000, v21
	v_cmp_ne_u32_e32 vcc, s56, v20
                                        ; implicit-def: $vgpr20
	s_and_saveexec_b64 s[36:37], vcc
	s_xor_b64 vcc, exec, s[36:37]
; %bb.2507:                             ;   in Loop: Header=BB12_2487 Depth=3
	v_bfe_u32 v20, v21, 16, 1
	v_add3_u32 v20, v21, v20, s57
                                        ; implicit-def: $vgpr21
; %bb.2508:                             ;   in Loop: Header=BB12_2487 Depth=3
	s_andn2_saveexec_b64 s[36:37], vcc
	s_cbranch_execz .LBB12_2510
; %bb.2509:                             ;   in Loop: Header=BB12_2487 Depth=3
	buffer_load_dword v22, off, s[0:3], s33 offset:128 ; 4-byte Folded Reload
	buffer_load_dword v23, off, s[0:3], s33 offset:132 ; 4-byte Folded Reload
	v_or_b32_e32 v20, 0x10000, v21
	s_waitcnt vmcnt(1)
	v_cmp_eq_u32_sdwa vcc, v21, v22 src0_sel:WORD_0 src1_sel:DWORD
	v_cndmask_b32_e32 v20, v20, v21, vcc
.LBB12_2510:                            ;   in Loop: Header=BB12_2487 Depth=3
	s_or_b64 exec, exec, s[36:37]
	v_and_b32_e32 v17, 0xffff0000, v17
	v_and_b32_e32 v18, 0xffff0000, v18
	v_max_f32_e32 v18, v18, v18
	v_max_f32_e32 v17, v17, v17
	v_min_f32_e32 v21, v17, v18
	v_max_f32_e32 v17, v17, v18
	v_cndmask_b32_e64 v18, v17, v21, s[40:41]
	v_and_b32_e32 v17, 0x7f800000, v18
	v_cmp_ne_u32_e32 vcc, s56, v17
                                        ; implicit-def: $vgpr17
	s_and_saveexec_b64 s[36:37], vcc
	s_xor_b64 vcc, exec, s[36:37]
; %bb.2511:                             ;   in Loop: Header=BB12_2487 Depth=3
	v_bfe_u32 v17, v18, 16, 1
	v_add3_u32 v17, v18, v17, s57
                                        ; implicit-def: $vgpr18
; %bb.2512:                             ;   in Loop: Header=BB12_2487 Depth=3
	s_andn2_saveexec_b64 s[36:37], vcc
	s_cbranch_execz .LBB12_2514
; %bb.2513:                             ;   in Loop: Header=BB12_2487 Depth=3
	buffer_load_dword v21, off, s[0:3], s33 offset:128 ; 4-byte Folded Reload
	buffer_load_dword v22, off, s[0:3], s33 offset:132 ; 4-byte Folded Reload
	v_or_b32_e32 v17, 0x10000, v18
	s_waitcnt vmcnt(1)
	v_cmp_eq_u32_sdwa vcc, v18, v21 src0_sel:WORD_0 src1_sel:DWORD
	v_cndmask_b32_e32 v17, v17, v18, vcc
.LBB12_2514:                            ;   in Loop: Header=BB12_2487 Depth=3
	s_or_b64 exec, exec, s[36:37]
	v_lshlrev_b32_e32 v18, 16, v14
	v_lshlrev_b32_e32 v21, 16, v13
	v_max_f32_e32 v21, v21, v21
	v_max_f32_e32 v18, v18, v18
	s_waitcnt vmcnt(0)
	v_min_f32_e32 v22, v18, v21
	v_max_f32_e32 v18, v18, v21
	v_cndmask_b32_e64 v21, v18, v22, s[40:41]
	v_and_b32_e32 v18, 0x7f800000, v21
	v_cmp_ne_u32_e32 vcc, s56, v18
                                        ; implicit-def: $vgpr18
	s_and_saveexec_b64 s[36:37], vcc
	s_xor_b64 vcc, exec, s[36:37]
; %bb.2515:                             ;   in Loop: Header=BB12_2487 Depth=3
	v_bfe_u32 v18, v21, 16, 1
	v_add3_u32 v18, v21, v18, s57
                                        ; implicit-def: $vgpr21
; %bb.2516:                             ;   in Loop: Header=BB12_2487 Depth=3
	s_andn2_saveexec_b64 s[36:37], vcc
	s_cbranch_execz .LBB12_2518
; %bb.2517:                             ;   in Loop: Header=BB12_2487 Depth=3
	buffer_load_dword v22, off, s[0:3], s33 offset:128 ; 4-byte Folded Reload
	buffer_load_dword v23, off, s[0:3], s33 offset:132 ; 4-byte Folded Reload
	v_or_b32_e32 v18, 0x10000, v21
	s_waitcnt vmcnt(1)
	v_cmp_eq_u32_sdwa vcc, v21, v22 src0_sel:WORD_0 src1_sel:DWORD
	v_cndmask_b32_e32 v18, v18, v21, vcc
.LBB12_2518:                            ;   in Loop: Header=BB12_2487 Depth=3
	s_or_b64 exec, exec, s[36:37]
	v_and_b32_e32 v14, 0xffff0000, v14
	v_and_b32_e32 v13, 0xffff0000, v13
	v_max_f32_e32 v13, v13, v13
	v_max_f32_e32 v14, v14, v14
	v_min_f32_e32 v21, v14, v13
	v_max_f32_e32 v13, v14, v13
	v_cndmask_b32_e64 v14, v13, v21, s[40:41]
	v_and_b32_e32 v13, 0x7f800000, v14
	v_cmp_ne_u32_e32 vcc, s56, v13
                                        ; implicit-def: $vgpr13
	s_and_saveexec_b64 s[36:37], vcc
	s_xor_b64 vcc, exec, s[36:37]
; %bb.2519:                             ;   in Loop: Header=BB12_2487 Depth=3
	v_bfe_u32 v13, v14, 16, 1
	v_add3_u32 v13, v14, v13, s57
                                        ; implicit-def: $vgpr14
; %bb.2520:                             ;   in Loop: Header=BB12_2487 Depth=3
	s_andn2_saveexec_b64 s[36:37], vcc
	s_cbranch_execz .LBB12_2522
; %bb.2521:                             ;   in Loop: Header=BB12_2487 Depth=3
	buffer_load_dword v21, off, s[0:3], s33 offset:128 ; 4-byte Folded Reload
	buffer_load_dword v22, off, s[0:3], s33 offset:132 ; 4-byte Folded Reload
	v_or_b32_e32 v13, 0x10000, v14
	s_waitcnt vmcnt(1)
	v_cmp_eq_u32_sdwa vcc, v14, v21 src0_sel:WORD_0 src1_sel:DWORD
	v_cndmask_b32_e32 v13, v13, v14, vcc
.LBB12_2522:                            ;   in Loop: Header=BB12_2487 Depth=3
	s_or_b64 exec, exec, s[36:37]
	v_lshrrev_b32_e32 v12, 16, v12
	v_lshrrev_b32_e32 v14, 16, v16
	v_and_or_b32 v15, v15, s46, v12
	v_lshrrev_b32_e32 v12, 16, v20
	v_and_or_b32 v16, v19, s46, v14
	v_and_or_b32 v17, v17, s46, v12
	v_lshrrev_b32_e32 v12, 16, v18
	v_and_or_b32 v18, v13, s46, v12
	buffer_store_dword v16, off, s[0:3], s33 offset:100
	buffer_store_dword v15, off, s[0:3], s33 offset:96
	;; [unrolled: 1-line block ×4, first 2 shown]
	buffer_load_dword v12, off, s[0:3], s33 offset:344 ; 4-byte Folded Reload
	s_nop 0
	global_store_dwordx4 v[0:1], v[15:18], off glc slc
	s_waitcnt vmcnt(1)
	v_add_co_u32_e32 v0, vcc, v12, v0
	buffer_load_dword v12, off, s[0:3], s33 offset:348 ; 4-byte Folded Reload
	s_waitcnt vmcnt(0)
	v_addc_co_u32_e32 v1, vcc, v12, v1, vcc
.LBB12_2523:                            ;   in Loop: Header=BB12_2487 Depth=3
	s_or_b64 exec, exec, s[42:43]
	buffer_load_dword v12, off, s[0:3], s33 offset:340 ; 4-byte Folded Reload
	v_add_co_u32_e32 v7, vcc, v7, v46
	v_sub_u32_e32 v6, v6, v44
	v_cmp_lt_i32_e64 s[36:37], 15, v6
	s_waitcnt vmcnt(0)
	v_addc_co_u32_e32 v9, vcc, v9, v12, vcc
	v_add_co_u32_e32 v10, vcc, v10, v46
	v_addc_co_u32_e32 v11, vcc, v11, v12, vcc
	s_and_saveexec_b64 s[38:39], s[36:37]
	s_cbranch_execz .LBB12_2526
; %bb.2524:                             ;   in Loop: Header=BB12_2487 Depth=3
	s_lshr_b32 s77, s33, 6
	s_addk_i32 s77, 0x60
	s_mov_b64 s[50:51], 0
	s_mov_b64 s[48:49], -1
.LBB12_2525:                            ;   Parent Loop BB12_47 Depth=1
                                        ;     Parent Loop BB12_1245 Depth=2
                                        ;       Parent Loop BB12_2487 Depth=3
                                        ; =>      This Inner Loop Header: Depth=4
	s_cmp_eq_u32 s50, 1
	s_cselect_b64 s[42:43], -1, 0
	v_cndmask_b32_e64 v17, v9, v11, s[42:43]
	v_cndmask_b32_e64 v16, v7, v10, s[42:43]
	global_load_dwordx4 v[12:15], v[16:17], off glc slc
	v_mov_b32_e32 v18, s77
	s_cmp_eq_u32 s50, 0
	s_mov_b64 s[50:51], 1
	s_mov_b32 s77, s84
	s_waitcnt vmcnt(0)
	buffer_store_dword v13, v18, s[0:3], 0 offen offset:4
	buffer_store_dword v12, v18, s[0:3], 0 offen
	buffer_store_dword v15, v18, s[0:3], 0 offen offset:12
	buffer_store_dword v14, v18, s[0:3], 0 offen offset:8
	v_add_co_u32_e32 v12, vcc, s55, v16
	v_addc_co_u32_e32 v13, vcc, 0, v17, vcc
	s_cselect_b64 vcc, -1, 0
	v_cndmask_b32_e32 v9, v9, v13, vcc
	v_cndmask_b32_e32 v7, v7, v12, vcc
	v_cndmask_b32_e64 v11, v11, v13, s[42:43]
	v_cndmask_b32_e64 v10, v10, v12, s[42:43]
	s_and_b64 vcc, exec, s[48:49]
	s_mov_b64 s[48:49], 0
	s_cbranch_vccnz .LBB12_2525
.LBB12_2526:                            ;   in Loop: Header=BB12_2487 Depth=3
	s_or_b64 exec, exec, s[38:39]
	buffer_load_dword v15, off, s[0:3], s33 offset:64
	buffer_load_dword v16, off, s[0:3], s33 offset:80
	;; [unrolled: 1-line block ×8, first 2 shown]
	s_waitcnt vmcnt(7)
	v_lshlrev_b32_e32 v12, 16, v15
	s_waitcnt vmcnt(6)
	v_lshlrev_b32_e32 v21, 16, v16
	v_max_f32_e32 v21, v21, v21
	v_max_f32_e32 v12, v12, v12
	v_min_f32_e32 v22, v12, v21
	v_max_f32_e32 v12, v12, v21
	v_cndmask_b32_e64 v21, v12, v22, s[40:41]
	v_and_b32_e32 v12, 0x7f800000, v21
	v_cmp_ne_u32_e32 vcc, s56, v12
                                        ; implicit-def: $vgpr12
	s_and_saveexec_b64 s[42:43], vcc
	s_xor_b64 s[42:43], exec, s[42:43]
; %bb.2527:                             ;   in Loop: Header=BB12_2487 Depth=3
	v_bfe_u32 v12, v21, 16, 1
	v_add3_u32 v12, v21, v12, s57
                                        ; implicit-def: $vgpr21
; %bb.2528:                             ;   in Loop: Header=BB12_2487 Depth=3
	s_andn2_saveexec_b64 s[42:43], s[42:43]
	s_cbranch_execz .LBB12_2530
; %bb.2529:                             ;   in Loop: Header=BB12_2487 Depth=3
	buffer_load_dword v22, off, s[0:3], s33 offset:128 ; 4-byte Folded Reload
	buffer_load_dword v23, off, s[0:3], s33 offset:132 ; 4-byte Folded Reload
	v_or_b32_e32 v12, 0x10000, v21
	s_waitcnt vmcnt(1)
	v_cmp_eq_u32_sdwa vcc, v21, v22 src0_sel:WORD_0 src1_sel:DWORD
	v_cndmask_b32_e32 v12, v12, v21, vcc
.LBB12_2530:                            ;   in Loop: Header=BB12_2487 Depth=3
	s_or_b64 exec, exec, s[42:43]
	v_and_b32_e32 v15, 0xffff0000, v15
	v_and_b32_e32 v16, 0xffff0000, v16
	v_max_f32_e32 v16, v16, v16
	v_max_f32_e32 v15, v15, v15
	v_min_f32_e32 v21, v15, v16
	v_max_f32_e32 v15, v15, v16
	v_cndmask_b32_e64 v16, v15, v21, s[40:41]
	v_and_b32_e32 v15, 0x7f800000, v16
	v_cmp_ne_u32_e32 vcc, s56, v15
                                        ; implicit-def: $vgpr15
	s_and_saveexec_b64 s[42:43], vcc
	s_xor_b64 s[42:43], exec, s[42:43]
; %bb.2531:                             ;   in Loop: Header=BB12_2487 Depth=3
	v_bfe_u32 v15, v16, 16, 1
	v_add3_u32 v15, v16, v15, s57
                                        ; implicit-def: $vgpr16
; %bb.2532:                             ;   in Loop: Header=BB12_2487 Depth=3
	s_andn2_saveexec_b64 s[42:43], s[42:43]
	s_cbranch_execz .LBB12_2534
; %bb.2533:                             ;   in Loop: Header=BB12_2487 Depth=3
	buffer_load_dword v21, off, s[0:3], s33 offset:128 ; 4-byte Folded Reload
	buffer_load_dword v22, off, s[0:3], s33 offset:132 ; 4-byte Folded Reload
	v_or_b32_e32 v15, 0x10000, v16
	s_waitcnt vmcnt(1)
	v_cmp_eq_u32_sdwa vcc, v16, v21 src0_sel:WORD_0 src1_sel:DWORD
	v_cndmask_b32_e32 v15, v15, v16, vcc
.LBB12_2534:                            ;   in Loop: Header=BB12_2487 Depth=3
	s_or_b64 exec, exec, s[42:43]
	s_waitcnt vmcnt(5)
	v_lshlrev_b32_e32 v16, 16, v19
	s_waitcnt vmcnt(3)
	v_lshlrev_b32_e32 v21, 16, v20
	v_max_f32_e32 v21, v21, v21
	v_max_f32_e32 v16, v16, v16
	s_waitcnt vmcnt(0)
	v_min_f32_e32 v22, v16, v21
	v_max_f32_e32 v16, v16, v21
	v_cndmask_b32_e64 v21, v16, v22, s[40:41]
	v_and_b32_e32 v16, 0x7f800000, v21
	v_cmp_ne_u32_e32 vcc, s56, v16
                                        ; implicit-def: $vgpr16
	s_and_saveexec_b64 s[42:43], vcc
	s_xor_b64 s[42:43], exec, s[42:43]
; %bb.2535:                             ;   in Loop: Header=BB12_2487 Depth=3
	v_bfe_u32 v16, v21, 16, 1
	v_add3_u32 v16, v21, v16, s57
                                        ; implicit-def: $vgpr21
; %bb.2536:                             ;   in Loop: Header=BB12_2487 Depth=3
	s_andn2_saveexec_b64 s[42:43], s[42:43]
	s_cbranch_execz .LBB12_2538
; %bb.2537:                             ;   in Loop: Header=BB12_2487 Depth=3
	buffer_load_dword v22, off, s[0:3], s33 offset:128 ; 4-byte Folded Reload
	buffer_load_dword v23, off, s[0:3], s33 offset:132 ; 4-byte Folded Reload
	v_or_b32_e32 v16, 0x10000, v21
	s_waitcnt vmcnt(1)
	v_cmp_eq_u32_sdwa vcc, v21, v22 src0_sel:WORD_0 src1_sel:DWORD
	v_cndmask_b32_e32 v16, v16, v21, vcc
.LBB12_2538:                            ;   in Loop: Header=BB12_2487 Depth=3
	s_or_b64 exec, exec, s[42:43]
	v_and_b32_e32 v19, 0xffff0000, v19
	v_and_b32_e32 v20, 0xffff0000, v20
	v_max_f32_e32 v20, v20, v20
	v_max_f32_e32 v19, v19, v19
	v_min_f32_e32 v21, v19, v20
	v_max_f32_e32 v19, v19, v20
	v_cndmask_b32_e64 v20, v19, v21, s[40:41]
	v_and_b32_e32 v19, 0x7f800000, v20
	v_cmp_ne_u32_e32 vcc, s56, v19
                                        ; implicit-def: $vgpr19
	s_and_saveexec_b64 s[42:43], vcc
	s_xor_b64 s[42:43], exec, s[42:43]
; %bb.2539:                             ;   in Loop: Header=BB12_2487 Depth=3
	v_bfe_u32 v19, v20, 16, 1
	v_add3_u32 v19, v20, v19, s57
                                        ; implicit-def: $vgpr20
; %bb.2540:                             ;   in Loop: Header=BB12_2487 Depth=3
	s_andn2_saveexec_b64 s[42:43], s[42:43]
	s_cbranch_execz .LBB12_2542
; %bb.2541:                             ;   in Loop: Header=BB12_2487 Depth=3
	buffer_load_dword v21, off, s[0:3], s33 offset:128 ; 4-byte Folded Reload
	buffer_load_dword v22, off, s[0:3], s33 offset:132 ; 4-byte Folded Reload
	v_or_b32_e32 v19, 0x10000, v20
	s_waitcnt vmcnt(1)
	v_cmp_eq_u32_sdwa vcc, v20, v21 src0_sel:WORD_0 src1_sel:DWORD
	v_cndmask_b32_e32 v19, v19, v20, vcc
.LBB12_2542:                            ;   in Loop: Header=BB12_2487 Depth=3
	s_or_b64 exec, exec, s[42:43]
	v_lshlrev_b32_e32 v20, 16, v17
	v_lshlrev_b32_e32 v21, 16, v18
	v_max_f32_e32 v21, v21, v21
	v_max_f32_e32 v20, v20, v20
	s_waitcnt vmcnt(0)
	v_min_f32_e32 v22, v20, v21
	v_max_f32_e32 v20, v20, v21
	v_cndmask_b32_e64 v21, v20, v22, s[40:41]
	v_and_b32_e32 v20, 0x7f800000, v21
	v_cmp_ne_u32_e32 vcc, s56, v20
                                        ; implicit-def: $vgpr20
	s_and_saveexec_b64 s[42:43], vcc
	s_xor_b64 s[42:43], exec, s[42:43]
; %bb.2543:                             ;   in Loop: Header=BB12_2487 Depth=3
	v_bfe_u32 v20, v21, 16, 1
	v_add3_u32 v20, v21, v20, s57
                                        ; implicit-def: $vgpr21
; %bb.2544:                             ;   in Loop: Header=BB12_2487 Depth=3
	s_andn2_saveexec_b64 s[42:43], s[42:43]
	s_cbranch_execz .LBB12_2546
; %bb.2545:                             ;   in Loop: Header=BB12_2487 Depth=3
	buffer_load_dword v22, off, s[0:3], s33 offset:128 ; 4-byte Folded Reload
	buffer_load_dword v23, off, s[0:3], s33 offset:132 ; 4-byte Folded Reload
	v_or_b32_e32 v20, 0x10000, v21
	s_waitcnt vmcnt(1)
	v_cmp_eq_u32_sdwa vcc, v21, v22 src0_sel:WORD_0 src1_sel:DWORD
	v_cndmask_b32_e32 v20, v20, v21, vcc
.LBB12_2546:                            ;   in Loop: Header=BB12_2487 Depth=3
	s_or_b64 exec, exec, s[42:43]
	v_and_b32_e32 v17, 0xffff0000, v17
	v_and_b32_e32 v18, 0xffff0000, v18
	v_max_f32_e32 v18, v18, v18
	v_max_f32_e32 v17, v17, v17
	v_min_f32_e32 v21, v17, v18
	v_max_f32_e32 v17, v17, v18
	v_cndmask_b32_e64 v18, v17, v21, s[40:41]
	v_and_b32_e32 v17, 0x7f800000, v18
	v_cmp_ne_u32_e32 vcc, s56, v17
                                        ; implicit-def: $vgpr17
	s_and_saveexec_b64 s[42:43], vcc
	s_xor_b64 s[42:43], exec, s[42:43]
; %bb.2547:                             ;   in Loop: Header=BB12_2487 Depth=3
	v_bfe_u32 v17, v18, 16, 1
	v_add3_u32 v17, v18, v17, s57
                                        ; implicit-def: $vgpr18
; %bb.2548:                             ;   in Loop: Header=BB12_2487 Depth=3
	s_andn2_saveexec_b64 s[42:43], s[42:43]
	s_cbranch_execz .LBB12_2550
; %bb.2549:                             ;   in Loop: Header=BB12_2487 Depth=3
	buffer_load_dword v21, off, s[0:3], s33 offset:128 ; 4-byte Folded Reload
	buffer_load_dword v22, off, s[0:3], s33 offset:132 ; 4-byte Folded Reload
	v_or_b32_e32 v17, 0x10000, v18
	s_waitcnt vmcnt(1)
	v_cmp_eq_u32_sdwa vcc, v18, v21 src0_sel:WORD_0 src1_sel:DWORD
	v_cndmask_b32_e32 v17, v17, v18, vcc
.LBB12_2550:                            ;   in Loop: Header=BB12_2487 Depth=3
	s_or_b64 exec, exec, s[42:43]
	v_lshlrev_b32_e32 v18, 16, v14
	v_lshlrev_b32_e32 v21, 16, v13
	v_max_f32_e32 v21, v21, v21
	v_max_f32_e32 v18, v18, v18
	s_waitcnt vmcnt(0)
	v_min_f32_e32 v22, v18, v21
	v_max_f32_e32 v18, v18, v21
	v_cndmask_b32_e64 v21, v18, v22, s[40:41]
	v_and_b32_e32 v18, 0x7f800000, v21
	v_cmp_ne_u32_e32 vcc, s56, v18
                                        ; implicit-def: $vgpr18
	s_and_saveexec_b64 s[42:43], vcc
	s_xor_b64 s[42:43], exec, s[42:43]
; %bb.2551:                             ;   in Loop: Header=BB12_2487 Depth=3
	v_bfe_u32 v18, v21, 16, 1
	v_add3_u32 v18, v21, v18, s57
                                        ; implicit-def: $vgpr21
; %bb.2552:                             ;   in Loop: Header=BB12_2487 Depth=3
	s_andn2_saveexec_b64 s[42:43], s[42:43]
	s_cbranch_execz .LBB12_2554
; %bb.2553:                             ;   in Loop: Header=BB12_2487 Depth=3
	buffer_load_dword v22, off, s[0:3], s33 offset:128 ; 4-byte Folded Reload
	buffer_load_dword v23, off, s[0:3], s33 offset:132 ; 4-byte Folded Reload
	v_or_b32_e32 v18, 0x10000, v21
	s_waitcnt vmcnt(1)
	v_cmp_eq_u32_sdwa vcc, v21, v22 src0_sel:WORD_0 src1_sel:DWORD
	v_cndmask_b32_e32 v18, v18, v21, vcc
.LBB12_2554:                            ;   in Loop: Header=BB12_2487 Depth=3
	s_or_b64 exec, exec, s[42:43]
	v_and_b32_e32 v14, 0xffff0000, v14
	v_and_b32_e32 v13, 0xffff0000, v13
	v_max_f32_e32 v13, v13, v13
	v_max_f32_e32 v14, v14, v14
	v_min_f32_e32 v21, v14, v13
	v_max_f32_e32 v13, v14, v13
	v_cndmask_b32_e64 v14, v13, v21, s[40:41]
	v_and_b32_e32 v13, 0x7f800000, v14
	v_cmp_ne_u32_e32 vcc, s56, v13
                                        ; implicit-def: $vgpr13
	s_and_saveexec_b64 s[42:43], vcc
	s_xor_b64 s[42:43], exec, s[42:43]
; %bb.2555:                             ;   in Loop: Header=BB12_2487 Depth=3
	v_bfe_u32 v13, v14, 16, 1
	v_add3_u32 v13, v14, v13, s57
                                        ; implicit-def: $vgpr14
; %bb.2556:                             ;   in Loop: Header=BB12_2487 Depth=3
	s_andn2_saveexec_b64 s[42:43], s[42:43]
	s_cbranch_execz .LBB12_2558
; %bb.2557:                             ;   in Loop: Header=BB12_2487 Depth=3
	buffer_load_dword v21, off, s[0:3], s33 offset:128 ; 4-byte Folded Reload
	buffer_load_dword v22, off, s[0:3], s33 offset:132 ; 4-byte Folded Reload
	v_or_b32_e32 v13, 0x10000, v14
	s_waitcnt vmcnt(1)
	v_cmp_eq_u32_sdwa vcc, v14, v21 src0_sel:WORD_0 src1_sel:DWORD
	v_cndmask_b32_e32 v13, v13, v14, vcc
.LBB12_2558:                            ;   in Loop: Header=BB12_2487 Depth=3
	s_or_b64 exec, exec, s[42:43]
	buffer_load_dword v14, off, s[0:3], s33 offset:152 ; 4-byte Folded Reload
	v_lshrrev_b32_e32 v12, 16, v12
	v_and_or_b32 v15, v15, s46, v12
	v_lshrrev_b32_e32 v12, 16, v20
	v_and_or_b32 v17, v17, s46, v12
	;; [unrolled: 2-line block ×3, first 2 shown]
	s_waitcnt vmcnt(0)
	v_sub_u32_e32 v8, v8, v14
	v_lshrrev_b32_e32 v14, 16, v16
	v_and_or_b32 v16, v19, s46, v14
	buffer_store_dword v16, off, s[0:3], s33 offset:68
	buffer_store_dword v15, off, s[0:3], s33 offset:64
	;; [unrolled: 1-line block ×4, first 2 shown]
	global_store_dwordx4 v[0:1], v[15:18], off glc slc
	v_add_co_u32_e32 v0, vcc, 0x400, v0
	v_addc_co_u32_e32 v1, vcc, 0, v1, vcc
	s_and_saveexec_b64 s[42:43], s[36:37]
	s_cbranch_execz .LBB12_2486
; %bb.2559:                             ;   in Loop: Header=BB12_2487 Depth=3
	buffer_load_dword v12, off, s[0:3], s33 offset:340 ; 4-byte Folded Reload
	v_add_co_u32_e32 v7, vcc, v7, v46
	v_sub_u32_e32 v6, v6, v44
	s_waitcnt vmcnt(0)
	v_addc_co_u32_e32 v9, vcc, v9, v12, vcc
	v_add_co_u32_e32 v10, vcc, v10, v46
	v_addc_co_u32_e32 v11, vcc, v11, v12, vcc
	v_add_co_u32_e32 v0, vcc, v0, v46
	v_addc_co_u32_e32 v1, vcc, v1, v12, vcc
	buffer_load_dword v12, off, s[0:3], s33 offset:152 ; 4-byte Folded Reload
	s_waitcnt vmcnt(0)
	v_sub_u32_e32 v8, v8, v12
	s_branch .LBB12_2486
.LBB12_2560:                            ;   in Loop: Header=BB12_1245 Depth=2
	s_or_b64 exec, exec, s[30:31]
	s_and_b64 s[40:41], s[34:35], exec
.LBB12_2561:                            ;   in Loop: Header=BB12_1245 Depth=2
	s_or_b64 exec, exec, s[94:95]
	s_and_saveexec_b64 s[42:43], s[40:41]
	s_cbranch_execz .LBB12_2595
; %bb.2562:                             ;   in Loop: Header=BB12_1245 Depth=2
	buffer_load_dword v10, off, s[0:3], s33 offset:96
	buffer_load_dword v11, off, s[0:3], s33 offset:112
	;; [unrolled: 1-line block ×8, first 2 shown]
	s_and_b32 s40, 0xffff, s9
	s_cmp_eq_u32 s40, 0
	s_cselect_b64 vcc, -1, 0
	s_waitcnt vmcnt(0)
	v_lshlrev_b32_e32 v6, 16, v10
	v_lshlrev_b32_e32 v16, 16, v11
	v_max_f32_e32 v16, v16, v16
	v_max_f32_e32 v6, v6, v6
	v_min_f32_e32 v17, v6, v16
	v_max_f32_e32 v6, v6, v16
	v_cndmask_b32_e32 v16, v6, v17, vcc
	v_and_b32_e32 v6, 0x7f800000, v16
	v_cmp_ne_u32_e64 s[40:41], s56, v6
                                        ; implicit-def: $vgpr6
	s_and_saveexec_b64 s[94:95], s[40:41]
	s_xor_b64 s[40:41], exec, s[94:95]
; %bb.2563:                             ;   in Loop: Header=BB12_1245 Depth=2
	v_bfe_u32 v6, v16, 16, 1
	v_add3_u32 v6, v16, v6, s57
                                        ; implicit-def: $vgpr16
; %bb.2564:                             ;   in Loop: Header=BB12_1245 Depth=2
	s_andn2_saveexec_b64 s[94:95], s[40:41]
	s_cbranch_execz .LBB12_2566
; %bb.2565:                             ;   in Loop: Header=BB12_1245 Depth=2
	buffer_load_dword v17, off, s[0:3], s33 offset:128 ; 4-byte Folded Reload
	buffer_load_dword v18, off, s[0:3], s33 offset:132 ; 4-byte Folded Reload
	v_or_b32_e32 v6, 0x10000, v16
	s_waitcnt vmcnt(0)
	v_cmp_eq_u32_sdwa s[40:41], v16, v17 src0_sel:WORD_0 src1_sel:DWORD
	v_cndmask_b32_e64 v6, v6, v16, s[40:41]
.LBB12_2566:                            ;   in Loop: Header=BB12_1245 Depth=2
	s_or_b64 exec, exec, s[94:95]
	v_and_b32_e32 v10, 0xffff0000, v10
	v_and_b32_e32 v11, 0xffff0000, v11
	v_max_f32_e32 v11, v11, v11
	v_max_f32_e32 v10, v10, v10
	v_min_f32_e32 v16, v10, v11
	v_max_f32_e32 v10, v10, v11
	v_cndmask_b32_e32 v11, v10, v16, vcc
	v_and_b32_e32 v10, 0x7f800000, v11
	v_cmp_ne_u32_e64 s[40:41], s56, v10
                                        ; implicit-def: $vgpr10
	s_and_saveexec_b64 s[94:95], s[40:41]
	s_xor_b64 s[40:41], exec, s[94:95]
; %bb.2567:                             ;   in Loop: Header=BB12_1245 Depth=2
	v_bfe_u32 v10, v11, 16, 1
	v_add3_u32 v10, v11, v10, s57
                                        ; implicit-def: $vgpr11
; %bb.2568:                             ;   in Loop: Header=BB12_1245 Depth=2
	s_andn2_saveexec_b64 s[94:95], s[40:41]
	s_cbranch_execz .LBB12_2570
; %bb.2569:                             ;   in Loop: Header=BB12_1245 Depth=2
	buffer_load_dword v16, off, s[0:3], s33 offset:128 ; 4-byte Folded Reload
	buffer_load_dword v17, off, s[0:3], s33 offset:132 ; 4-byte Folded Reload
	v_or_b32_e32 v10, 0x10000, v11
	s_waitcnt vmcnt(0)
	v_cmp_eq_u32_sdwa s[40:41], v11, v16 src0_sel:WORD_0 src1_sel:DWORD
	v_cndmask_b32_e64 v10, v10, v11, s[40:41]
.LBB12_2570:                            ;   in Loop: Header=BB12_1245 Depth=2
	s_or_b64 exec, exec, s[94:95]
	v_lshlrev_b32_e32 v11, 16, v14
	v_lshlrev_b32_e32 v16, 16, v15
	v_max_f32_e32 v16, v16, v16
	v_max_f32_e32 v11, v11, v11
	v_min_f32_e32 v17, v11, v16
	v_max_f32_e32 v11, v11, v16
	v_cndmask_b32_e32 v16, v11, v17, vcc
	v_and_b32_e32 v11, 0x7f800000, v16
	v_cmp_ne_u32_e64 s[40:41], s56, v11
                                        ; implicit-def: $vgpr11
	s_and_saveexec_b64 s[94:95], s[40:41]
	s_xor_b64 s[40:41], exec, s[94:95]
; %bb.2571:                             ;   in Loop: Header=BB12_1245 Depth=2
	v_bfe_u32 v11, v16, 16, 1
	v_add3_u32 v11, v16, v11, s57
                                        ; implicit-def: $vgpr16
; %bb.2572:                             ;   in Loop: Header=BB12_1245 Depth=2
	s_andn2_saveexec_b64 s[94:95], s[40:41]
	s_cbranch_execz .LBB12_2574
; %bb.2573:                             ;   in Loop: Header=BB12_1245 Depth=2
	buffer_load_dword v17, off, s[0:3], s33 offset:128 ; 4-byte Folded Reload
	buffer_load_dword v18, off, s[0:3], s33 offset:132 ; 4-byte Folded Reload
	v_or_b32_e32 v11, 0x10000, v16
	s_waitcnt vmcnt(0)
	v_cmp_eq_u32_sdwa s[40:41], v16, v17 src0_sel:WORD_0 src1_sel:DWORD
	v_cndmask_b32_e64 v11, v11, v16, s[40:41]
.LBB12_2574:                            ;   in Loop: Header=BB12_1245 Depth=2
	s_or_b64 exec, exec, s[94:95]
	v_and_b32_e32 v14, 0xffff0000, v14
	v_and_b32_e32 v15, 0xffff0000, v15
	v_max_f32_e32 v15, v15, v15
	v_max_f32_e32 v14, v14, v14
	v_min_f32_e32 v16, v14, v15
	v_max_f32_e32 v14, v14, v15
	v_cndmask_b32_e32 v15, v14, v16, vcc
	v_and_b32_e32 v14, 0x7f800000, v15
	v_cmp_ne_u32_e64 s[40:41], s56, v14
                                        ; implicit-def: $vgpr14
	s_and_saveexec_b64 s[94:95], s[40:41]
	s_xor_b64 s[40:41], exec, s[94:95]
; %bb.2575:                             ;   in Loop: Header=BB12_1245 Depth=2
	v_bfe_u32 v14, v15, 16, 1
	v_add3_u32 v14, v15, v14, s57
                                        ; implicit-def: $vgpr15
; %bb.2576:                             ;   in Loop: Header=BB12_1245 Depth=2
	s_andn2_saveexec_b64 s[94:95], s[40:41]
	s_cbranch_execz .LBB12_2578
; %bb.2577:                             ;   in Loop: Header=BB12_1245 Depth=2
	buffer_load_dword v16, off, s[0:3], s33 offset:128 ; 4-byte Folded Reload
	buffer_load_dword v17, off, s[0:3], s33 offset:132 ; 4-byte Folded Reload
	v_or_b32_e32 v14, 0x10000, v15
	s_waitcnt vmcnt(0)
	v_cmp_eq_u32_sdwa s[40:41], v15, v16 src0_sel:WORD_0 src1_sel:DWORD
	v_cndmask_b32_e64 v14, v14, v15, s[40:41]
.LBB12_2578:                            ;   in Loop: Header=BB12_1245 Depth=2
	s_or_b64 exec, exec, s[94:95]
	v_lshlrev_b32_e32 v15, 16, v12
	v_lshlrev_b32_e32 v16, 16, v13
	v_max_f32_e32 v16, v16, v16
	v_max_f32_e32 v15, v15, v15
	v_min_f32_e32 v17, v15, v16
	v_max_f32_e32 v15, v15, v16
	v_cndmask_b32_e32 v16, v15, v17, vcc
	v_and_b32_e32 v15, 0x7f800000, v16
	v_cmp_ne_u32_e64 s[40:41], s56, v15
                                        ; implicit-def: $vgpr15
	s_and_saveexec_b64 s[94:95], s[40:41]
	s_xor_b64 s[40:41], exec, s[94:95]
; %bb.2579:                             ;   in Loop: Header=BB12_1245 Depth=2
	v_bfe_u32 v15, v16, 16, 1
	v_add3_u32 v15, v16, v15, s57
                                        ; implicit-def: $vgpr16
; %bb.2580:                             ;   in Loop: Header=BB12_1245 Depth=2
	s_andn2_saveexec_b64 s[94:95], s[40:41]
	s_cbranch_execz .LBB12_2582
; %bb.2581:                             ;   in Loop: Header=BB12_1245 Depth=2
	buffer_load_dword v17, off, s[0:3], s33 offset:128 ; 4-byte Folded Reload
	buffer_load_dword v18, off, s[0:3], s33 offset:132 ; 4-byte Folded Reload
	v_or_b32_e32 v15, 0x10000, v16
	s_waitcnt vmcnt(0)
	v_cmp_eq_u32_sdwa s[40:41], v16, v17 src0_sel:WORD_0 src1_sel:DWORD
	v_cndmask_b32_e64 v15, v15, v16, s[40:41]
.LBB12_2582:                            ;   in Loop: Header=BB12_1245 Depth=2
	s_or_b64 exec, exec, s[94:95]
	v_and_b32_e32 v12, 0xffff0000, v12
	v_and_b32_e32 v13, 0xffff0000, v13
	v_max_f32_e32 v13, v13, v13
	v_max_f32_e32 v12, v12, v12
	v_min_f32_e32 v16, v12, v13
	v_max_f32_e32 v12, v12, v13
	v_cndmask_b32_e32 v13, v12, v16, vcc
	v_and_b32_e32 v12, 0x7f800000, v13
	v_cmp_ne_u32_e64 s[40:41], s56, v12
                                        ; implicit-def: $vgpr12
	s_and_saveexec_b64 s[94:95], s[40:41]
	s_xor_b64 s[40:41], exec, s[94:95]
; %bb.2583:                             ;   in Loop: Header=BB12_1245 Depth=2
	v_bfe_u32 v12, v13, 16, 1
	v_add3_u32 v12, v13, v12, s57
                                        ; implicit-def: $vgpr13
; %bb.2584:                             ;   in Loop: Header=BB12_1245 Depth=2
	s_andn2_saveexec_b64 s[94:95], s[40:41]
	s_cbranch_execz .LBB12_2586
; %bb.2585:                             ;   in Loop: Header=BB12_1245 Depth=2
	buffer_load_dword v16, off, s[0:3], s33 offset:128 ; 4-byte Folded Reload
	buffer_load_dword v17, off, s[0:3], s33 offset:132 ; 4-byte Folded Reload
	v_or_b32_e32 v12, 0x10000, v13
	s_waitcnt vmcnt(0)
	v_cmp_eq_u32_sdwa s[40:41], v13, v16 src0_sel:WORD_0 src1_sel:DWORD
	v_cndmask_b32_e64 v12, v12, v13, s[40:41]
.LBB12_2586:                            ;   in Loop: Header=BB12_1245 Depth=2
	s_or_b64 exec, exec, s[94:95]
	v_lshlrev_b32_e32 v13, 16, v9
	v_lshlrev_b32_e32 v16, 16, v7
	v_max_f32_e32 v16, v16, v16
	v_max_f32_e32 v13, v13, v13
	v_min_f32_e32 v17, v13, v16
	v_max_f32_e32 v13, v13, v16
	v_cndmask_b32_e32 v16, v13, v17, vcc
	v_and_b32_e32 v13, 0x7f800000, v16
	v_cmp_ne_u32_e64 s[40:41], s56, v13
                                        ; implicit-def: $vgpr13
	s_and_saveexec_b64 s[94:95], s[40:41]
	s_xor_b64 s[40:41], exec, s[94:95]
; %bb.2587:                             ;   in Loop: Header=BB12_1245 Depth=2
	v_bfe_u32 v13, v16, 16, 1
	v_add3_u32 v13, v16, v13, s57
                                        ; implicit-def: $vgpr16
; %bb.2588:                             ;   in Loop: Header=BB12_1245 Depth=2
	s_andn2_saveexec_b64 s[94:95], s[40:41]
	s_cbranch_execz .LBB12_2590
; %bb.2589:                             ;   in Loop: Header=BB12_1245 Depth=2
	buffer_load_dword v17, off, s[0:3], s33 offset:128 ; 4-byte Folded Reload
	buffer_load_dword v18, off, s[0:3], s33 offset:132 ; 4-byte Folded Reload
	v_or_b32_e32 v13, 0x10000, v16
	s_waitcnt vmcnt(0)
	v_cmp_eq_u32_sdwa s[40:41], v16, v17 src0_sel:WORD_0 src1_sel:DWORD
	v_cndmask_b32_e64 v13, v13, v16, s[40:41]
.LBB12_2590:                            ;   in Loop: Header=BB12_1245 Depth=2
	s_or_b64 exec, exec, s[94:95]
	v_and_b32_e32 v9, 0xffff0000, v9
	v_and_b32_e32 v7, 0xffff0000, v7
	v_max_f32_e32 v7, v7, v7
	v_max_f32_e32 v9, v9, v9
	v_min_f32_e32 v16, v9, v7
	v_max_f32_e32 v7, v9, v7
	v_cndmask_b32_e32 v9, v7, v16, vcc
	v_and_b32_e32 v7, 0x7f800000, v9
	v_cmp_ne_u32_e32 vcc, s56, v7
                                        ; implicit-def: $vgpr7
	s_and_saveexec_b64 s[40:41], vcc
	s_xor_b64 s[40:41], exec, s[40:41]
; %bb.2591:                             ;   in Loop: Header=BB12_1245 Depth=2
	v_bfe_u32 v7, v9, 16, 1
	v_add3_u32 v7, v9, v7, s57
                                        ; implicit-def: $vgpr9
; %bb.2592:                             ;   in Loop: Header=BB12_1245 Depth=2
	s_andn2_saveexec_b64 s[40:41], s[40:41]
	s_cbranch_execz .LBB12_2594
; %bb.2593:                             ;   in Loop: Header=BB12_1245 Depth=2
	buffer_load_dword v16, off, s[0:3], s33 offset:128 ; 4-byte Folded Reload
	buffer_load_dword v17, off, s[0:3], s33 offset:132 ; 4-byte Folded Reload
	v_or_b32_e32 v7, 0x10000, v9
	s_waitcnt vmcnt(0)
	v_cmp_eq_u32_sdwa vcc, v9, v16 src0_sel:WORD_0 src1_sel:DWORD
	v_cndmask_b32_e32 v7, v7, v9, vcc
.LBB12_2594:                            ;   in Loop: Header=BB12_1245 Depth=2
	s_or_b64 exec, exec, s[40:41]
	v_lshrrev_b32_e32 v6, 16, v6
	v_and_or_b32 v10, v10, s46, v6
	v_lshrrev_b32_e32 v6, 16, v15
	v_lshrrev_b32_e32 v9, 16, v11
	v_and_or_b32 v12, v12, s46, v6
	v_lshrrev_b32_e32 v6, 16, v13
	v_and_or_b32 v11, v14, s46, v9
	v_and_or_b32 v13, v7, s46, v6
	global_store_dwordx4 v[0:1], v[10:13], off glc slc
.LBB12_2595:                            ;   in Loop: Header=BB12_1245 Depth=2
	s_or_b64 exec, exec, s[42:43]
	v_and_b32_e32 v1, 14, v50
	v_cndmask_b32_e64 v50, v5, v1, s[28:29]
	v_cmp_ne_u32_e32 vcc, 0, v50
	s_mov_b64 s[42:43], s[44:45]
                                        ; implicit-def: $vgpr6
                                        ; implicit-def: $vgpr0
                                        ; implicit-def: $vgpr7
	s_and_saveexec_b64 s[40:41], vcc
	s_cbranch_execz .LBB12_2597
; %bb.2596:                             ;   in Loop: Header=BB12_1245 Depth=2
	v_sub_u32_e32 v0, v5, v1
	v_cndmask_b32_e64 v0, 0, v0, s[28:29]
	v_add3_u32 v6, v4, v2, v0
	buffer_load_dword v0, off, s[0:3], s33 offset:152 ; 4-byte Folded Reload
	v_cmp_lt_i32_e32 vcc, 0, v8
	s_or_b64 s[42:43], s[44:45], exec
	s_waitcnt vmcnt(0)
	v_cndmask_b32_e32 v0, 0, v0, vcc
	v_sub_u32_e32 v0, v0, v8
	v_lshl_add_u32 v0, v0, 6, v3
	v_ashrrev_i32_e32 v1, 31, v0
	v_lshrrev_b32_e32 v1, 26, v1
	v_add_u32_e32 v1, v0, v1
	v_and_b32_e32 v1, 0xffffffc0, v1
	v_sub_u32_e32 v7, v0, v1
.LBB12_2597:                            ;   in Loop: Header=BB12_1245 Depth=2
	s_or_b64 exec, exec, s[40:41]
	s_andn2_b64 s[28:29], s[44:45], exec
	s_and_b64 s[40:41], s[42:43], exec
	s_or_b64 s[44:45], s[28:29], s[40:41]
.LBB12_2598:                            ;   in Loop: Header=BB12_1245 Depth=2
	s_or_b64 exec, exec, s[92:93]
	s_and_saveexec_b64 s[42:43], s[44:45]
	s_cbranch_execz .LBB12_2826
.LBB12_2599:                            ;   in Loop: Header=BB12_1245 Depth=2
	buffer_store_dword v51, off, s[0:3], s33 offset:516 ; 4-byte Folded Spill
	s_nop 0
	buffer_store_dword v52, off, s[0:3], s33 offset:520 ; 4-byte Folded Spill
	buffer_store_dword v49, off, s[0:3], s33 offset:508 ; 4-byte Folded Spill
	s_nop 0
	buffer_store_dword v50, off, s[0:3], s33 offset:512 ; 4-byte Folded Spill
	s_waitcnt vmcnt(0)
	v_ashrrev_i32_e32 v1, 31, v0
	v_lshrrev_b32_e32 v1, 26, v1
	v_add_u32_e32 v0, v0, v1
	v_ashrrev_i32_e32 v0, 6, v0
	v_lshlrev_b32_e32 v1, 11, v0
	v_lshlrev_b32_e32 v2, 1, v7
	v_add3_u32 v20, v6, v2, v1
	buffer_store_dword v7, off, s[0:3], s33 offset:384 ; 4-byte Folded Spill
	buffer_store_dword v6, off, s[0:3], s33 offset:380 ; 4-byte Folded Spill
	v_ashrrev_i32_e32 v21, 31, v20
	v_mov_b32_e32 v8, 0
	s_mov_b64 s[28:29], 0
	v_mov_b32_e32 v12, 0
	v_mov_b32_e32 v15, 0
	;; [unrolled: 1-line block ×28, first 2 shown]
	v_ashrrev_i32_e32 v1, 31, v50
	v_lshrrev_b32_e32 v1, 21, v1
	v_add_u32_e32 v1, v50, v1
	v_ashrrev_i32_e32 v1, 11, v1
	buffer_store_dword v50, off, s[0:3], s33 offset:544 ; 4-byte Folded Spill
	buffer_store_dword v1, off, s[0:3], s33 offset:388 ; 4-byte Folded Spill
	v_sub_u32_e32 v9, v1, v0
	v_add_co_u32_e32 v0, vcc, v52, v20
	buffer_store_dword v52, off, s[0:3], s33 offset:536 ; 4-byte Folded Spill
	s_nop 0
	buffer_store_dword v53, off, s[0:3], s33 offset:540 ; 4-byte Folded Spill
	v_mov_b32_e32 v52, 0
	v_mov_b32_e32 v50, 0
	v_addc_co_u32_e32 v1, vcc, v53, v21, vcc
	v_cmp_lt_i32_e32 vcc, 0, v9
	v_mov_b32_e32 v53, 0
	s_and_saveexec_b64 s[40:41], vcc
	s_cbranch_execz .LBB12_2735
; %bb.2600:                             ;   in Loop: Header=BB12_1245 Depth=2
	buffer_store_dword v54, off, s[0:3], s33 offset:572 ; 4-byte Folded Spill
	s_trap 2
	ds_read_b64 v[4:5], v0
	buffer_load_dword v2, off, s[0:3], s33 offset:500 ; 4-byte Folded Reload
	buffer_load_dword v3, off, s[0:3], s33 offset:504 ; 4-byte Folded Reload
                                        ; implicit-def: $vgpr6
                                        ; kill: killed $vgpr6
                                        ; implicit-def: $vgpr6
                                        ; kill: killed $vgpr6
	;; [unrolled: 2-line block ×8, first 2 shown]
                                        ; implicit-def: $vgpr6
	s_and_b32 s28, s9, 0xff
                                        ; kill: killed $vgpr6
                                        ; implicit-def: $vgpr6
	s_cmp_eq_u32 s28, 0
                                        ; kill: killed $vgpr6
                                        ; implicit-def: $vgpr6
	s_mov_b64 s[94:95], 0
	s_mov_b64 s[92:93], 0
	s_cselect_b64 s[28:29], -1, 0
                                        ; kill: killed $vgpr6
                                        ; implicit-def: $vgpr6
                                        ; implicit-def: $sgpr44_sgpr45
                                        ; implicit-def: $vgpr10
                                        ; implicit-def: $vgpr7
                                        ; implicit-def: $vgpr59
                                        ; implicit-def: $vgpr56
                                        ; implicit-def: $vgpr44
                                        ; implicit-def: $vgpr41
                                        ; implicit-def: $vgpr54
                                        ; implicit-def: $vgpr51
                                        ; implicit-def: $vgpr48
                                        ; implicit-def: $vgpr36
                                        ; implicit-def: $vgpr33
                                        ; implicit-def: $vgpr30
                                        ; implicit-def: $vgpr29
                                        ; implicit-def: $vgpr28
                                        ; implicit-def: $vgpr27
                                        ; implicit-def: $vgpr26
                                        ; kill: killed $vgpr6
                                        ; implicit-def: $vgpr6
                                        ; kill: killed $vgpr6
                                        ; implicit-def: $vgpr23
                                        ; implicit-def: $vgpr24
                                        ; implicit-def: $vgpr25
	s_waitcnt vmcnt(0)
	v_add_co_u32_e32 v2, vcc, v20, v2
	v_addc_co_u32_e32 v3, vcc, v21, v3, vcc
	s_waitcnt lgkmcnt(0)
	v_add_co_u32_e32 v4, vcc, v4, v20
	v_addc_co_u32_e32 v5, vcc, v5, v21, vcc
	s_branch .LBB12_2602
.LBB12_2601:                            ;   in Loop: Header=BB12_2602 Depth=3
	s_or_b64 exec, exec, s[30:31]
	flat_store_short_d16_hi v[0:1], v17 glc slc
	flat_store_short_d16_hi v[0:1], v15 offset:128 glc slc
	flat_store_short_d16_hi v[0:1], v13 offset:256 glc slc
	;; [unrolled: 1-line block ×15, first 2 shown]
	buffer_load_dword v11, off, s[0:3], s33 offset:272 ; 4-byte Folded Reload
	buffer_load_dword v12, off, s[0:3], s33 offset:276 ; 4-byte Folded Reload
	;; [unrolled: 1-line block ×4, first 2 shown]
	v_mov_b32_e32 v15, 0x800
	s_waitcnt vmcnt(0)
	v_add_co_u32_e32 v6, vcc, v2, v11
	v_cndmask_b32_e64 v2, v2, v6, s[94:95]
	buffer_load_dword v6, off, s[0:3], s33 offset:152 ; 4-byte Folded Reload
	v_addc_co_u32_e32 v8, vcc, v3, v12, vcc
	v_add_co_u32_e32 v11, vcc, v4, v11
	v_addc_co_u32_e32 v12, vcc, v5, v12, vcc
	v_cndmask_b32_e64 v14, v15, v14, s[94:95]
	v_cndmask_b32_e64 v13, 0, v13, s[94:95]
	v_add_co_u32_e32 v0, vcc, v0, v14
	v_addc_co_u32_e32 v1, vcc, v1, v13, vcc
	v_cndmask_b32_e64 v3, v3, v8, s[94:95]
	v_cndmask_b32_e64 v5, v5, v12, s[94:95]
	;; [unrolled: 1-line block ×3, first 2 shown]
	s_waitcnt vmcnt(0)
	v_cndmask_b32_e64 v6, 0, v6, s[94:95]
	v_sub_u32_e32 v9, v9, v6
	v_cmp_gt_i32_e32 vcc, 1, v9
	s_or_b64 s[92:93], vcc, s[92:93]
	s_andn2_b64 s[44:45], s[44:45], exec
	s_and_b64 vcc, s[94:95], exec
	s_or_b64 s[44:45], s[44:45], vcc
	s_andn2_b64 exec, exec, s[92:93]
	s_cbranch_execz .LBB12_2734
.LBB12_2602:                            ;   Parent Loop BB12_47 Depth=1
                                        ;     Parent Loop BB12_1245 Depth=2
                                        ; =>    This Inner Loop Header: Depth=3
	flat_load_ushort v17, v[2:3] glc slc
	flat_load_ushort v15, v[2:3] offset:128 glc slc
	flat_load_ushort v13, v[2:3] offset:256 glc slc
	;; [unrolled: 1-line block ×15, first 2 shown]
	flat_load_ushort v18, v[4:5] glc slc
	flat_load_ushort v16, v[4:5] offset:128 glc slc
	flat_load_ushort v14, v[4:5] offset:256 glc slc
	;; [unrolled: 1-line block ×15, first 2 shown]
	s_and_saveexec_b64 s[30:31], s[94:95]
	s_cbranch_execz .LBB12_2668
; %bb.2603:                             ;   in Loop: Header=BB12_2602 Depth=3
	buffer_load_dword v19, off, s[0:3], s33 offset:168 ; 4-byte Folded Reload
	v_lshlrev_b32_e32 v10, 16, v10
	v_max_f32_e32 v10, v10, v10
	s_waitcnt vmcnt(0)
	v_lshlrev_b32_e32 v19, 16, v19
	v_max_f32_e32 v19, v19, v19
	v_min_f32_e32 v20, v10, v19
	v_max_f32_e32 v10, v10, v19
	v_cndmask_b32_e64 v19, v10, v20, s[28:29]
	v_and_b32_e32 v10, 0x7f800000, v19
	v_cmp_ne_u32_e32 vcc, s56, v10
                                        ; implicit-def: $vgpr10
	s_and_saveexec_b64 s[94:95], vcc
	s_xor_b64 s[94:95], exec, s[94:95]
; %bb.2604:                             ;   in Loop: Header=BB12_2602 Depth=3
	v_bfe_u32 v10, v19, 16, 1
	v_add3_u32 v10, v19, v10, s57
                                        ; implicit-def: $vgpr19
; %bb.2605:                             ;   in Loop: Header=BB12_2602 Depth=3
	s_andn2_saveexec_b64 s[94:95], s[94:95]
	s_cbranch_execz .LBB12_2607
; %bb.2606:                             ;   in Loop: Header=BB12_2602 Depth=3
	buffer_load_dword v20, off, s[0:3], s33 offset:128 ; 4-byte Folded Reload
	buffer_load_dword v21, off, s[0:3], s33 offset:132 ; 4-byte Folded Reload
	v_or_b32_e32 v10, 0x10000, v19
	s_waitcnt vmcnt(0)
	v_cmp_eq_u32_sdwa vcc, v19, v20 src0_sel:WORD_0 src1_sel:DWORD
	v_cndmask_b32_e32 v10, v10, v19, vcc
.LBB12_2607:                            ;   in Loop: Header=BB12_2602 Depth=3
	s_or_b64 exec, exec, s[94:95]
	buffer_load_dword v19, off, s[0:3], s33 offset:184 ; 4-byte Folded Reload
	v_lshlrev_b32_e32 v7, 16, v7
	v_max_f32_e32 v7, v7, v7
	s_waitcnt vmcnt(0)
	v_lshlrev_b32_e32 v19, 16, v19
	v_max_f32_e32 v19, v19, v19
	v_min_f32_e32 v20, v7, v19
	v_max_f32_e32 v7, v7, v19
	v_cndmask_b32_e64 v19, v7, v20, s[28:29]
	v_and_b32_e32 v7, 0x7f800000, v19
	v_cmp_ne_u32_e32 vcc, s56, v7
                                        ; implicit-def: $vgpr7
	s_and_saveexec_b64 s[94:95], vcc
	s_xor_b64 s[94:95], exec, s[94:95]
; %bb.2608:                             ;   in Loop: Header=BB12_2602 Depth=3
	v_bfe_u32 v7, v19, 16, 1
	v_add3_u32 v7, v19, v7, s57
                                        ; implicit-def: $vgpr19
; %bb.2609:                             ;   in Loop: Header=BB12_2602 Depth=3
	s_andn2_saveexec_b64 s[94:95], s[94:95]
	s_cbranch_execz .LBB12_2611
; %bb.2610:                             ;   in Loop: Header=BB12_2602 Depth=3
	buffer_load_dword v20, off, s[0:3], s33 offset:128 ; 4-byte Folded Reload
	buffer_load_dword v21, off, s[0:3], s33 offset:132 ; 4-byte Folded Reload
	v_or_b32_e32 v7, 0x10000, v19
	s_waitcnt vmcnt(0)
	v_cmp_eq_u32_sdwa vcc, v19, v20 src0_sel:WORD_0 src1_sel:DWORD
	v_cndmask_b32_e32 v7, v7, v19, vcc
.LBB12_2611:                            ;   in Loop: Header=BB12_2602 Depth=3
	s_or_b64 exec, exec, s[94:95]
	buffer_load_dword v20, off, s[0:3], s33 offset:200 ; 4-byte Folded Reload
	v_lshlrev_b32_e32 v19, 16, v59
	v_max_f32_e32 v19, v19, v19
	s_waitcnt vmcnt(0)
	v_lshlrev_b32_e32 v20, 16, v20
	v_max_f32_e32 v20, v20, v20
	v_min_f32_e32 v59, v19, v20
	v_max_f32_e32 v19, v19, v20
	v_cndmask_b32_e64 v19, v19, v59, s[28:29]
	v_and_b32_e32 v20, 0x7f800000, v19
	v_cmp_ne_u32_e32 vcc, s56, v20
                                        ; implicit-def: $vgpr59
	s_and_saveexec_b64 s[94:95], vcc
	s_xor_b64 s[94:95], exec, s[94:95]
; %bb.2612:                             ;   in Loop: Header=BB12_2602 Depth=3
	v_bfe_u32 v20, v19, 16, 1
	v_add3_u32 v59, v19, v20, s57
                                        ; implicit-def: $vgpr19
; %bb.2613:                             ;   in Loop: Header=BB12_2602 Depth=3
	s_andn2_saveexec_b64 s[94:95], s[94:95]
	s_cbranch_execz .LBB12_2615
; %bb.2614:                             ;   in Loop: Header=BB12_2602 Depth=3
	buffer_load_dword v21, off, s[0:3], s33 offset:128 ; 4-byte Folded Reload
	buffer_load_dword v22, off, s[0:3], s33 offset:132 ; 4-byte Folded Reload
	v_or_b32_e32 v20, 0x10000, v19
	s_waitcnt vmcnt(0)
	v_cmp_eq_u32_sdwa vcc, v19, v21 src0_sel:WORD_0 src1_sel:DWORD
	v_cndmask_b32_e32 v59, v20, v19, vcc
.LBB12_2615:                            ;   in Loop: Header=BB12_2602 Depth=3
	s_or_b64 exec, exec, s[94:95]
	buffer_load_dword v20, off, s[0:3], s33 offset:216 ; 4-byte Folded Reload
	v_lshlrev_b32_e32 v19, 16, v56
	v_max_f32_e32 v19, v19, v19
	s_waitcnt vmcnt(0)
	v_lshlrev_b32_e32 v20, 16, v20
	v_max_f32_e32 v20, v20, v20
	v_min_f32_e32 v56, v19, v20
	v_max_f32_e32 v19, v19, v20
	v_cndmask_b32_e64 v19, v19, v56, s[28:29]
	v_and_b32_e32 v20, 0x7f800000, v19
	v_cmp_ne_u32_e32 vcc, s56, v20
                                        ; implicit-def: $vgpr56
	s_and_saveexec_b64 s[94:95], vcc
	s_xor_b64 s[94:95], exec, s[94:95]
; %bb.2616:                             ;   in Loop: Header=BB12_2602 Depth=3
	v_bfe_u32 v20, v19, 16, 1
	v_add3_u32 v56, v19, v20, s57
                                        ; implicit-def: $vgpr19
; %bb.2617:                             ;   in Loop: Header=BB12_2602 Depth=3
	s_andn2_saveexec_b64 s[94:95], s[94:95]
	s_cbranch_execz .LBB12_2619
; %bb.2618:                             ;   in Loop: Header=BB12_2602 Depth=3
	buffer_load_dword v21, off, s[0:3], s33 offset:128 ; 4-byte Folded Reload
	buffer_load_dword v22, off, s[0:3], s33 offset:132 ; 4-byte Folded Reload
	v_or_b32_e32 v20, 0x10000, v19
	s_waitcnt vmcnt(0)
	v_cmp_eq_u32_sdwa vcc, v19, v21 src0_sel:WORD_0 src1_sel:DWORD
	v_cndmask_b32_e32 v56, v20, v19, vcc
.LBB12_2619:                            ;   in Loop: Header=BB12_2602 Depth=3
	s_or_b64 exec, exec, s[94:95]
	buffer_load_dword v20, off, s[0:3], s33 offset:240 ; 4-byte Folded Reload
	v_lshlrev_b32_e32 v19, 16, v44
	v_max_f32_e32 v19, v19, v19
	s_waitcnt vmcnt(0)
	v_lshlrev_b32_e32 v20, 16, v20
	v_max_f32_e32 v20, v20, v20
	v_min_f32_e32 v44, v19, v20
	v_max_f32_e32 v19, v19, v20
	v_cndmask_b32_e64 v19, v19, v44, s[28:29]
	v_and_b32_e32 v20, 0x7f800000, v19
	v_cmp_ne_u32_e32 vcc, s56, v20
                                        ; implicit-def: $vgpr44
	s_and_saveexec_b64 s[94:95], vcc
	s_xor_b64 s[94:95], exec, s[94:95]
; %bb.2620:                             ;   in Loop: Header=BB12_2602 Depth=3
	v_bfe_u32 v20, v19, 16, 1
	v_add3_u32 v44, v19, v20, s57
                                        ; implicit-def: $vgpr19
; %bb.2621:                             ;   in Loop: Header=BB12_2602 Depth=3
	s_andn2_saveexec_b64 s[94:95], s[94:95]
	s_cbranch_execz .LBB12_2623
; %bb.2622:                             ;   in Loop: Header=BB12_2602 Depth=3
	buffer_load_dword v21, off, s[0:3], s33 offset:128 ; 4-byte Folded Reload
	buffer_load_dword v22, off, s[0:3], s33 offset:132 ; 4-byte Folded Reload
	v_or_b32_e32 v20, 0x10000, v19
	s_waitcnt vmcnt(0)
	v_cmp_eq_u32_sdwa vcc, v19, v21 src0_sel:WORD_0 src1_sel:DWORD
	v_cndmask_b32_e32 v44, v20, v19, vcc
.LBB12_2623:                            ;   in Loop: Header=BB12_2602 Depth=3
	s_or_b64 exec, exec, s[94:95]
	buffer_load_dword v20, off, s[0:3], s33 offset:284 ; 4-byte Folded Reload
	v_lshlrev_b32_e32 v19, 16, v41
	v_max_f32_e32 v19, v19, v19
	s_waitcnt vmcnt(0)
	v_lshlrev_b32_e32 v20, 16, v20
	v_max_f32_e32 v20, v20, v20
	v_min_f32_e32 v41, v19, v20
	v_max_f32_e32 v19, v19, v20
	v_cndmask_b32_e64 v19, v19, v41, s[28:29]
	v_and_b32_e32 v20, 0x7f800000, v19
	v_cmp_ne_u32_e32 vcc, s56, v20
                                        ; implicit-def: $vgpr41
	s_and_saveexec_b64 s[94:95], vcc
	s_xor_b64 s[94:95], exec, s[94:95]
; %bb.2624:                             ;   in Loop: Header=BB12_2602 Depth=3
	v_bfe_u32 v20, v19, 16, 1
	v_add3_u32 v41, v19, v20, s57
                                        ; implicit-def: $vgpr19
; %bb.2625:                             ;   in Loop: Header=BB12_2602 Depth=3
	s_andn2_saveexec_b64 s[94:95], s[94:95]
	s_cbranch_execz .LBB12_2627
; %bb.2626:                             ;   in Loop: Header=BB12_2602 Depth=3
	buffer_load_dword v21, off, s[0:3], s33 offset:128 ; 4-byte Folded Reload
	buffer_load_dword v22, off, s[0:3], s33 offset:132 ; 4-byte Folded Reload
	v_or_b32_e32 v20, 0x10000, v19
	s_waitcnt vmcnt(0)
	v_cmp_eq_u32_sdwa vcc, v19, v21 src0_sel:WORD_0 src1_sel:DWORD
	v_cndmask_b32_e32 v41, v20, v19, vcc
.LBB12_2627:                            ;   in Loop: Header=BB12_2602 Depth=3
	s_or_b64 exec, exec, s[94:95]
	buffer_load_dword v20, off, s[0:3], s33 offset:292 ; 4-byte Folded Reload
	v_lshlrev_b32_e32 v19, 16, v54
	v_max_f32_e32 v19, v19, v19
	s_waitcnt vmcnt(0)
	v_lshlrev_b32_e32 v20, 16, v20
	v_max_f32_e32 v20, v20, v20
	v_min_f32_e32 v54, v19, v20
	v_max_f32_e32 v19, v19, v20
	v_cndmask_b32_e64 v19, v19, v54, s[28:29]
	v_and_b32_e32 v20, 0x7f800000, v19
	v_cmp_ne_u32_e32 vcc, s56, v20
                                        ; implicit-def: $vgpr54
	s_and_saveexec_b64 s[94:95], vcc
	s_xor_b64 s[94:95], exec, s[94:95]
; %bb.2628:                             ;   in Loop: Header=BB12_2602 Depth=3
	v_bfe_u32 v20, v19, 16, 1
	v_add3_u32 v54, v19, v20, s57
                                        ; implicit-def: $vgpr19
; %bb.2629:                             ;   in Loop: Header=BB12_2602 Depth=3
	s_andn2_saveexec_b64 s[94:95], s[94:95]
	s_cbranch_execz .LBB12_2631
; %bb.2630:                             ;   in Loop: Header=BB12_2602 Depth=3
	buffer_load_dword v21, off, s[0:3], s33 offset:128 ; 4-byte Folded Reload
	buffer_load_dword v22, off, s[0:3], s33 offset:132 ; 4-byte Folded Reload
	v_or_b32_e32 v20, 0x10000, v19
	s_waitcnt vmcnt(0)
	v_cmp_eq_u32_sdwa vcc, v19, v21 src0_sel:WORD_0 src1_sel:DWORD
	v_cndmask_b32_e32 v54, v20, v19, vcc
.LBB12_2631:                            ;   in Loop: Header=BB12_2602 Depth=3
	s_or_b64 exec, exec, s[94:95]
	buffer_load_dword v20, off, s[0:3], s33 offset:300 ; 4-byte Folded Reload
	v_lshlrev_b32_e32 v19, 16, v51
	v_max_f32_e32 v19, v19, v19
	s_waitcnt vmcnt(0)
	v_lshlrev_b32_e32 v20, 16, v20
	v_max_f32_e32 v20, v20, v20
	v_min_f32_e32 v51, v19, v20
	v_max_f32_e32 v19, v19, v20
	v_cndmask_b32_e64 v19, v19, v51, s[28:29]
	v_and_b32_e32 v20, 0x7f800000, v19
	v_cmp_ne_u32_e32 vcc, s56, v20
                                        ; implicit-def: $vgpr51
	s_and_saveexec_b64 s[94:95], vcc
	s_xor_b64 s[94:95], exec, s[94:95]
; %bb.2632:                             ;   in Loop: Header=BB12_2602 Depth=3
	v_bfe_u32 v20, v19, 16, 1
	v_add3_u32 v51, v19, v20, s57
                                        ; implicit-def: $vgpr19
; %bb.2633:                             ;   in Loop: Header=BB12_2602 Depth=3
	s_andn2_saveexec_b64 s[94:95], s[94:95]
	s_cbranch_execz .LBB12_2635
; %bb.2634:                             ;   in Loop: Header=BB12_2602 Depth=3
	buffer_load_dword v21, off, s[0:3], s33 offset:128 ; 4-byte Folded Reload
	buffer_load_dword v22, off, s[0:3], s33 offset:132 ; 4-byte Folded Reload
	v_or_b32_e32 v20, 0x10000, v19
	s_waitcnt vmcnt(0)
	v_cmp_eq_u32_sdwa vcc, v19, v21 src0_sel:WORD_0 src1_sel:DWORD
	v_cndmask_b32_e32 v51, v20, v19, vcc
.LBB12_2635:                            ;   in Loop: Header=BB12_2602 Depth=3
	s_or_b64 exec, exec, s[94:95]
	buffer_load_dword v20, off, s[0:3], s33 offset:308 ; 4-byte Folded Reload
	v_lshlrev_b32_e32 v19, 16, v48
	v_max_f32_e32 v19, v19, v19
	s_waitcnt vmcnt(0)
	v_lshlrev_b32_e32 v20, 16, v20
	v_max_f32_e32 v20, v20, v20
	v_min_f32_e32 v48, v19, v20
	v_max_f32_e32 v19, v19, v20
	v_cndmask_b32_e64 v19, v19, v48, s[28:29]
	v_and_b32_e32 v20, 0x7f800000, v19
	v_cmp_ne_u32_e32 vcc, s56, v20
                                        ; implicit-def: $vgpr48
	s_and_saveexec_b64 s[94:95], vcc
	s_xor_b64 s[94:95], exec, s[94:95]
; %bb.2636:                             ;   in Loop: Header=BB12_2602 Depth=3
	v_bfe_u32 v20, v19, 16, 1
	v_add3_u32 v48, v19, v20, s57
                                        ; implicit-def: $vgpr19
; %bb.2637:                             ;   in Loop: Header=BB12_2602 Depth=3
	s_andn2_saveexec_b64 s[94:95], s[94:95]
	s_cbranch_execz .LBB12_2639
; %bb.2638:                             ;   in Loop: Header=BB12_2602 Depth=3
	buffer_load_dword v21, off, s[0:3], s33 offset:128 ; 4-byte Folded Reload
	buffer_load_dword v22, off, s[0:3], s33 offset:132 ; 4-byte Folded Reload
	v_or_b32_e32 v20, 0x10000, v19
	s_waitcnt vmcnt(0)
	v_cmp_eq_u32_sdwa vcc, v19, v21 src0_sel:WORD_0 src1_sel:DWORD
	v_cndmask_b32_e32 v48, v20, v19, vcc
.LBB12_2639:                            ;   in Loop: Header=BB12_2602 Depth=3
	s_or_b64 exec, exec, s[94:95]
	buffer_load_dword v20, off, s[0:3], s33 offset:352 ; 4-byte Folded Reload
	v_lshlrev_b32_e32 v19, 16, v36
	v_max_f32_e32 v19, v19, v19
	s_waitcnt vmcnt(0)
	v_lshlrev_b32_e32 v20, 16, v20
	v_max_f32_e32 v20, v20, v20
	v_min_f32_e32 v36, v19, v20
	v_max_f32_e32 v19, v19, v20
	v_cndmask_b32_e64 v19, v19, v36, s[28:29]
	v_and_b32_e32 v20, 0x7f800000, v19
	v_cmp_ne_u32_e32 vcc, s56, v20
                                        ; implicit-def: $vgpr36
	s_and_saveexec_b64 s[94:95], vcc
	s_xor_b64 s[94:95], exec, s[94:95]
; %bb.2640:                             ;   in Loop: Header=BB12_2602 Depth=3
	v_bfe_u32 v20, v19, 16, 1
	v_add3_u32 v36, v19, v20, s57
                                        ; implicit-def: $vgpr19
; %bb.2641:                             ;   in Loop: Header=BB12_2602 Depth=3
	s_andn2_saveexec_b64 s[94:95], s[94:95]
	s_cbranch_execz .LBB12_2643
; %bb.2642:                             ;   in Loop: Header=BB12_2602 Depth=3
	buffer_load_dword v21, off, s[0:3], s33 offset:128 ; 4-byte Folded Reload
	buffer_load_dword v22, off, s[0:3], s33 offset:132 ; 4-byte Folded Reload
	v_or_b32_e32 v20, 0x10000, v19
	s_waitcnt vmcnt(0)
	v_cmp_eq_u32_sdwa vcc, v19, v21 src0_sel:WORD_0 src1_sel:DWORD
	v_cndmask_b32_e32 v36, v20, v19, vcc
.LBB12_2643:                            ;   in Loop: Header=BB12_2602 Depth=3
	s_or_b64 exec, exec, s[94:95]
	buffer_load_dword v20, off, s[0:3], s33 offset:360 ; 4-byte Folded Reload
	v_lshlrev_b32_e32 v19, 16, v33
	v_max_f32_e32 v19, v19, v19
	s_waitcnt vmcnt(0)
	v_lshlrev_b32_e32 v20, 16, v20
	v_max_f32_e32 v20, v20, v20
	v_min_f32_e32 v33, v19, v20
	v_max_f32_e32 v19, v19, v20
	v_cndmask_b32_e64 v19, v19, v33, s[28:29]
	v_and_b32_e32 v20, 0x7f800000, v19
	v_cmp_ne_u32_e32 vcc, s56, v20
                                        ; implicit-def: $vgpr33
	s_and_saveexec_b64 s[94:95], vcc
	s_xor_b64 s[94:95], exec, s[94:95]
; %bb.2644:                             ;   in Loop: Header=BB12_2602 Depth=3
	v_bfe_u32 v20, v19, 16, 1
	v_add3_u32 v33, v19, v20, s57
                                        ; implicit-def: $vgpr19
; %bb.2645:                             ;   in Loop: Header=BB12_2602 Depth=3
	s_andn2_saveexec_b64 s[94:95], s[94:95]
	s_cbranch_execz .LBB12_2647
; %bb.2646:                             ;   in Loop: Header=BB12_2602 Depth=3
	buffer_load_dword v21, off, s[0:3], s33 offset:128 ; 4-byte Folded Reload
	buffer_load_dword v22, off, s[0:3], s33 offset:132 ; 4-byte Folded Reload
	v_or_b32_e32 v20, 0x10000, v19
	s_waitcnt vmcnt(0)
	v_cmp_eq_u32_sdwa vcc, v19, v21 src0_sel:WORD_0 src1_sel:DWORD
	v_cndmask_b32_e32 v33, v20, v19, vcc
.LBB12_2647:                            ;   in Loop: Header=BB12_2602 Depth=3
	s_or_b64 exec, exec, s[94:95]
	buffer_load_dword v20, off, s[0:3], s33 offset:368 ; 4-byte Folded Reload
	v_lshlrev_b32_e32 v19, 16, v30
	v_max_f32_e32 v19, v19, v19
	s_waitcnt vmcnt(0)
	v_lshlrev_b32_e32 v20, 16, v20
	v_max_f32_e32 v20, v20, v20
	v_min_f32_e32 v30, v19, v20
	v_max_f32_e32 v19, v19, v20
	v_cndmask_b32_e64 v19, v19, v30, s[28:29]
	v_and_b32_e32 v20, 0x7f800000, v19
	v_cmp_ne_u32_e32 vcc, s56, v20
                                        ; implicit-def: $vgpr30
	s_and_saveexec_b64 s[94:95], vcc
	s_xor_b64 s[94:95], exec, s[94:95]
; %bb.2648:                             ;   in Loop: Header=BB12_2602 Depth=3
	v_bfe_u32 v20, v19, 16, 1
	v_add3_u32 v30, v19, v20, s57
                                        ; implicit-def: $vgpr19
; %bb.2649:                             ;   in Loop: Header=BB12_2602 Depth=3
	s_andn2_saveexec_b64 s[94:95], s[94:95]
	s_cbranch_execz .LBB12_2651
; %bb.2650:                             ;   in Loop: Header=BB12_2602 Depth=3
	buffer_load_dword v21, off, s[0:3], s33 offset:128 ; 4-byte Folded Reload
	buffer_load_dword v22, off, s[0:3], s33 offset:132 ; 4-byte Folded Reload
	v_or_b32_e32 v20, 0x10000, v19
	s_waitcnt vmcnt(0)
	v_cmp_eq_u32_sdwa vcc, v19, v21 src0_sel:WORD_0 src1_sel:DWORD
	v_cndmask_b32_e32 v30, v20, v19, vcc
.LBB12_2651:                            ;   in Loop: Header=BB12_2602 Depth=3
	s_or_b64 exec, exec, s[94:95]
	buffer_load_dword v20, off, s[0:3], s33 offset:376 ; 4-byte Folded Reload
	v_lshlrev_b32_e32 v19, 16, v29
	v_max_f32_e32 v19, v19, v19
	s_waitcnt vmcnt(0)
	v_lshlrev_b32_e32 v20, 16, v20
	v_max_f32_e32 v20, v20, v20
	v_min_f32_e32 v29, v19, v20
	v_max_f32_e32 v19, v19, v20
	v_cndmask_b32_e64 v19, v19, v29, s[28:29]
	v_and_b32_e32 v20, 0x7f800000, v19
	v_cmp_ne_u32_e32 vcc, s56, v20
                                        ; implicit-def: $vgpr29
	s_and_saveexec_b64 s[94:95], vcc
	s_xor_b64 s[94:95], exec, s[94:95]
; %bb.2652:                             ;   in Loop: Header=BB12_2602 Depth=3
	v_bfe_u32 v20, v19, 16, 1
	v_add3_u32 v29, v19, v20, s57
                                        ; implicit-def: $vgpr19
; %bb.2653:                             ;   in Loop: Header=BB12_2602 Depth=3
	s_andn2_saveexec_b64 s[94:95], s[94:95]
	s_cbranch_execz .LBB12_2655
; %bb.2654:                             ;   in Loop: Header=BB12_2602 Depth=3
	buffer_load_dword v21, off, s[0:3], s33 offset:128 ; 4-byte Folded Reload
	buffer_load_dword v22, off, s[0:3], s33 offset:132 ; 4-byte Folded Reload
	v_or_b32_e32 v20, 0x10000, v19
	s_waitcnt vmcnt(0)
	v_cmp_eq_u32_sdwa vcc, v19, v21 src0_sel:WORD_0 src1_sel:DWORD
	v_cndmask_b32_e32 v29, v20, v19, vcc
.LBB12_2655:                            ;   in Loop: Header=BB12_2602 Depth=3
	s_or_b64 exec, exec, s[94:95]
	v_lshlrev_b32_e32 v19, 16, v28
	v_lshlrev_b32_e32 v20, 16, v23
	v_max_f32_e32 v20, v20, v20
	v_max_f32_e32 v19, v19, v19
	v_min_f32_e32 v28, v19, v20
	v_max_f32_e32 v19, v19, v20
	v_cndmask_b32_e64 v19, v19, v28, s[28:29]
	v_and_b32_e32 v20, 0x7f800000, v19
	v_cmp_ne_u32_e32 vcc, s56, v20
                                        ; implicit-def: $vgpr28
	s_and_saveexec_b64 s[94:95], vcc
	s_xor_b64 s[94:95], exec, s[94:95]
; %bb.2656:                             ;   in Loop: Header=BB12_2602 Depth=3
	v_bfe_u32 v20, v19, 16, 1
	v_add3_u32 v28, v19, v20, s57
                                        ; implicit-def: $vgpr19
; %bb.2657:                             ;   in Loop: Header=BB12_2602 Depth=3
	s_andn2_saveexec_b64 s[94:95], s[94:95]
	s_cbranch_execz .LBB12_2659
; %bb.2658:                             ;   in Loop: Header=BB12_2602 Depth=3
	buffer_load_dword v21, off, s[0:3], s33 offset:128 ; 4-byte Folded Reload
	buffer_load_dword v22, off, s[0:3], s33 offset:132 ; 4-byte Folded Reload
	v_or_b32_e32 v20, 0x10000, v19
	s_waitcnt vmcnt(0)
	v_cmp_eq_u32_sdwa vcc, v19, v21 src0_sel:WORD_0 src1_sel:DWORD
	v_cndmask_b32_e32 v28, v20, v19, vcc
.LBB12_2659:                            ;   in Loop: Header=BB12_2602 Depth=3
	s_or_b64 exec, exec, s[94:95]
	v_lshlrev_b32_e32 v19, 16, v27
	v_lshlrev_b32_e32 v20, 16, v24
	v_max_f32_e32 v20, v20, v20
	v_max_f32_e32 v19, v19, v19
	v_min_f32_e32 v27, v19, v20
	v_max_f32_e32 v19, v19, v20
	v_cndmask_b32_e64 v19, v19, v27, s[28:29]
	v_and_b32_e32 v20, 0x7f800000, v19
	v_cmp_ne_u32_e32 vcc, s56, v20
                                        ; implicit-def: $vgpr27
	s_and_saveexec_b64 s[94:95], vcc
	s_xor_b64 s[94:95], exec, s[94:95]
; %bb.2660:                             ;   in Loop: Header=BB12_2602 Depth=3
	v_bfe_u32 v20, v19, 16, 1
	v_add3_u32 v27, v19, v20, s57
                                        ; implicit-def: $vgpr19
; %bb.2661:                             ;   in Loop: Header=BB12_2602 Depth=3
	s_andn2_saveexec_b64 s[94:95], s[94:95]
	s_cbranch_execz .LBB12_2663
; %bb.2662:                             ;   in Loop: Header=BB12_2602 Depth=3
	buffer_load_dword v21, off, s[0:3], s33 offset:128 ; 4-byte Folded Reload
	buffer_load_dword v22, off, s[0:3], s33 offset:132 ; 4-byte Folded Reload
	v_or_b32_e32 v20, 0x10000, v19
	s_waitcnt vmcnt(0)
	v_cmp_eq_u32_sdwa vcc, v19, v21 src0_sel:WORD_0 src1_sel:DWORD
	v_cndmask_b32_e32 v27, v20, v19, vcc
.LBB12_2663:                            ;   in Loop: Header=BB12_2602 Depth=3
	s_or_b64 exec, exec, s[94:95]
	v_lshlrev_b32_e32 v19, 16, v26
	v_lshlrev_b32_e32 v20, 16, v25
	v_max_f32_e32 v20, v20, v20
	v_max_f32_e32 v19, v19, v19
	v_min_f32_e32 v26, v19, v20
	v_max_f32_e32 v19, v19, v20
	v_cndmask_b32_e64 v19, v19, v26, s[28:29]
	v_and_b32_e32 v20, 0x7f800000, v19
	v_cmp_ne_u32_e32 vcc, s56, v20
                                        ; implicit-def: $vgpr26
	s_and_saveexec_b64 s[94:95], vcc
	s_xor_b64 s[94:95], exec, s[94:95]
; %bb.2664:                             ;   in Loop: Header=BB12_2602 Depth=3
	v_bfe_u32 v20, v19, 16, 1
	v_add3_u32 v26, v19, v20, s57
                                        ; implicit-def: $vgpr19
; %bb.2665:                             ;   in Loop: Header=BB12_2602 Depth=3
	s_andn2_saveexec_b64 s[94:95], s[94:95]
	s_cbranch_execz .LBB12_2667
; %bb.2666:                             ;   in Loop: Header=BB12_2602 Depth=3
	buffer_load_dword v21, off, s[0:3], s33 offset:128 ; 4-byte Folded Reload
	buffer_load_dword v22, off, s[0:3], s33 offset:132 ; 4-byte Folded Reload
	v_or_b32_e32 v20, 0x10000, v19
	s_waitcnt vmcnt(0)
	v_cmp_eq_u32_sdwa vcc, v19, v21 src0_sel:WORD_0 src1_sel:DWORD
	v_cndmask_b32_e32 v26, v20, v19, vcc
.LBB12_2667:                            ;   in Loop: Header=BB12_2602 Depth=3
	s_or_b64 exec, exec, s[94:95]
	v_lshrrev_b32_e32 v10, 16, v10
	v_lshrrev_b32_e32 v27, 16, v27
	;; [unrolled: 1-line block ×16, first 2 shown]
	flat_store_short v[0:1], v10 glc slc
	flat_store_short v[0:1], v7 offset:128 glc slc
	flat_store_short v[0:1], v59 offset:256 glc slc
	;; [unrolled: 1-line block ×15, first 2 shown]
	buffer_load_dword v19, off, s[0:3], s33 offset:232 ; 4-byte Folded Reload
	s_waitcnt vmcnt(0)
	v_add_co_u32_e32 v0, vcc, v0, v19
	buffer_load_dword v19, off, s[0:3], s33 offset:236 ; 4-byte Folded Reload
	s_waitcnt vmcnt(0)
	v_addc_co_u32_e32 v1, vcc, v1, v19, vcc
.LBB12_2668:                            ;   in Loop: Header=BB12_2602 Depth=3
	s_or_b64 exec, exec, s[30:31]
	buffer_load_dword v19, off, s[0:3], s33 offset:232 ; 4-byte Folded Reload
	buffer_load_dword v20, off, s[0:3], s33 offset:236 ; 4-byte Folded Reload
	s_waitcnt vmcnt(0)
	v_add_co_u32_e32 v2, vcc, v2, v19
	v_addc_co_u32_e32 v3, vcc, v3, v20, vcc
	v_add_co_u32_e32 v4, vcc, v4, v19
	buffer_load_dword v19, off, s[0:3], s33 offset:152 ; 4-byte Folded Reload
	v_addc_co_u32_e32 v5, vcc, v5, v20, vcc
	s_waitcnt vmcnt(0)
	v_sub_u32_e32 v9, v9, v19
	v_cmp_lt_i32_e64 s[94:95], 0, v9
	s_and_saveexec_b64 s[30:31], s[94:95]
	s_cbranch_execz .LBB12_2670
; %bb.2669:                             ;   in Loop: Header=BB12_2602 Depth=3
	flat_load_ushort v10, v[2:3] glc slc
	flat_load_ushort v7, v[2:3] offset:128 glc slc
	flat_load_ushort v59, v[2:3] offset:256 glc slc
	;; [unrolled: 1-line block ×15, first 2 shown]
	flat_load_ushort v19, v[4:5] glc slc
	v_add_co_u32_e32 v2, vcc, s64, v2
	v_addc_co_u32_e32 v3, vcc, 0, v3, vcc
	s_waitcnt vmcnt(0) lgkmcnt(0)
	buffer_store_dword v19, off, s[0:3], s33 offset:168 ; 4-byte Folded Spill
	flat_load_ushort v19, v[4:5] offset:128 glc slc
	s_waitcnt vmcnt(0) lgkmcnt(0)
	buffer_store_dword v19, off, s[0:3], s33 offset:184 ; 4-byte Folded Spill
	flat_load_ushort v19, v[4:5] offset:256 glc slc
	;; [unrolled: 3-line block ×13, first 2 shown]
	flat_load_ushort v24, v[4:5] offset:1792 glc slc
	flat_load_ushort v25, v[4:5] offset:1920 glc slc
	v_add_co_u32_e32 v4, vcc, 0x800, v4
	v_addc_co_u32_e32 v5, vcc, 0, v5, vcc
.LBB12_2670:                            ;   in Loop: Header=BB12_2602 Depth=3
	s_or_b64 exec, exec, s[30:31]
	s_waitcnt lgkmcnt(0)
	v_lshlrev_b32_e32 v17, 16, v17
	v_lshlrev_b32_e32 v18, 16, v18
	v_max_f32_e32 v18, v18, v18
	v_max_f32_e32 v17, v17, v17
	v_min_f32_e32 v19, v17, v18
	v_max_f32_e32 v17, v17, v18
	v_cndmask_b32_e64 v18, v17, v19, s[28:29]
	v_and_b32_e32 v17, 0x7f800000, v18
	v_cmp_ne_u32_e32 vcc, s56, v17
                                        ; implicit-def: $vgpr17
	s_and_saveexec_b64 s[30:31], vcc
	s_xor_b64 vcc, exec, s[30:31]
; %bb.2671:                             ;   in Loop: Header=BB12_2602 Depth=3
	v_bfe_u32 v17, v18, 16, 1
	v_add3_u32 v17, v18, v17, s57
                                        ; implicit-def: $vgpr18
; %bb.2672:                             ;   in Loop: Header=BB12_2602 Depth=3
	s_andn2_saveexec_b64 s[30:31], vcc
	s_cbranch_execz .LBB12_2674
; %bb.2673:                             ;   in Loop: Header=BB12_2602 Depth=3
	buffer_load_dword v19, off, s[0:3], s33 offset:128 ; 4-byte Folded Reload
	buffer_load_dword v20, off, s[0:3], s33 offset:132 ; 4-byte Folded Reload
	v_or_b32_e32 v17, 0x10000, v18
	s_waitcnt vmcnt(0)
	v_cmp_eq_u32_sdwa vcc, v18, v19 src0_sel:WORD_0 src1_sel:DWORD
	v_cndmask_b32_e32 v17, v17, v18, vcc
.LBB12_2674:                            ;   in Loop: Header=BB12_2602 Depth=3
	s_or_b64 exec, exec, s[30:31]
	v_lshlrev_b32_e32 v15, 16, v15
	v_lshlrev_b32_e32 v16, 16, v16
	v_max_f32_e32 v16, v16, v16
	v_max_f32_e32 v15, v15, v15
	v_min_f32_e32 v18, v15, v16
	v_max_f32_e32 v15, v15, v16
	v_cndmask_b32_e64 v16, v15, v18, s[28:29]
	v_and_b32_e32 v15, 0x7f800000, v16
	v_cmp_ne_u32_e32 vcc, s56, v15
                                        ; implicit-def: $vgpr15
	s_and_saveexec_b64 s[30:31], vcc
	s_xor_b64 vcc, exec, s[30:31]
; %bb.2675:                             ;   in Loop: Header=BB12_2602 Depth=3
	v_bfe_u32 v15, v16, 16, 1
	v_add3_u32 v15, v16, v15, s57
                                        ; implicit-def: $vgpr16
; %bb.2676:                             ;   in Loop: Header=BB12_2602 Depth=3
	s_andn2_saveexec_b64 s[30:31], vcc
	s_cbranch_execz .LBB12_2678
; %bb.2677:                             ;   in Loop: Header=BB12_2602 Depth=3
	buffer_load_dword v18, off, s[0:3], s33 offset:128 ; 4-byte Folded Reload
	buffer_load_dword v19, off, s[0:3], s33 offset:132 ; 4-byte Folded Reload
	v_or_b32_e32 v15, 0x10000, v16
	s_waitcnt vmcnt(0)
	v_cmp_eq_u32_sdwa vcc, v16, v18 src0_sel:WORD_0 src1_sel:DWORD
	v_cndmask_b32_e32 v15, v15, v16, vcc
.LBB12_2678:                            ;   in Loop: Header=BB12_2602 Depth=3
	s_or_b64 exec, exec, s[30:31]
	v_lshlrev_b32_e32 v13, 16, v13
	v_lshlrev_b32_e32 v14, 16, v14
	v_max_f32_e32 v14, v14, v14
	v_max_f32_e32 v13, v13, v13
	v_min_f32_e32 v16, v13, v14
	v_max_f32_e32 v13, v13, v14
	v_cndmask_b32_e64 v14, v13, v16, s[28:29]
	v_and_b32_e32 v13, 0x7f800000, v14
	v_cmp_ne_u32_e32 vcc, s56, v13
                                        ; implicit-def: $vgpr13
	s_and_saveexec_b64 s[30:31], vcc
	s_xor_b64 vcc, exec, s[30:31]
; %bb.2679:                             ;   in Loop: Header=BB12_2602 Depth=3
	v_bfe_u32 v13, v14, 16, 1
	v_add3_u32 v13, v14, v13, s57
                                        ; implicit-def: $vgpr14
; %bb.2680:                             ;   in Loop: Header=BB12_2602 Depth=3
	s_andn2_saveexec_b64 s[30:31], vcc
	s_cbranch_execz .LBB12_2682
; %bb.2681:                             ;   in Loop: Header=BB12_2602 Depth=3
	buffer_load_dword v18, off, s[0:3], s33 offset:128 ; 4-byte Folded Reload
	buffer_load_dword v19, off, s[0:3], s33 offset:132 ; 4-byte Folded Reload
	v_or_b32_e32 v13, 0x10000, v14
	s_waitcnt vmcnt(0)
	v_cmp_eq_u32_sdwa vcc, v14, v18 src0_sel:WORD_0 src1_sel:DWORD
	v_cndmask_b32_e32 v13, v13, v14, vcc
.LBB12_2682:                            ;   in Loop: Header=BB12_2602 Depth=3
	s_or_b64 exec, exec, s[30:31]
	v_lshlrev_b32_e32 v11, 16, v11
	v_lshlrev_b32_e32 v12, 16, v12
	v_max_f32_e32 v12, v12, v12
	v_max_f32_e32 v11, v11, v11
	v_min_f32_e32 v14, v11, v12
	v_max_f32_e32 v11, v11, v12
	v_cndmask_b32_e64 v12, v11, v14, s[28:29]
	v_and_b32_e32 v11, 0x7f800000, v12
	v_cmp_ne_u32_e32 vcc, s56, v11
                                        ; implicit-def: $vgpr11
	s_and_saveexec_b64 s[30:31], vcc
	s_xor_b64 vcc, exec, s[30:31]
; %bb.2683:                             ;   in Loop: Header=BB12_2602 Depth=3
	v_bfe_u32 v11, v12, 16, 1
	v_add3_u32 v11, v12, v11, s57
                                        ; implicit-def: $vgpr12
; %bb.2684:                             ;   in Loop: Header=BB12_2602 Depth=3
	s_andn2_saveexec_b64 s[30:31], vcc
	s_cbranch_execz .LBB12_2686
; %bb.2685:                             ;   in Loop: Header=BB12_2602 Depth=3
	buffer_load_dword v18, off, s[0:3], s33 offset:128 ; 4-byte Folded Reload
	buffer_load_dword v19, off, s[0:3], s33 offset:132 ; 4-byte Folded Reload
	v_or_b32_e32 v11, 0x10000, v12
	s_waitcnt vmcnt(0)
	v_cmp_eq_u32_sdwa vcc, v12, v18 src0_sel:WORD_0 src1_sel:DWORD
	v_cndmask_b32_e32 v11, v11, v12, vcc
.LBB12_2686:                            ;   in Loop: Header=BB12_2602 Depth=3
	s_or_b64 exec, exec, s[30:31]
	v_lshlrev_b32_e32 v8, 16, v8
	v_lshlrev_b32_e32 v6, 16, v6
	v_max_f32_e32 v6, v6, v6
	v_max_f32_e32 v8, v8, v8
	v_min_f32_e32 v12, v8, v6
	v_max_f32_e32 v6, v8, v6
	v_cndmask_b32_e64 v8, v6, v12, s[28:29]
	v_and_b32_e32 v6, 0x7f800000, v8
	v_cmp_ne_u32_e32 vcc, s56, v6
                                        ; implicit-def: $vgpr6
	s_and_saveexec_b64 s[30:31], vcc
	s_xor_b64 vcc, exec, s[30:31]
; %bb.2687:                             ;   in Loop: Header=BB12_2602 Depth=3
	v_bfe_u32 v6, v8, 16, 1
	v_add3_u32 v6, v8, v6, s57
                                        ; implicit-def: $vgpr8
; %bb.2688:                             ;   in Loop: Header=BB12_2602 Depth=3
	s_andn2_saveexec_b64 s[30:31], vcc
	s_cbranch_execz .LBB12_2690
; %bb.2689:                             ;   in Loop: Header=BB12_2602 Depth=3
	buffer_load_dword v18, off, s[0:3], s33 offset:128 ; 4-byte Folded Reload
	buffer_load_dword v19, off, s[0:3], s33 offset:132 ; 4-byte Folded Reload
	v_or_b32_e32 v6, 0x10000, v8
	s_waitcnt vmcnt(0)
	v_cmp_eq_u32_sdwa vcc, v8, v18 src0_sel:WORD_0 src1_sel:DWORD
	v_cndmask_b32_e32 v6, v6, v8, vcc
.LBB12_2690:                            ;   in Loop: Header=BB12_2602 Depth=3
	s_or_b64 exec, exec, s[30:31]
	v_lshlrev_b32_e32 v8, 16, v60
	v_lshlrev_b32_e32 v12, 16, v61
	v_max_f32_e32 v12, v12, v12
	v_max_f32_e32 v8, v8, v8
	v_min_f32_e32 v14, v8, v12
	v_max_f32_e32 v8, v8, v12
	v_cndmask_b32_e64 v12, v8, v14, s[28:29]
	v_and_b32_e32 v8, 0x7f800000, v12
	v_cmp_ne_u32_e32 vcc, s56, v8
                                        ; implicit-def: $vgpr8
	s_and_saveexec_b64 s[30:31], vcc
	s_xor_b64 vcc, exec, s[30:31]
; %bb.2691:                             ;   in Loop: Header=BB12_2602 Depth=3
	v_bfe_u32 v8, v12, 16, 1
	v_add3_u32 v8, v12, v8, s57
                                        ; implicit-def: $vgpr12
; %bb.2692:                             ;   in Loop: Header=BB12_2602 Depth=3
	s_andn2_saveexec_b64 s[30:31], vcc
	s_cbranch_execz .LBB12_2694
; %bb.2693:                             ;   in Loop: Header=BB12_2602 Depth=3
	buffer_load_dword v18, off, s[0:3], s33 offset:128 ; 4-byte Folded Reload
	buffer_load_dword v19, off, s[0:3], s33 offset:132 ; 4-byte Folded Reload
	v_or_b32_e32 v8, 0x10000, v12
	s_waitcnt vmcnt(0)
	v_cmp_eq_u32_sdwa vcc, v12, v18 src0_sel:WORD_0 src1_sel:DWORD
	v_cndmask_b32_e32 v8, v8, v12, vcc
.LBB12_2694:                            ;   in Loop: Header=BB12_2602 Depth=3
	s_or_b64 exec, exec, s[30:31]
	v_lshlrev_b32_e32 v12, 16, v57
	v_lshlrev_b32_e32 v14, 16, v58
	v_max_f32_e32 v14, v14, v14
	v_max_f32_e32 v12, v12, v12
	v_min_f32_e32 v16, v12, v14
	v_max_f32_e32 v12, v12, v14
	v_cndmask_b32_e64 v14, v12, v16, s[28:29]
	v_and_b32_e32 v12, 0x7f800000, v14
	v_cmp_ne_u32_e32 vcc, s56, v12
                                        ; implicit-def: $vgpr12
	s_and_saveexec_b64 s[30:31], vcc
	s_xor_b64 vcc, exec, s[30:31]
; %bb.2695:                             ;   in Loop: Header=BB12_2602 Depth=3
	v_bfe_u32 v12, v14, 16, 1
	v_add3_u32 v12, v14, v12, s57
                                        ; implicit-def: $vgpr14
; %bb.2696:                             ;   in Loop: Header=BB12_2602 Depth=3
	s_andn2_saveexec_b64 s[30:31], vcc
	s_cbranch_execz .LBB12_2698
; %bb.2697:                             ;   in Loop: Header=BB12_2602 Depth=3
	buffer_load_dword v18, off, s[0:3], s33 offset:128 ; 4-byte Folded Reload
	buffer_load_dword v19, off, s[0:3], s33 offset:132 ; 4-byte Folded Reload
	v_or_b32_e32 v12, 0x10000, v14
	s_waitcnt vmcnt(0)
	v_cmp_eq_u32_sdwa vcc, v14, v18 src0_sel:WORD_0 src1_sel:DWORD
	v_cndmask_b32_e32 v12, v12, v14, vcc
.LBB12_2698:                            ;   in Loop: Header=BB12_2602 Depth=3
	s_or_b64 exec, exec, s[30:31]
	v_lshlrev_b32_e32 v14, 16, v46
	v_lshlrev_b32_e32 v16, 16, v47
	v_max_f32_e32 v16, v16, v16
	v_max_f32_e32 v14, v14, v14
	v_min_f32_e32 v18, v14, v16
	v_max_f32_e32 v14, v14, v16
	v_cndmask_b32_e64 v16, v14, v18, s[28:29]
	v_and_b32_e32 v14, 0x7f800000, v16
	v_cmp_ne_u32_e32 vcc, s56, v14
                                        ; implicit-def: $vgpr14
	s_and_saveexec_b64 s[30:31], vcc
	s_xor_b64 vcc, exec, s[30:31]
; %bb.2699:                             ;   in Loop: Header=BB12_2602 Depth=3
	v_bfe_u32 v14, v16, 16, 1
	v_add3_u32 v14, v16, v14, s57
                                        ; implicit-def: $vgpr16
; %bb.2700:                             ;   in Loop: Header=BB12_2602 Depth=3
	s_andn2_saveexec_b64 s[30:31], vcc
	s_cbranch_execz .LBB12_2702
; %bb.2701:                             ;   in Loop: Header=BB12_2602 Depth=3
	buffer_load_dword v18, off, s[0:3], s33 offset:128 ; 4-byte Folded Reload
	buffer_load_dword v19, off, s[0:3], s33 offset:132 ; 4-byte Folded Reload
	v_or_b32_e32 v14, 0x10000, v16
	s_waitcnt vmcnt(0)
	v_cmp_eq_u32_sdwa vcc, v16, v18 src0_sel:WORD_0 src1_sel:DWORD
	v_cndmask_b32_e32 v14, v14, v16, vcc
.LBB12_2702:                            ;   in Loop: Header=BB12_2602 Depth=3
	s_or_b64 exec, exec, s[30:31]
	v_lshlrev_b32_e32 v16, 16, v43
	v_lshlrev_b32_e32 v18, 16, v45
	v_max_f32_e32 v18, v18, v18
	v_max_f32_e32 v16, v16, v16
	v_min_f32_e32 v19, v16, v18
	v_max_f32_e32 v16, v16, v18
	v_cndmask_b32_e64 v18, v16, v19, s[28:29]
	v_and_b32_e32 v16, 0x7f800000, v18
	v_cmp_ne_u32_e32 vcc, s56, v16
                                        ; implicit-def: $vgpr16
	s_and_saveexec_b64 s[30:31], vcc
	s_xor_b64 vcc, exec, s[30:31]
; %bb.2703:                             ;   in Loop: Header=BB12_2602 Depth=3
	v_bfe_u32 v16, v18, 16, 1
	v_add3_u32 v16, v18, v16, s57
                                        ; implicit-def: $vgpr18
; %bb.2704:                             ;   in Loop: Header=BB12_2602 Depth=3
	s_andn2_saveexec_b64 s[30:31], vcc
	s_cbranch_execz .LBB12_2706
; %bb.2705:                             ;   in Loop: Header=BB12_2602 Depth=3
	buffer_load_dword v19, off, s[0:3], s33 offset:128 ; 4-byte Folded Reload
	buffer_load_dword v20, off, s[0:3], s33 offset:132 ; 4-byte Folded Reload
	v_or_b32_e32 v16, 0x10000, v18
	s_waitcnt vmcnt(0)
	v_cmp_eq_u32_sdwa vcc, v18, v19 src0_sel:WORD_0 src1_sel:DWORD
	v_cndmask_b32_e32 v16, v16, v18, vcc
.LBB12_2706:                            ;   in Loop: Header=BB12_2602 Depth=3
	s_or_b64 exec, exec, s[30:31]
	v_lshlrev_b32_e32 v18, 16, v40
	v_lshlrev_b32_e32 v19, 16, v42
	v_max_f32_e32 v19, v19, v19
	v_max_f32_e32 v18, v18, v18
	v_min_f32_e32 v20, v18, v19
	v_max_f32_e32 v18, v18, v19
	v_cndmask_b32_e64 v19, v18, v20, s[28:29]
	v_and_b32_e32 v18, 0x7f800000, v19
	v_cmp_ne_u32_e32 vcc, s56, v18
                                        ; implicit-def: $vgpr18
	s_and_saveexec_b64 s[30:31], vcc
	s_xor_b64 vcc, exec, s[30:31]
; %bb.2707:                             ;   in Loop: Header=BB12_2602 Depth=3
	v_bfe_u32 v18, v19, 16, 1
	v_add3_u32 v18, v19, v18, s57
                                        ; implicit-def: $vgpr19
; %bb.2708:                             ;   in Loop: Header=BB12_2602 Depth=3
	s_andn2_saveexec_b64 s[30:31], vcc
	s_cbranch_execz .LBB12_2710
; %bb.2709:                             ;   in Loop: Header=BB12_2602 Depth=3
	buffer_load_dword v20, off, s[0:3], s33 offset:128 ; 4-byte Folded Reload
	buffer_load_dword v21, off, s[0:3], s33 offset:132 ; 4-byte Folded Reload
	v_or_b32_e32 v18, 0x10000, v19
	s_waitcnt vmcnt(0)
	v_cmp_eq_u32_sdwa vcc, v19, v20 src0_sel:WORD_0 src1_sel:DWORD
	v_cndmask_b32_e32 v18, v18, v19, vcc
.LBB12_2710:                            ;   in Loop: Header=BB12_2602 Depth=3
	s_or_b64 exec, exec, s[30:31]
	v_lshlrev_b32_e32 v19, 16, v53
	v_lshlrev_b32_e32 v20, 16, v55
	v_max_f32_e32 v20, v20, v20
	v_max_f32_e32 v19, v19, v19
	v_min_f32_e32 v53, v19, v20
	v_max_f32_e32 v19, v19, v20
	v_cndmask_b32_e64 v19, v19, v53, s[28:29]
	v_and_b32_e32 v20, 0x7f800000, v19
	v_cmp_ne_u32_e32 vcc, s56, v20
                                        ; implicit-def: $vgpr53
	s_and_saveexec_b64 s[30:31], vcc
	s_xor_b64 vcc, exec, s[30:31]
; %bb.2711:                             ;   in Loop: Header=BB12_2602 Depth=3
	v_bfe_u32 v20, v19, 16, 1
	v_add3_u32 v53, v19, v20, s57
                                        ; implicit-def: $vgpr19
; %bb.2712:                             ;   in Loop: Header=BB12_2602 Depth=3
	s_andn2_saveexec_b64 s[30:31], vcc
	s_cbranch_execz .LBB12_2714
; %bb.2713:                             ;   in Loop: Header=BB12_2602 Depth=3
	buffer_load_dword v21, off, s[0:3], s33 offset:128 ; 4-byte Folded Reload
	buffer_load_dword v22, off, s[0:3], s33 offset:132 ; 4-byte Folded Reload
	v_or_b32_e32 v20, 0x10000, v19
	s_waitcnt vmcnt(0)
	v_cmp_eq_u32_sdwa vcc, v19, v21 src0_sel:WORD_0 src1_sel:DWORD
	v_cndmask_b32_e32 v53, v20, v19, vcc
.LBB12_2714:                            ;   in Loop: Header=BB12_2602 Depth=3
	s_or_b64 exec, exec, s[30:31]
	v_lshlrev_b32_e32 v19, 16, v50
	v_lshlrev_b32_e32 v20, 16, v52
	v_max_f32_e32 v20, v20, v20
	v_max_f32_e32 v19, v19, v19
	v_min_f32_e32 v50, v19, v20
	v_max_f32_e32 v19, v19, v20
	v_cndmask_b32_e64 v19, v19, v50, s[28:29]
	v_and_b32_e32 v20, 0x7f800000, v19
	v_cmp_ne_u32_e32 vcc, s56, v20
                                        ; implicit-def: $vgpr50
	s_and_saveexec_b64 s[30:31], vcc
	s_xor_b64 vcc, exec, s[30:31]
; %bb.2715:                             ;   in Loop: Header=BB12_2602 Depth=3
	v_bfe_u32 v20, v19, 16, 1
	v_add3_u32 v50, v19, v20, s57
                                        ; implicit-def: $vgpr19
; %bb.2716:                             ;   in Loop: Header=BB12_2602 Depth=3
	s_andn2_saveexec_b64 s[30:31], vcc
	s_cbranch_execz .LBB12_2718
; %bb.2717:                             ;   in Loop: Header=BB12_2602 Depth=3
	buffer_load_dword v21, off, s[0:3], s33 offset:128 ; 4-byte Folded Reload
	buffer_load_dword v22, off, s[0:3], s33 offset:132 ; 4-byte Folded Reload
	v_or_b32_e32 v20, 0x10000, v19
	s_waitcnt vmcnt(0)
	v_cmp_eq_u32_sdwa vcc, v19, v21 src0_sel:WORD_0 src1_sel:DWORD
	v_cndmask_b32_e32 v50, v20, v19, vcc
.LBB12_2718:                            ;   in Loop: Header=BB12_2602 Depth=3
	s_or_b64 exec, exec, s[30:31]
	v_lshlrev_b32_e32 v19, 16, v39
	v_lshlrev_b32_e32 v20, 16, v49
	v_max_f32_e32 v20, v20, v20
	v_max_f32_e32 v19, v19, v19
	v_min_f32_e32 v39, v19, v20
	v_max_f32_e32 v19, v19, v20
	v_cndmask_b32_e64 v19, v19, v39, s[28:29]
	v_and_b32_e32 v20, 0x7f800000, v19
	v_cmp_ne_u32_e32 vcc, s56, v20
                                        ; implicit-def: $vgpr39
	s_and_saveexec_b64 s[30:31], vcc
	s_xor_b64 vcc, exec, s[30:31]
; %bb.2719:                             ;   in Loop: Header=BB12_2602 Depth=3
	v_bfe_u32 v20, v19, 16, 1
	v_add3_u32 v39, v19, v20, s57
                                        ; implicit-def: $vgpr19
; %bb.2720:                             ;   in Loop: Header=BB12_2602 Depth=3
	s_andn2_saveexec_b64 s[30:31], vcc
	s_cbranch_execz .LBB12_2722
; %bb.2721:                             ;   in Loop: Header=BB12_2602 Depth=3
	buffer_load_dword v21, off, s[0:3], s33 offset:128 ; 4-byte Folded Reload
	buffer_load_dword v22, off, s[0:3], s33 offset:132 ; 4-byte Folded Reload
	v_or_b32_e32 v20, 0x10000, v19
	s_waitcnt vmcnt(0)
	v_cmp_eq_u32_sdwa vcc, v19, v21 src0_sel:WORD_0 src1_sel:DWORD
	v_cndmask_b32_e32 v39, v20, v19, vcc
.LBB12_2722:                            ;   in Loop: Header=BB12_2602 Depth=3
	s_or_b64 exec, exec, s[30:31]
	v_lshlrev_b32_e32 v19, 16, v37
	v_lshlrev_b32_e32 v20, 16, v38
	v_max_f32_e32 v20, v20, v20
	v_max_f32_e32 v19, v19, v19
	v_min_f32_e32 v37, v19, v20
	v_max_f32_e32 v19, v19, v20
	v_cndmask_b32_e64 v19, v19, v37, s[28:29]
	v_and_b32_e32 v20, 0x7f800000, v19
	v_cmp_ne_u32_e32 vcc, s56, v20
                                        ; implicit-def: $vgpr37
	s_and_saveexec_b64 s[30:31], vcc
	s_xor_b64 vcc, exec, s[30:31]
; %bb.2723:                             ;   in Loop: Header=BB12_2602 Depth=3
	v_bfe_u32 v20, v19, 16, 1
	v_add3_u32 v37, v19, v20, s57
                                        ; implicit-def: $vgpr19
; %bb.2724:                             ;   in Loop: Header=BB12_2602 Depth=3
	s_andn2_saveexec_b64 s[30:31], vcc
	s_cbranch_execz .LBB12_2726
; %bb.2725:                             ;   in Loop: Header=BB12_2602 Depth=3
	buffer_load_dword v21, off, s[0:3], s33 offset:128 ; 4-byte Folded Reload
	buffer_load_dword v22, off, s[0:3], s33 offset:132 ; 4-byte Folded Reload
	v_or_b32_e32 v20, 0x10000, v19
	s_waitcnt vmcnt(0)
	v_cmp_eq_u32_sdwa vcc, v19, v21 src0_sel:WORD_0 src1_sel:DWORD
	v_cndmask_b32_e32 v37, v20, v19, vcc
.LBB12_2726:                            ;   in Loop: Header=BB12_2602 Depth=3
	s_or_b64 exec, exec, s[30:31]
	v_lshlrev_b32_e32 v19, 16, v34
	v_lshlrev_b32_e32 v20, 16, v35
	v_max_f32_e32 v20, v20, v20
	v_max_f32_e32 v19, v19, v19
	v_min_f32_e32 v34, v19, v20
	v_max_f32_e32 v19, v19, v20
	v_cndmask_b32_e64 v19, v19, v34, s[28:29]
	v_and_b32_e32 v20, 0x7f800000, v19
	v_cmp_ne_u32_e32 vcc, s56, v20
                                        ; implicit-def: $vgpr34
	s_and_saveexec_b64 s[30:31], vcc
	s_xor_b64 vcc, exec, s[30:31]
; %bb.2727:                             ;   in Loop: Header=BB12_2602 Depth=3
	v_bfe_u32 v20, v19, 16, 1
	v_add3_u32 v34, v19, v20, s57
                                        ; implicit-def: $vgpr19
; %bb.2728:                             ;   in Loop: Header=BB12_2602 Depth=3
	s_andn2_saveexec_b64 s[30:31], vcc
	s_cbranch_execz .LBB12_2730
; %bb.2729:                             ;   in Loop: Header=BB12_2602 Depth=3
	buffer_load_dword v21, off, s[0:3], s33 offset:128 ; 4-byte Folded Reload
	buffer_load_dword v22, off, s[0:3], s33 offset:132 ; 4-byte Folded Reload
	v_or_b32_e32 v20, 0x10000, v19
	s_waitcnt vmcnt(0)
	v_cmp_eq_u32_sdwa vcc, v19, v21 src0_sel:WORD_0 src1_sel:DWORD
	v_cndmask_b32_e32 v34, v20, v19, vcc
.LBB12_2730:                            ;   in Loop: Header=BB12_2602 Depth=3
	s_or_b64 exec, exec, s[30:31]
	v_lshlrev_b32_e32 v19, 16, v31
	v_lshlrev_b32_e32 v20, 16, v32
	v_max_f32_e32 v20, v20, v20
	v_max_f32_e32 v19, v19, v19
	v_min_f32_e32 v31, v19, v20
	v_max_f32_e32 v19, v19, v20
	v_cndmask_b32_e64 v19, v19, v31, s[28:29]
	v_and_b32_e32 v20, 0x7f800000, v19
	v_cmp_ne_u32_e32 vcc, s56, v20
                                        ; implicit-def: $vgpr31
	s_and_saveexec_b64 s[30:31], vcc
	s_xor_b64 vcc, exec, s[30:31]
; %bb.2731:                             ;   in Loop: Header=BB12_2602 Depth=3
	v_bfe_u32 v20, v19, 16, 1
	v_add3_u32 v31, v19, v20, s57
                                        ; implicit-def: $vgpr19
; %bb.2732:                             ;   in Loop: Header=BB12_2602 Depth=3
	s_andn2_saveexec_b64 s[30:31], vcc
	s_cbranch_execz .LBB12_2601
; %bb.2733:                             ;   in Loop: Header=BB12_2602 Depth=3
	buffer_load_dword v21, off, s[0:3], s33 offset:128 ; 4-byte Folded Reload
	buffer_load_dword v22, off, s[0:3], s33 offset:132 ; 4-byte Folded Reload
	v_or_b32_e32 v20, 0x10000, v19
	s_waitcnt vmcnt(0)
	v_cmp_eq_u32_sdwa vcc, v19, v21 src0_sel:WORD_0 src1_sel:DWORD
	v_cndmask_b32_e32 v31, v20, v19, vcc
	s_branch .LBB12_2601
.LBB12_2734:                            ;   in Loop: Header=BB12_1245 Depth=2
	s_or_b64 exec, exec, s[92:93]
	buffer_load_dword v2, off, s[0:3], s33 offset:168 ; 4-byte Folded Reload
	v_lshlrev_b32_e32 v52, 16, v44
	v_lshlrev_b32_e32 v49, 16, v41
	;; [unrolled: 1-line block ×18, first 2 shown]
	s_and_b64 s[28:29], s[44:45], exec
	s_waitcnt vmcnt(0)
	v_lshlrev_b32_e32 v43, 16, v2
	buffer_load_dword v2, off, s[0:3], s33 offset:184 ; 4-byte Folded Reload
	s_waitcnt vmcnt(0)
	v_lshlrev_b32_e32 v42, 16, v2
	buffer_load_dword v2, off, s[0:3], s33 offset:200 ; 4-byte Folded Reload
	;; [unrolled: 3-line block ×12, first 2 shown]
	buffer_load_dword v41, off, s[0:3], s33 offset:524 ; 4-byte Folded Reload
	buffer_load_dword v44, off, s[0:3], s33 offset:528 ; 4-byte Folded Reload
	;; [unrolled: 1-line block ×5, first 2 shown]
	s_waitcnt vmcnt(0)
	v_lshlrev_b32_e32 v11, 16, v2
	v_lshlrev_b32_e32 v2, 16, v26
.LBB12_2735:                            ;   in Loop: Header=BB12_1245 Depth=2
	s_or_b64 exec, exec, s[40:41]
	s_and_saveexec_b64 s[40:41], s[28:29]
	s_cbranch_execz .LBB12_2801
; %bb.2736:                             ;   in Loop: Header=BB12_1245 Depth=2
	s_and_b32 s28, s9, 0xff
	s_cmp_eq_u32 s28, 0
	v_max_f32_e32 v20, v43, v43
	v_max_f32_e32 v8, v8, v8
	v_min_f32_e32 v21, v8, v20
	v_max_f32_e32 v8, v8, v20
	s_cselect_b64 vcc, -1, 0
	v_cndmask_b32_e32 v20, v8, v21, vcc
	v_and_b32_e32 v8, 0x7f800000, v20
	v_cmp_ne_u32_e64 s[28:29], s56, v8
                                        ; implicit-def: $vgpr8
	s_and_saveexec_b64 s[44:45], s[28:29]
	s_xor_b64 s[28:29], exec, s[44:45]
; %bb.2737:                             ;   in Loop: Header=BB12_1245 Depth=2
	v_bfe_u32 v8, v20, 16, 1
	v_add3_u32 v8, v20, v8, s57
                                        ; implicit-def: $vgpr20
; %bb.2738:                             ;   in Loop: Header=BB12_1245 Depth=2
	s_andn2_saveexec_b64 s[44:45], s[28:29]
	s_cbranch_execz .LBB12_2740
; %bb.2739:                             ;   in Loop: Header=BB12_1245 Depth=2
	buffer_load_dword v21, off, s[0:3], s33 offset:128 ; 4-byte Folded Reload
	buffer_load_dword v22, off, s[0:3], s33 offset:132 ; 4-byte Folded Reload
	v_or_b32_e32 v8, 0x10000, v20
	s_waitcnt vmcnt(0)
	v_cmp_eq_u32_sdwa s[28:29], v20, v21 src0_sel:WORD_0 src1_sel:DWORD
	v_cndmask_b32_e64 v8, v8, v20, s[28:29]
.LBB12_2740:                            ;   in Loop: Header=BB12_1245 Depth=2
	s_or_b64 exec, exec, s[44:45]
	v_max_f32_e32 v20, v42, v42
	v_max_f32_e32 v12, v12, v12
	v_min_f32_e32 v21, v12, v20
	v_max_f32_e32 v12, v12, v20
	v_cndmask_b32_e32 v20, v12, v21, vcc
	v_and_b32_e32 v12, 0x7f800000, v20
	v_cmp_ne_u32_e64 s[28:29], s56, v12
                                        ; implicit-def: $vgpr12
	s_and_saveexec_b64 s[44:45], s[28:29]
	s_xor_b64 s[28:29], exec, s[44:45]
; %bb.2741:                             ;   in Loop: Header=BB12_1245 Depth=2
	v_bfe_u32 v12, v20, 16, 1
	v_add3_u32 v12, v20, v12, s57
                                        ; implicit-def: $vgpr20
; %bb.2742:                             ;   in Loop: Header=BB12_1245 Depth=2
	s_andn2_saveexec_b64 s[44:45], s[28:29]
	s_cbranch_execz .LBB12_2744
; %bb.2743:                             ;   in Loop: Header=BB12_1245 Depth=2
	buffer_load_dword v21, off, s[0:3], s33 offset:128 ; 4-byte Folded Reload
	buffer_load_dword v22, off, s[0:3], s33 offset:132 ; 4-byte Folded Reload
	v_or_b32_e32 v12, 0x10000, v20
	s_waitcnt vmcnt(0)
	v_cmp_eq_u32_sdwa s[28:29], v20, v21 src0_sel:WORD_0 src1_sel:DWORD
	v_cndmask_b32_e64 v12, v12, v20, s[28:29]
.LBB12_2744:                            ;   in Loop: Header=BB12_1245 Depth=2
	s_or_b64 exec, exec, s[44:45]
	v_max_f32_e32 v20, v40, v40
	v_max_f32_e32 v15, v15, v15
	v_min_f32_e32 v21, v15, v20
	v_max_f32_e32 v15, v15, v20
	v_cndmask_b32_e32 v20, v15, v21, vcc
	v_and_b32_e32 v15, 0x7f800000, v20
	v_cmp_ne_u32_e64 s[28:29], s56, v15
                                        ; implicit-def: $vgpr15
	s_and_saveexec_b64 s[44:45], s[28:29]
	s_xor_b64 s[28:29], exec, s[44:45]
; %bb.2745:                             ;   in Loop: Header=BB12_1245 Depth=2
	v_bfe_u32 v15, v20, 16, 1
	v_add3_u32 v15, v20, v15, s57
                                        ; implicit-def: $vgpr20
; %bb.2746:                             ;   in Loop: Header=BB12_1245 Depth=2
	s_andn2_saveexec_b64 s[44:45], s[28:29]
	s_cbranch_execz .LBB12_2748
; %bb.2747:                             ;   in Loop: Header=BB12_1245 Depth=2
	buffer_load_dword v21, off, s[0:3], s33 offset:128 ; 4-byte Folded Reload
	buffer_load_dword v22, off, s[0:3], s33 offset:132 ; 4-byte Folded Reload
	v_or_b32_e32 v15, 0x10000, v20
	s_waitcnt vmcnt(0)
	v_cmp_eq_u32_sdwa s[28:29], v20, v21 src0_sel:WORD_0 src1_sel:DWORD
	v_cndmask_b32_e64 v15, v15, v20, s[28:29]
.LBB12_2748:                            ;   in Loop: Header=BB12_1245 Depth=2
	s_or_b64 exec, exec, s[44:45]
	v_max_f32_e32 v20, v55, v55
	v_max_f32_e32 v18, v18, v18
	v_min_f32_e32 v21, v18, v20
	v_max_f32_e32 v18, v18, v20
	v_cndmask_b32_e32 v20, v18, v21, vcc
	v_and_b32_e32 v18, 0x7f800000, v20
	v_cmp_ne_u32_e64 s[28:29], s56, v18
                                        ; implicit-def: $vgpr18
	s_and_saveexec_b64 s[44:45], s[28:29]
	s_xor_b64 s[28:29], exec, s[44:45]
; %bb.2749:                             ;   in Loop: Header=BB12_1245 Depth=2
	v_bfe_u32 v18, v20, 16, 1
	v_add3_u32 v18, v20, v18, s57
                                        ; implicit-def: $vgpr20
; %bb.2750:                             ;   in Loop: Header=BB12_1245 Depth=2
	s_andn2_saveexec_b64 s[44:45], s[28:29]
	s_cbranch_execz .LBB12_2752
; %bb.2751:                             ;   in Loop: Header=BB12_1245 Depth=2
	buffer_load_dword v21, off, s[0:3], s33 offset:128 ; 4-byte Folded Reload
	buffer_load_dword v22, off, s[0:3], s33 offset:132 ; 4-byte Folded Reload
	v_or_b32_e32 v18, 0x10000, v20
	s_waitcnt vmcnt(0)
	v_cmp_eq_u32_sdwa s[28:29], v20, v21 src0_sel:WORD_0 src1_sel:DWORD
	v_cndmask_b32_e64 v18, v18, v20, s[28:29]
.LBB12_2752:                            ;   in Loop: Header=BB12_1245 Depth=2
	s_or_b64 exec, exec, s[44:45]
	v_max_f32_e32 v20, v53, v53
	v_max_f32_e32 v21, v52, v52
	v_min_f32_e32 v22, v21, v20
	v_max_f32_e32 v20, v21, v20
	v_cndmask_b32_e32 v21, v20, v22, vcc
	v_and_b32_e32 v20, 0x7f800000, v21
	v_cmp_ne_u32_e64 s[28:29], s56, v20
                                        ; implicit-def: $vgpr20
	s_and_saveexec_b64 s[44:45], s[28:29]
	s_xor_b64 s[28:29], exec, s[44:45]
; %bb.2753:                             ;   in Loop: Header=BB12_1245 Depth=2
	v_bfe_u32 v20, v21, 16, 1
	v_add3_u32 v20, v21, v20, s57
                                        ; implicit-def: $vgpr21
; %bb.2754:                             ;   in Loop: Header=BB12_1245 Depth=2
	s_andn2_saveexec_b64 s[44:45], s[28:29]
	s_cbranch_execz .LBB12_2756
; %bb.2755:                             ;   in Loop: Header=BB12_1245 Depth=2
	buffer_load_dword v22, off, s[0:3], s33 offset:128 ; 4-byte Folded Reload
	buffer_load_dword v23, off, s[0:3], s33 offset:132 ; 4-byte Folded Reload
	v_or_b32_e32 v20, 0x10000, v21
	s_waitcnt vmcnt(0)
	v_cmp_eq_u32_sdwa s[28:29], v21, v22 src0_sel:WORD_0 src1_sel:DWORD
	v_cndmask_b32_e64 v20, v20, v21, s[28:29]
.LBB12_2756:                            ;   in Loop: Header=BB12_1245 Depth=2
	s_or_b64 exec, exec, s[44:45]
	v_max_f32_e32 v21, v50, v50
	v_max_f32_e32 v22, v49, v49
	v_min_f32_e32 v23, v22, v21
	v_max_f32_e32 v21, v22, v21
	v_cndmask_b32_e32 v22, v21, v23, vcc
	v_and_b32_e32 v21, 0x7f800000, v22
	v_cmp_ne_u32_e64 s[28:29], s56, v21
                                        ; implicit-def: $vgpr21
	s_and_saveexec_b64 s[44:45], s[28:29]
	s_xor_b64 s[28:29], exec, s[44:45]
; %bb.2757:                             ;   in Loop: Header=BB12_1245 Depth=2
	v_bfe_u32 v21, v22, 16, 1
	v_add3_u32 v21, v22, v21, s57
                                        ; implicit-def: $vgpr22
; %bb.2758:                             ;   in Loop: Header=BB12_1245 Depth=2
	s_andn2_saveexec_b64 s[44:45], s[28:29]
	s_cbranch_execz .LBB12_2760
; %bb.2759:                             ;   in Loop: Header=BB12_1245 Depth=2
	buffer_load_dword v23, off, s[0:3], s33 offset:128 ; 4-byte Folded Reload
	buffer_load_dword v24, off, s[0:3], s33 offset:132 ; 4-byte Folded Reload
	v_or_b32_e32 v21, 0x10000, v22
	s_waitcnt vmcnt(0)
	v_cmp_eq_u32_sdwa s[28:29], v22, v23 src0_sel:WORD_0 src1_sel:DWORD
	v_cndmask_b32_e64 v21, v21, v22, s[28:29]
.LBB12_2760:                            ;   in Loop: Header=BB12_1245 Depth=2
	s_or_b64 exec, exec, s[44:45]
	v_max_f32_e32 v22, v39, v39
	v_max_f32_e32 v23, v38, v38
	v_min_f32_e32 v24, v23, v22
	v_max_f32_e32 v22, v23, v22
	v_cndmask_b32_e32 v23, v22, v24, vcc
	v_and_b32_e32 v22, 0x7f800000, v23
	v_cmp_ne_u32_e64 s[28:29], s56, v22
                                        ; implicit-def: $vgpr22
	s_and_saveexec_b64 s[44:45], s[28:29]
	s_xor_b64 s[28:29], exec, s[44:45]
; %bb.2761:                             ;   in Loop: Header=BB12_1245 Depth=2
	v_bfe_u32 v22, v23, 16, 1
	v_add3_u32 v22, v23, v22, s57
                                        ; implicit-def: $vgpr23
; %bb.2762:                             ;   in Loop: Header=BB12_1245 Depth=2
	s_andn2_saveexec_b64 s[44:45], s[28:29]
	s_cbranch_execz .LBB12_2764
; %bb.2763:                             ;   in Loop: Header=BB12_1245 Depth=2
	buffer_load_dword v24, off, s[0:3], s33 offset:128 ; 4-byte Folded Reload
	buffer_load_dword v25, off, s[0:3], s33 offset:132 ; 4-byte Folded Reload
	v_or_b32_e32 v22, 0x10000, v23
	s_waitcnt vmcnt(0)
	v_cmp_eq_u32_sdwa s[28:29], v23, v24 src0_sel:WORD_0 src1_sel:DWORD
	v_cndmask_b32_e64 v22, v22, v23, s[28:29]
.LBB12_2764:                            ;   in Loop: Header=BB12_1245 Depth=2
	s_or_b64 exec, exec, s[44:45]
	v_max_f32_e32 v23, v37, v37
	v_max_f32_e32 v24, v35, v35
	v_min_f32_e32 v25, v24, v23
	v_max_f32_e32 v23, v24, v23
	v_cndmask_b32_e32 v24, v23, v25, vcc
	v_and_b32_e32 v23, 0x7f800000, v24
	v_cmp_ne_u32_e64 s[28:29], s56, v23
                                        ; implicit-def: $vgpr23
	s_and_saveexec_b64 s[44:45], s[28:29]
	s_xor_b64 s[28:29], exec, s[44:45]
; %bb.2765:                             ;   in Loop: Header=BB12_1245 Depth=2
	v_bfe_u32 v23, v24, 16, 1
	v_add3_u32 v23, v24, v23, s57
                                        ; implicit-def: $vgpr24
; %bb.2766:                             ;   in Loop: Header=BB12_1245 Depth=2
	s_andn2_saveexec_b64 s[44:45], s[28:29]
	s_cbranch_execz .LBB12_2768
; %bb.2767:                             ;   in Loop: Header=BB12_1245 Depth=2
	buffer_load_dword v25, off, s[0:3], s33 offset:128 ; 4-byte Folded Reload
	buffer_load_dword v26, off, s[0:3], s33 offset:132 ; 4-byte Folded Reload
	v_or_b32_e32 v23, 0x10000, v24
	s_waitcnt vmcnt(0)
	v_cmp_eq_u32_sdwa s[28:29], v24, v25 src0_sel:WORD_0 src1_sel:DWORD
	v_cndmask_b32_e64 v23, v23, v24, s[28:29]
.LBB12_2768:                            ;   in Loop: Header=BB12_1245 Depth=2
	s_or_b64 exec, exec, s[44:45]
	v_max_f32_e32 v24, v34, v34
	v_max_f32_e32 v25, v32, v32
	v_min_f32_e32 v26, v25, v24
	v_max_f32_e32 v24, v25, v24
	v_cndmask_b32_e32 v25, v24, v26, vcc
	v_and_b32_e32 v24, 0x7f800000, v25
	v_cmp_ne_u32_e64 s[28:29], s56, v24
                                        ; implicit-def: $vgpr24
	s_and_saveexec_b64 s[44:45], s[28:29]
	s_xor_b64 s[28:29], exec, s[44:45]
; %bb.2769:                             ;   in Loop: Header=BB12_1245 Depth=2
	v_bfe_u32 v24, v25, 16, 1
	v_add3_u32 v24, v25, v24, s57
                                        ; implicit-def: $vgpr25
; %bb.2770:                             ;   in Loop: Header=BB12_1245 Depth=2
	s_andn2_saveexec_b64 s[44:45], s[28:29]
	s_cbranch_execz .LBB12_2772
; %bb.2771:                             ;   in Loop: Header=BB12_1245 Depth=2
	buffer_load_dword v26, off, s[0:3], s33 offset:128 ; 4-byte Folded Reload
	buffer_load_dword v27, off, s[0:3], s33 offset:132 ; 4-byte Folded Reload
	v_or_b32_e32 v24, 0x10000, v25
	s_waitcnt vmcnt(0)
	v_cmp_eq_u32_sdwa s[28:29], v25, v26 src0_sel:WORD_0 src1_sel:DWORD
	v_cndmask_b32_e64 v24, v24, v25, s[28:29]
.LBB12_2772:                            ;   in Loop: Header=BB12_1245 Depth=2
	s_or_b64 exec, exec, s[44:45]
	v_max_f32_e32 v19, v19, v19
	v_max_f32_e32 v25, v31, v31
	v_min_f32_e32 v26, v25, v19
	v_max_f32_e32 v19, v25, v19
	v_cndmask_b32_e32 v25, v19, v26, vcc
	v_and_b32_e32 v19, 0x7f800000, v25
	v_cmp_ne_u32_e64 s[28:29], s56, v19
                                        ; implicit-def: $vgpr19
	s_and_saveexec_b64 s[44:45], s[28:29]
	s_xor_b64 s[28:29], exec, s[44:45]
; %bb.2773:                             ;   in Loop: Header=BB12_1245 Depth=2
	v_bfe_u32 v19, v25, 16, 1
	v_add3_u32 v19, v25, v19, s57
                                        ; implicit-def: $vgpr25
; %bb.2774:                             ;   in Loop: Header=BB12_1245 Depth=2
	s_andn2_saveexec_b64 s[44:45], s[28:29]
	s_cbranch_execz .LBB12_2776
; %bb.2775:                             ;   in Loop: Header=BB12_1245 Depth=2
	buffer_load_dword v26, off, s[0:3], s33 offset:128 ; 4-byte Folded Reload
	buffer_load_dword v27, off, s[0:3], s33 offset:132 ; 4-byte Folded Reload
	v_or_b32_e32 v19, 0x10000, v25
	s_waitcnt vmcnt(0)
	v_cmp_eq_u32_sdwa s[28:29], v25, v26 src0_sel:WORD_0 src1_sel:DWORD
	v_cndmask_b32_e64 v19, v19, v25, s[28:29]
.LBB12_2776:                            ;   in Loop: Header=BB12_1245 Depth=2
	s_or_b64 exec, exec, s[44:45]
	v_max_f32_e32 v17, v17, v17
	v_max_f32_e32 v16, v16, v16
	v_min_f32_e32 v25, v16, v17
	v_max_f32_e32 v16, v16, v17
	v_cndmask_b32_e32 v17, v16, v25, vcc
	v_and_b32_e32 v16, 0x7f800000, v17
	v_cmp_ne_u32_e64 s[28:29], s56, v16
                                        ; implicit-def: $vgpr16
	s_and_saveexec_b64 s[44:45], s[28:29]
	s_xor_b64 s[28:29], exec, s[44:45]
; %bb.2777:                             ;   in Loop: Header=BB12_1245 Depth=2
	v_bfe_u32 v16, v17, 16, 1
	v_add3_u32 v16, v17, v16, s57
                                        ; implicit-def: $vgpr17
; %bb.2778:                             ;   in Loop: Header=BB12_1245 Depth=2
	s_andn2_saveexec_b64 s[44:45], s[28:29]
	s_cbranch_execz .LBB12_2780
; %bb.2779:                             ;   in Loop: Header=BB12_1245 Depth=2
	buffer_load_dword v25, off, s[0:3], s33 offset:128 ; 4-byte Folded Reload
	buffer_load_dword v26, off, s[0:3], s33 offset:132 ; 4-byte Folded Reload
	v_or_b32_e32 v16, 0x10000, v17
	s_waitcnt vmcnt(0)
	v_cmp_eq_u32_sdwa s[28:29], v17, v25 src0_sel:WORD_0 src1_sel:DWORD
	v_cndmask_b32_e64 v16, v16, v17, s[28:29]
.LBB12_2780:                            ;   in Loop: Header=BB12_1245 Depth=2
	s_or_b64 exec, exec, s[44:45]
	v_max_f32_e32 v14, v14, v14
	v_max_f32_e32 v13, v13, v13
	v_min_f32_e32 v17, v13, v14
	v_max_f32_e32 v13, v13, v14
	v_cndmask_b32_e32 v14, v13, v17, vcc
	v_and_b32_e32 v13, 0x7f800000, v14
	v_cmp_ne_u32_e64 s[28:29], s56, v13
                                        ; implicit-def: $vgpr13
	s_and_saveexec_b64 s[44:45], s[28:29]
	s_xor_b64 s[28:29], exec, s[44:45]
; %bb.2781:                             ;   in Loop: Header=BB12_1245 Depth=2
	v_bfe_u32 v13, v14, 16, 1
	v_add3_u32 v13, v14, v13, s57
                                        ; implicit-def: $vgpr14
; %bb.2782:                             ;   in Loop: Header=BB12_1245 Depth=2
	s_andn2_saveexec_b64 s[44:45], s[28:29]
	s_cbranch_execz .LBB12_2784
; %bb.2783:                             ;   in Loop: Header=BB12_1245 Depth=2
	buffer_load_dword v25, off, s[0:3], s33 offset:128 ; 4-byte Folded Reload
	buffer_load_dword v26, off, s[0:3], s33 offset:132 ; 4-byte Folded Reload
	v_or_b32_e32 v13, 0x10000, v14
	s_waitcnt vmcnt(0)
	v_cmp_eq_u32_sdwa s[28:29], v14, v25 src0_sel:WORD_0 src1_sel:DWORD
	v_cndmask_b32_e64 v13, v13, v14, s[28:29]
.LBB12_2784:                            ;   in Loop: Header=BB12_1245 Depth=2
	s_or_b64 exec, exec, s[44:45]
	v_max_f32_e32 v11, v11, v11
	v_max_f32_e32 v10, v10, v10
	v_min_f32_e32 v14, v10, v11
	v_max_f32_e32 v10, v10, v11
	v_cndmask_b32_e32 v11, v10, v14, vcc
	v_and_b32_e32 v10, 0x7f800000, v11
	v_cmp_ne_u32_e64 s[28:29], s56, v10
                                        ; implicit-def: $vgpr10
	s_and_saveexec_b64 s[44:45], s[28:29]
	s_xor_b64 s[28:29], exec, s[44:45]
; %bb.2785:                             ;   in Loop: Header=BB12_1245 Depth=2
	v_bfe_u32 v10, v11, 16, 1
	v_add3_u32 v10, v11, v10, s57
                                        ; implicit-def: $vgpr11
; %bb.2786:                             ;   in Loop: Header=BB12_1245 Depth=2
	s_andn2_saveexec_b64 s[44:45], s[28:29]
	s_cbranch_execz .LBB12_2788
; %bb.2787:                             ;   in Loop: Header=BB12_1245 Depth=2
	buffer_load_dword v25, off, s[0:3], s33 offset:128 ; 4-byte Folded Reload
	buffer_load_dword v26, off, s[0:3], s33 offset:132 ; 4-byte Folded Reload
	v_or_b32_e32 v10, 0x10000, v11
	s_waitcnt vmcnt(0)
	v_cmp_eq_u32_sdwa s[28:29], v11, v25 src0_sel:WORD_0 src1_sel:DWORD
	v_cndmask_b32_e64 v10, v10, v11, s[28:29]
.LBB12_2788:                            ;   in Loop: Header=BB12_1245 Depth=2
	s_or_b64 exec, exec, s[44:45]
	v_max_f32_e32 v7, v7, v7
	v_max_f32_e32 v6, v6, v6
	v_min_f32_e32 v11, v6, v7
	v_max_f32_e32 v6, v6, v7
	v_cndmask_b32_e32 v7, v6, v11, vcc
	v_and_b32_e32 v6, 0x7f800000, v7
	v_cmp_ne_u32_e64 s[28:29], s56, v6
                                        ; implicit-def: $vgpr6
	s_and_saveexec_b64 s[44:45], s[28:29]
	s_xor_b64 s[28:29], exec, s[44:45]
; %bb.2789:                             ;   in Loop: Header=BB12_1245 Depth=2
	v_bfe_u32 v6, v7, 16, 1
	v_add3_u32 v6, v7, v6, s57
                                        ; implicit-def: $vgpr7
; %bb.2790:                             ;   in Loop: Header=BB12_1245 Depth=2
	s_andn2_saveexec_b64 s[44:45], s[28:29]
	s_cbranch_execz .LBB12_2792
; %bb.2791:                             ;   in Loop: Header=BB12_1245 Depth=2
	buffer_load_dword v25, off, s[0:3], s33 offset:128 ; 4-byte Folded Reload
	buffer_load_dword v26, off, s[0:3], s33 offset:132 ; 4-byte Folded Reload
	v_or_b32_e32 v6, 0x10000, v7
	s_waitcnt vmcnt(0)
	v_cmp_eq_u32_sdwa s[28:29], v7, v25 src0_sel:WORD_0 src1_sel:DWORD
	v_cndmask_b32_e64 v6, v6, v7, s[28:29]
.LBB12_2792:                            ;   in Loop: Header=BB12_1245 Depth=2
	s_or_b64 exec, exec, s[44:45]
	v_max_f32_e32 v5, v5, v5
	v_max_f32_e32 v4, v4, v4
	v_min_f32_e32 v7, v4, v5
	v_max_f32_e32 v4, v4, v5
	v_cndmask_b32_e32 v5, v4, v7, vcc
	v_and_b32_e32 v4, 0x7f800000, v5
	v_cmp_ne_u32_e64 s[28:29], s56, v4
                                        ; implicit-def: $vgpr4
	s_and_saveexec_b64 s[44:45], s[28:29]
	s_xor_b64 s[28:29], exec, s[44:45]
; %bb.2793:                             ;   in Loop: Header=BB12_1245 Depth=2
	v_bfe_u32 v4, v5, 16, 1
	v_add3_u32 v4, v5, v4, s57
                                        ; implicit-def: $vgpr5
; %bb.2794:                             ;   in Loop: Header=BB12_1245 Depth=2
	s_andn2_saveexec_b64 s[44:45], s[28:29]
	s_cbranch_execz .LBB12_2796
; %bb.2795:                             ;   in Loop: Header=BB12_1245 Depth=2
	buffer_load_dword v25, off, s[0:3], s33 offset:128 ; 4-byte Folded Reload
	buffer_load_dword v26, off, s[0:3], s33 offset:132 ; 4-byte Folded Reload
	v_or_b32_e32 v4, 0x10000, v5
	s_waitcnt vmcnt(0)
	v_cmp_eq_u32_sdwa s[28:29], v5, v25 src0_sel:WORD_0 src1_sel:DWORD
	v_cndmask_b32_e64 v4, v4, v5, s[28:29]
.LBB12_2796:                            ;   in Loop: Header=BB12_1245 Depth=2
	s_or_b64 exec, exec, s[44:45]
	v_max_f32_e32 v3, v3, v3
	v_max_f32_e32 v2, v2, v2
	v_min_f32_e32 v5, v2, v3
	v_max_f32_e32 v2, v2, v3
	v_cndmask_b32_e32 v3, v2, v5, vcc
	v_and_b32_e32 v2, 0x7f800000, v3
	v_cmp_ne_u32_e32 vcc, s56, v2
                                        ; implicit-def: $vgpr2
	s_and_saveexec_b64 s[28:29], vcc
	s_xor_b64 s[28:29], exec, s[28:29]
; %bb.2797:                             ;   in Loop: Header=BB12_1245 Depth=2
	v_bfe_u32 v2, v3, 16, 1
	v_add3_u32 v2, v3, v2, s57
                                        ; implicit-def: $vgpr3
; %bb.2798:                             ;   in Loop: Header=BB12_1245 Depth=2
	s_andn2_saveexec_b64 s[28:29], s[28:29]
	s_cbranch_execz .LBB12_2800
; %bb.2799:                             ;   in Loop: Header=BB12_1245 Depth=2
	buffer_load_dword v25, off, s[0:3], s33 offset:128 ; 4-byte Folded Reload
	buffer_load_dword v26, off, s[0:3], s33 offset:132 ; 4-byte Folded Reload
	v_or_b32_e32 v2, 0x10000, v3
	s_waitcnt vmcnt(0)
	v_cmp_eq_u32_sdwa vcc, v3, v25 src0_sel:WORD_0 src1_sel:DWORD
	v_cndmask_b32_e32 v2, v2, v3, vcc
.LBB12_2800:                            ;   in Loop: Header=BB12_1245 Depth=2
	s_or_b64 exec, exec, s[28:29]
	flat_store_short_d16_hi v[0:1], v8 glc slc
	flat_store_short_d16_hi v[0:1], v12 offset:128 glc slc
	flat_store_short_d16_hi v[0:1], v15 offset:256 glc slc
	;; [unrolled: 1-line block ×15, first 2 shown]
.LBB12_2801:                            ;   in Loop: Header=BB12_1245 Depth=2
	s_or_b64 exec, exec, s[40:41]
	buffer_load_dword v0, off, s[0:3], s33 offset:388 ; 4-byte Folded Reload
	buffer_load_dword v6, off, s[0:3], s33 offset:544 ; 4-byte Folded Reload
	;; [unrolled: 1-line block ×10, first 2 shown]
	s_waitcnt vmcnt(0)
	v_lshlrev_b32_e32 v0, 11, v0
	v_cmp_ne_u32_e32 vcc, v6, v0
	s_and_b64 s[28:29], exec, vcc
	s_mov_b64 exec, s[28:29]
	s_cbranch_execz .LBB12_2826
; %bb.2802:                             ;   in Loop: Header=BB12_1245 Depth=2
	v_lshlrev_b32_e32 v1, 6, v9
	v_sub_u32_e32 v1, v2, v1
	v_ashrrev_i32_e32 v2, 31, v1
	v_lshrrev_b32_e32 v2, 26, v2
	v_add_u32_e32 v2, v1, v2
	v_and_b32_e32 v3, 0x7fffffc0, v2
	v_sub_u32_e32 v1, v1, v3
	v_lshlrev_b32_e32 v2, 1, v2
	v_and_b32_e32 v2, 0xffffff80, v2
	v_lshlrev_b32_e32 v1, 1, v1
	v_add3_u32 v0, v2, v1, v0
	v_sub_u32_e32 v2, v6, v0
	v_cmp_lt_i32_e32 vcc, 1, v2
	s_and_b64 exec, exec, vcc
	s_cbranch_execz .LBB12_2826
; %bb.2803:                             ;   in Loop: Header=BB12_1245 Depth=2
	v_add_u32_e32 v3, v0, v10
	s_trap 2
	ds_read_b64 v[7:8], v0
	v_ashrrev_i32_e32 v9, 31, v3
	v_add_co_u32_e32 v0, vcc, v4, v3
	v_addc_co_u32_e32 v1, vcc, v5, v9, vcc
	buffer_load_dword v4, off, s[0:3], s33 offset:500 ; 4-byte Folded Reload
	buffer_load_dword v5, off, s[0:3], s33 offset:504 ; 4-byte Folded Reload
	s_and_b32 s9, s9, 0xff
	s_cmp_eq_u32 s9, 0
	s_mov_b64 s[94:95], 0
	s_mov_b64 s[44:45], 0
	s_cselect_b64 s[28:29], -1, 0
                                        ; implicit-def: $sgpr92_sgpr93
	s_waitcnt vmcnt(0)
	v_add_co_u32_e32 v6, vcc, v3, v4
	v_addc_co_u32_e32 v5, vcc, v9, v5, vcc
	s_waitcnt lgkmcnt(0)
	v_add_co_u32_e32 v4, vcc, v7, v3
	v_addc_co_u32_e32 v3, vcc, v8, v9, vcc
	s_branch .LBB12_2805
.LBB12_2804:                            ;   in Loop: Header=BB12_2805 Depth=3
	s_or_b64 exec, exec, s[40:41]
	v_lshrrev_b32_e32 v7, 16, v8
	buffer_store_short v7, off, s[0:3], s33 offset:64
	flat_store_short v[0:1], v7 glc slc
	buffer_load_dword v9, off, s[0:3], s33 offset:316 ; 4-byte Folded Reload
	buffer_load_dword v10, off, s[0:3], s33 offset:320 ; 4-byte Folded Reload
	;; [unrolled: 1-line block ×4, first 2 shown]
	v_mov_b32_e32 v13, 0x80
	s_waitcnt vmcnt(0)
	v_add_co_u32_e32 v7, vcc, v6, v9
	v_cndmask_b32_e64 v6, v6, v7, s[94:95]
	buffer_load_dword v7, off, s[0:3], s33 offset:280 ; 4-byte Folded Reload
	v_addc_co_u32_e32 v8, vcc, v5, v10, vcc
	v_add_co_u32_e32 v9, vcc, v4, v9
	v_addc_co_u32_e32 v10, vcc, v3, v10, vcc
	v_cndmask_b32_e64 v12, v13, v12, s[94:95]
	v_cndmask_b32_e64 v11, 0, v11, s[94:95]
	v_add_co_u32_e32 v0, vcc, v0, v12
	v_addc_co_u32_e32 v1, vcc, v1, v11, vcc
	v_cndmask_b32_e64 v3, v3, v10, s[94:95]
	v_cndmask_b32_e64 v4, v4, v9, s[94:95]
	;; [unrolled: 1-line block ×3, first 2 shown]
	s_waitcnt vmcnt(0)
	v_cndmask_b32_e64 v7, 0, v7, s[94:95]
	v_sub_u32_e32 v2, v2, v7
	v_cmp_gt_i32_e32 vcc, 2, v2
	s_or_b64 s[44:45], vcc, s[44:45]
	s_andn2_b64 s[40:41], s[92:93], exec
	s_and_b64 s[92:93], s[94:95], exec
	s_or_b64 s[92:93], s[40:41], s[92:93]
	s_andn2_b64 exec, exec, s[44:45]
	s_cbranch_execz .LBB12_2820
.LBB12_2805:                            ;   Parent Loop BB12_47 Depth=1
                                        ;     Parent Loop BB12_1245 Depth=2
                                        ; =>    This Loop Header: Depth=3
                                        ;         Child Loop BB12_2806 Depth 4
                                        ;         Child Loop BB12_2815 Depth 4
	s_lshr_b32 s9, s33, 6
	s_add_i32 s9, s9, 64
	s_mov_b64 s[30:31], -1
	s_mov_b64 s[34:35], 0
.LBB12_2806:                            ;   Parent Loop BB12_47 Depth=1
                                        ;     Parent Loop BB12_1245 Depth=2
                                        ;       Parent Loop BB12_2805 Depth=3
                                        ; =>      This Inner Loop Header: Depth=4
	s_cmp_eq_u32 s34, 1
	s_cselect_b64 s[40:41], -1, 0
	v_cndmask_b32_e64 v8, v5, v3, s[40:41]
	v_cndmask_b32_e64 v7, v6, v4, s[40:41]
	flat_load_ushort v9, v[7:8] glc slc
	v_add_co_u32_e32 v7, vcc, 0x80, v7
	v_addc_co_u32_e32 v8, vcc, 0, v8, vcc
	s_cmp_eq_u32 s34, 0
	v_mov_b32_e32 v10, s9
	s_cselect_b64 vcc, -1, 0
	s_lshr_b32 s9, s33, 6
	s_addk_i32 s9, 0x60
	v_cndmask_b32_e64 v3, v3, v8, s[40:41]
	v_cndmask_b32_e64 v4, v4, v7, s[40:41]
	v_cndmask_b32_e32 v5, v5, v8, vcc
	v_cndmask_b32_e32 v6, v6, v7, vcc
	s_mov_b64 s[34:35], 1
	s_and_b64 vcc, exec, s[30:31]
	s_mov_b64 s[30:31], 0
	s_waitcnt vmcnt(0) lgkmcnt(0)
	buffer_store_short v9, v10, s[0:3], 0 offen
	s_cbranch_vccnz .LBB12_2806
; %bb.2807:                             ;   in Loop: Header=BB12_2805 Depth=3
	s_and_saveexec_b64 s[40:41], s[94:95]
	s_cbranch_execz .LBB12_2813
; %bb.2808:                             ;   in Loop: Header=BB12_2805 Depth=3
	buffer_load_ushort v7, off, s[0:3], s33 offset:56
	buffer_load_ushort v8, off, s[0:3], s33 offset:58
	s_waitcnt vmcnt(1)
	v_lshlrev_b32_e32 v7, 16, v7
	s_waitcnt vmcnt(0)
	v_lshlrev_b32_e32 v8, 16, v8
	v_max_f32_e32 v8, v8, v8
	v_max_f32_e32 v7, v7, v7
	v_min_f32_e32 v9, v7, v8
	v_max_f32_e32 v7, v7, v8
	v_cndmask_b32_e64 v7, v7, v9, s[28:29]
	v_and_b32_e32 v8, 0x7f800000, v7
	v_cmp_ne_u32_e32 vcc, s56, v8
                                        ; implicit-def: $vgpr8
	s_and_saveexec_b64 s[94:95], vcc
	s_xor_b64 s[94:95], exec, s[94:95]
; %bb.2809:                             ;   in Loop: Header=BB12_2805 Depth=3
	v_bfe_u32 v8, v7, 16, 1
	v_add3_u32 v8, v7, v8, s57
                                        ; implicit-def: $vgpr7
; %bb.2810:                             ;   in Loop: Header=BB12_2805 Depth=3
	s_andn2_saveexec_b64 s[94:95], s[94:95]
	s_cbranch_execz .LBB12_2812
; %bb.2811:                             ;   in Loop: Header=BB12_2805 Depth=3
	buffer_load_dword v9, off, s[0:3], s33 offset:128 ; 4-byte Folded Reload
	buffer_load_dword v10, off, s[0:3], s33 offset:132 ; 4-byte Folded Reload
	v_or_b32_e32 v8, 0x10000, v7
	s_waitcnt vmcnt(1)
	v_cmp_eq_u32_sdwa vcc, v7, v9 src0_sel:WORD_0 src1_sel:DWORD
	v_cndmask_b32_e32 v8, v8, v7, vcc
.LBB12_2812:                            ;   in Loop: Header=BB12_2805 Depth=3
	s_or_b64 exec, exec, s[94:95]
	v_lshrrev_b32_e32 v7, 16, v8
	buffer_store_short v7, off, s[0:3], s33 offset:56
	flat_store_short v[0:1], v7 glc slc
	buffer_load_dword v7, off, s[0:3], s33 offset:324 ; 4-byte Folded Reload
	s_waitcnt vmcnt(0)
	v_add_co_u32_e32 v0, vcc, v0, v7
	buffer_load_dword v7, off, s[0:3], s33 offset:328 ; 4-byte Folded Reload
	s_waitcnt vmcnt(0)
	v_addc_co_u32_e32 v1, vcc, v1, v7, vcc
.LBB12_2813:                            ;   in Loop: Header=BB12_2805 Depth=3
	s_or_b64 exec, exec, s[40:41]
	buffer_load_dword v7, off, s[0:3], s33 offset:316 ; 4-byte Folded Reload
	buffer_load_dword v8, off, s[0:3], s33 offset:320 ; 4-byte Folded Reload
	s_waitcnt vmcnt(0)
	v_add_co_u32_e32 v6, vcc, v6, v7
	v_addc_co_u32_e32 v5, vcc, v5, v8, vcc
	v_add_co_u32_e32 v4, vcc, v4, v7
	buffer_load_dword v7, off, s[0:3], s33 offset:280 ; 4-byte Folded Reload
	v_addc_co_u32_e32 v3, vcc, v3, v8, vcc
	s_waitcnt vmcnt(0)
	v_sub_u32_e32 v2, v2, v7
	v_cmp_lt_i32_e64 s[94:95], 1, v2
	s_and_saveexec_b64 s[30:31], s[94:95]
	s_cbranch_execz .LBB12_2816
; %bb.2814:                             ;   in Loop: Header=BB12_2805 Depth=3
	s_lshr_b32 s9, s33, 6
	s_add_i32 s9, s9, 56
	s_mov_b64 s[36:37], 0
	s_mov_b64 s[34:35], -1
.LBB12_2815:                            ;   Parent Loop BB12_47 Depth=1
                                        ;     Parent Loop BB12_1245 Depth=2
                                        ;       Parent Loop BB12_2805 Depth=3
                                        ; =>      This Inner Loop Header: Depth=4
	s_cmp_eq_u32 s36, 1
	s_cselect_b64 s[40:41], -1, 0
	v_cndmask_b32_e64 v8, v5, v3, s[40:41]
	v_cndmask_b32_e64 v7, v6, v4, s[40:41]
	flat_load_ushort v9, v[7:8] glc slc
	v_add_co_u32_e32 v7, vcc, 0x80, v7
	v_addc_co_u32_e32 v8, vcc, 0, v8, vcc
	s_cmp_eq_u32 s36, 0
	v_mov_b32_e32 v10, s9
	s_cselect_b64 vcc, -1, 0
	s_lshr_b32 s9, s33, 6
	s_add_i32 s9, s9, 58
	v_cndmask_b32_e32 v5, v5, v8, vcc
	v_cndmask_b32_e32 v6, v6, v7, vcc
	v_cndmask_b32_e64 v3, v3, v8, s[40:41]
	v_cndmask_b32_e64 v4, v4, v7, s[40:41]
	s_mov_b64 s[36:37], 1
	s_and_b64 vcc, exec, s[34:35]
	s_mov_b64 s[34:35], 0
	s_waitcnt vmcnt(0) lgkmcnt(0)
	buffer_store_short v9, v10, s[0:3], 0 offen
	s_cbranch_vccnz .LBB12_2815
.LBB12_2816:                            ;   in Loop: Header=BB12_2805 Depth=3
	s_or_b64 exec, exec, s[30:31]
	buffer_load_ushort v7, off, s[0:3], s33 offset:64
	buffer_load_ushort v8, off, s[0:3], s33 offset:96
	s_waitcnt vmcnt(0)
	v_lshlrev_b32_e32 v7, 16, v7
	v_lshlrev_b32_e32 v8, 16, v8
	v_max_f32_e32 v8, v8, v8
	v_max_f32_e32 v7, v7, v7
	v_min_f32_e32 v9, v7, v8
	v_max_f32_e32 v7, v7, v8
	v_cndmask_b32_e64 v7, v7, v9, s[28:29]
	v_and_b32_e32 v8, 0x7f800000, v7
	v_cmp_ne_u32_e32 vcc, s56, v8
                                        ; implicit-def: $vgpr8
	s_and_saveexec_b64 s[40:41], vcc
	s_xor_b64 s[40:41], exec, s[40:41]
; %bb.2817:                             ;   in Loop: Header=BB12_2805 Depth=3
	v_bfe_u32 v8, v7, 16, 1
	v_add3_u32 v8, v7, v8, s57
                                        ; implicit-def: $vgpr7
; %bb.2818:                             ;   in Loop: Header=BB12_2805 Depth=3
	s_andn2_saveexec_b64 s[40:41], s[40:41]
	s_cbranch_execz .LBB12_2804
; %bb.2819:                             ;   in Loop: Header=BB12_2805 Depth=3
	buffer_load_dword v9, off, s[0:3], s33 offset:128 ; 4-byte Folded Reload
	buffer_load_dword v10, off, s[0:3], s33 offset:132 ; 4-byte Folded Reload
	v_or_b32_e32 v8, 0x10000, v7
	s_waitcnt vmcnt(0)
	v_cmp_eq_u32_sdwa vcc, v7, v9 src0_sel:WORD_0 src1_sel:DWORD
	v_cndmask_b32_e32 v8, v8, v7, vcc
	s_branch .LBB12_2804
.LBB12_2820:                            ;   in Loop: Header=BB12_1245 Depth=2
	s_or_b64 exec, exec, s[44:45]
	s_and_b64 exec, exec, s[92:93]
	s_cbranch_execz .LBB12_2826
; %bb.2821:                             ;   in Loop: Header=BB12_1245 Depth=2
	buffer_load_ushort v2, off, s[0:3], s33 offset:56
	buffer_load_ushort v3, off, s[0:3], s33 offset:58
	s_waitcnt vmcnt(0)
	v_lshlrev_b32_e32 v2, 16, v2
	v_lshlrev_b32_e32 v3, 16, v3
	v_max_f32_e32 v3, v3, v3
	v_max_f32_e32 v2, v2, v2
	v_min_f32_e32 v4, v2, v3
	v_max_f32_e32 v2, v2, v3
	v_cndmask_b32_e64 v2, v2, v4, s[28:29]
	v_and_b32_e32 v3, 0x7f800000, v2
	v_cmp_ne_u32_e32 vcc, s56, v3
                                        ; implicit-def: $vgpr3
	s_and_saveexec_b64 s[28:29], vcc
	s_xor_b64 s[28:29], exec, s[28:29]
; %bb.2822:                             ;   in Loop: Header=BB12_1245 Depth=2
	v_bfe_u32 v3, v2, 16, 1
	v_add3_u32 v3, v2, v3, s57
                                        ; implicit-def: $vgpr2
; %bb.2823:                             ;   in Loop: Header=BB12_1245 Depth=2
	s_andn2_saveexec_b64 s[28:29], s[28:29]
	s_cbranch_execz .LBB12_2825
; %bb.2824:                             ;   in Loop: Header=BB12_1245 Depth=2
	buffer_load_dword v4, off, s[0:3], s33 offset:128 ; 4-byte Folded Reload
	buffer_load_dword v5, off, s[0:3], s33 offset:132 ; 4-byte Folded Reload
	v_or_b32_e32 v3, 0x10000, v2
	s_waitcnt vmcnt(0)
	v_cmp_eq_u32_sdwa vcc, v2, v4 src0_sel:WORD_0 src1_sel:DWORD
	v_cndmask_b32_e32 v3, v3, v2, vcc
.LBB12_2825:                            ;   in Loop: Header=BB12_1245 Depth=2
	s_or_b64 exec, exec, s[28:29]
	flat_store_short_d16_hi v[0:1], v3 glc slc
.LBB12_2826:                            ;   in Loop: Header=BB12_1245 Depth=2
	s_or_b64 exec, exec, s[42:43]
	v_cmp_lt_i32_e64 s[28:29], 0, v54
	s_and_saveexec_b64 s[40:41], s[10:11]
	s_cbranch_execz .LBB12_2845
.LBB12_2827:                            ;   in Loop: Header=BB12_1245 Depth=2
	s_and_saveexec_b64 s[42:43], s[58:59]
	s_xor_b64 s[42:43], exec, s[42:43]
	s_cbranch_execz .LBB12_2842
; %bb.2828:                             ;   in Loop: Header=BB12_1245 Depth=2
	s_and_saveexec_b64 s[44:45], s[16:17]
	s_cbranch_execz .LBB12_2841
; %bb.2829:                             ;   in Loop: Header=BB12_1245 Depth=2
	s_mov_b64 s[94:95], exec
	s_waitcnt vmcnt(0)
	v_mbcnt_lo_u32_b32 v0, s94, 0
	v_mbcnt_hi_u32_b32 v0, s95, v0
	v_cmp_eq_u32_e32 vcc, 0, v0
	s_waitcnt lgkmcnt(0)
	buffer_wbinvl1_vol
	s_and_saveexec_b64 s[92:93], vcc
	s_cbranch_execz .LBB12_2831
; %bb.2830:                             ;   in Loop: Header=BB12_1245 Depth=2
	buffer_load_dword v1, off, s[0:3], s33 offset:128 ; 4-byte Folded Reload
	buffer_load_dword v2, off, s[0:3], s33 offset:132 ; 4-byte Folded Reload
	s_bcnt1_i32_b64 s9, s[94:95]
	v_mov_b32_e32 v0, s9
	s_waitcnt vmcnt(1)
	ds_add_u64 v0, v[0:1]
	s_trap 2
.LBB12_2831:                            ;   in Loop: Header=BB12_1245 Depth=2
	s_or_b64 exec, exec, s[92:93]
	s_trap 2
	ds_read_b64 v[0:1], v0
	s_waitcnt lgkmcnt(0)
	buffer_load_dword v2, off, s[0:3], s33 offset:152 ; 4-byte Folded Reload
	buffer_load_dword v3, off, s[0:3], s33 offset:160 ; 4-byte Folded Reload
	;; [unrolled: 1-line block ×3, first 2 shown]
	s_waitcnt vmcnt(1)
	v_add_co_u32_e32 v3, vcc, v3, v2
	s_waitcnt vmcnt(0)
	v_addc_co_u32_e32 v4, vcc, 0, v4, vcc
	buffer_store_dword v3, off, s[0:3], s33 offset:160 ; 4-byte Folded Spill
	s_nop 0
	buffer_store_dword v4, off, s[0:3], s33 offset:164 ; 4-byte Folded Spill
	v_cmp_lt_u64_e32 vcc, v[0:1], v[3:4]
	s_and_saveexec_b64 s[92:93], vcc
	s_cbranch_execz .LBB12_2840
; %bb.2832:                             ;   in Loop: Header=BB12_1245 Depth=2
	s_mov_b32 s9, 0
	s_mov_b64 s[94:95], 0
                                        ; implicit-def: $sgpr30_sgpr31
                                        ; implicit-def: $sgpr34_sgpr35
	s_branch .LBB12_2834
.LBB12_2833:                            ;   in Loop: Header=BB12_2834 Depth=3
	s_or_b64 exec, exec, s[38:39]
	s_and_b64 vcc, exec, vcc
	s_or_b64 s[94:95], vcc, s[94:95]
	s_andn2_b64 vcc, s[30:31], exec
	s_and_b64 s[30:31], s[34:35], exec
	s_or_b64 s[30:31], vcc, s[30:31]
	s_andn2_b64 exec, exec, s[94:95]
	s_cbranch_execz .LBB12_2838
.LBB12_2834:                            ;   Parent Loop BB12_47 Depth=1
                                        ;     Parent Loop BB12_1245 Depth=2
                                        ; =>    This Inner Loop Header: Depth=3
	s_add_i32 s9, s9, 1
	s_cmpk_lg_i32 s9, 0x2710
	s_cselect_b64 s[36:37], -1, 0
	s_and_b64 vcc, exec, s[36:37]
	s_cbranch_vccz .LBB12_2836
; %bb.2835:                             ;   in Loop: Header=BB12_2834 Depth=3
	s_mov_b64 vcc, -1
	s_or_b64 s[34:35], s[34:35], exec
	s_and_saveexec_b64 s[38:39], s[36:37]
	s_cbranch_execz .LBB12_2833
	s_branch .LBB12_2837
.LBB12_2836:                            ;   in Loop: Header=BB12_2834 Depth=3
	s_trap 2
	ds_read_b64 v[0:1], v0
	s_andn2_b64 s[36:37], s[36:37], exec
	s_mov_b32 s9, 0
	s_waitcnt vmcnt(0) lgkmcnt(0)
	flat_load_dword v0, v[0:1] glc
	s_waitcnt vmcnt(0) lgkmcnt(0)
	buffer_wbinvl1_vol
	v_cmp_eq_u32_e32 vcc, 0, v0
	s_and_b64 vcc, vcc, exec
	s_or_b64 s[36:37], s[36:37], vcc
	s_mov_b64 vcc, -1
	s_or_b64 s[34:35], s[34:35], exec
	s_and_saveexec_b64 s[38:39], s[36:37]
	s_cbranch_execz .LBB12_2833
.LBB12_2837:                            ;   in Loop: Header=BB12_2834 Depth=3
	s_sleep 1
	s_trap 2
	ds_read_b64 v[0:1], v0
	s_waitcnt lgkmcnt(0)
	buffer_load_dword v2, off, s[0:3], s33 offset:160 ; 4-byte Folded Reload
	buffer_load_dword v3, off, s[0:3], s33 offset:164 ; 4-byte Folded Reload
	s_andn2_b64 s[34:35], s[34:35], exec
	s_waitcnt vmcnt(0)
	v_cmp_ge_u64_e32 vcc, v[0:1], v[2:3]
	s_orn2_b64 vcc, vcc, exec
	s_branch .LBB12_2833
.LBB12_2838:                            ;   in Loop: Header=BB12_1245 Depth=2
	s_or_b64 exec, exec, s[94:95]
	s_and_saveexec_b64 s[94:95], s[30:31]
	s_xor_b64 s[94:95], exec, s[94:95]
	s_cbranch_execz .LBB12_2840
; %bb.2839:                             ;   in Loop: Header=BB12_1245 Depth=2
	v_mov_b32_e32 v0, 1
	ds_write_b32 v0, v0
	s_trap 2
.LBB12_2840:                            ;   in Loop: Header=BB12_1245 Depth=2
	s_or_b64 exec, exec, s[92:93]
	;;#ASMSTART
	s_wakeup
	;;#ASMEND
.LBB12_2841:                            ;   in Loop: Header=BB12_1245 Depth=2
	s_or_b64 exec, exec, s[44:45]
.LBB12_2842:                            ;   in Loop: Header=BB12_1245 Depth=2
	s_andn2_saveexec_b64 s[42:43], s[42:43]
	s_cbranch_execz .LBB12_2844
; %bb.2843:                             ;   in Loop: Header=BB12_1245 Depth=2
	s_waitcnt vmcnt(0) lgkmcnt(0)
	buffer_wbinvl1_vol
	s_barrier
.LBB12_2844:                            ;   in Loop: Header=BB12_1245 Depth=2
	s_or_b64 exec, exec, s[42:43]
.LBB12_2845:                            ;   in Loop: Header=BB12_1245 Depth=2
	s_or_b64 exec, exec, s[40:41]
	buffer_load_dword v0, off, s[0:3], s33 offset:156 ; 4-byte Folded Reload
	s_waitcnt vmcnt(0)
	v_and_b32_e32 v0, 16, v0
	s_and_saveexec_b64 s[40:41], s[24:25]
	s_xor_b64 s[40:41], exec, s[40:41]
	s_cbranch_execz .LBB12_2849
; %bb.2846:                             ;   in Loop: Header=BB12_1245 Depth=2
	buffer_load_dword v1, off, s[0:3], s33 offset:156 ; 4-byte Folded Reload
	s_waitcnt vmcnt(0)
	v_and_b32_e32 v0, 16, v1
	v_and_b32_e32 v1, 16, v1
	v_cmp_ne_u32_e32 vcc, 0, v1
	s_and_b64 s[42:43], vcc, s[28:29]
	s_and_saveexec_b64 s[28:29], s[42:43]
	s_cbranch_execz .LBB12_2848
; %bb.2847:                             ;   in Loop: Header=BB12_1245 Depth=2
	v_mov_b32_e32 v0, 1
	s_waitcnt lgkmcnt(0)
	buffer_wbinvl1_vol
.LBB12_2848:                            ;   in Loop: Header=BB12_1245 Depth=2
	s_or_b64 exec, exec, s[28:29]
.LBB12_2849:                            ;   in Loop: Header=BB12_1245 Depth=2
	s_andn2_saveexec_b64 s[28:29], s[40:41]
	s_cbranch_execz .LBB12_2868
; %bb.2850:                             ;   in Loop: Header=BB12_1245 Depth=2
	s_and_saveexec_b64 s[40:41], s[58:59]
	s_xor_b64 s[40:41], exec, s[40:41]
	s_cbranch_execz .LBB12_2865
; %bb.2851:                             ;   in Loop: Header=BB12_1245 Depth=2
	s_and_saveexec_b64 s[42:43], s[16:17]
	s_cbranch_execz .LBB12_2864
; %bb.2852:                             ;   in Loop: Header=BB12_1245 Depth=2
	s_mov_b64 s[92:93], exec
	v_mbcnt_lo_u32_b32 v1, s92, 0
	v_mbcnt_hi_u32_b32 v1, s93, v1
	v_cmp_eq_u32_e32 vcc, 0, v1
	;;#ASMSTART
	s_waitcnt lgkmcnt(0) vmcnt(0)
	;;#ASMEND
	s_and_saveexec_b64 s[44:45], vcc
	s_cbranch_execz .LBB12_2854
; %bb.2853:                             ;   in Loop: Header=BB12_1245 Depth=2
	buffer_load_dword v2, off, s[0:3], s33 offset:128 ; 4-byte Folded Reload
	buffer_load_dword v3, off, s[0:3], s33 offset:132 ; 4-byte Folded Reload
	s_bcnt1_i32_b64 s9, s[92:93]
	v_mov_b32_e32 v1, s9
	s_waitcnt vmcnt(0) lgkmcnt(0)
	ds_add_u64 v0, v[1:2]
	s_trap 2
.LBB12_2854:                            ;   in Loop: Header=BB12_1245 Depth=2
	s_or_b64 exec, exec, s[44:45]
	s_trap 2
	ds_read_b64 v[1:2], v0
	s_waitcnt lgkmcnt(0)
	buffer_load_dword v3, off, s[0:3], s33 offset:152 ; 4-byte Folded Reload
	buffer_load_dword v4, off, s[0:3], s33 offset:160 ; 4-byte Folded Reload
	buffer_load_dword v5, off, s[0:3], s33 offset:164 ; 4-byte Folded Reload
	s_waitcnt vmcnt(1)
	v_add_co_u32_e32 v4, vcc, v4, v3
	s_waitcnt vmcnt(0)
	v_addc_co_u32_e32 v5, vcc, 0, v5, vcc
	buffer_store_dword v4, off, s[0:3], s33 offset:160 ; 4-byte Folded Spill
	s_nop 0
	buffer_store_dword v5, off, s[0:3], s33 offset:164 ; 4-byte Folded Spill
	v_cmp_lt_u64_e32 vcc, v[1:2], v[4:5]
	s_and_saveexec_b64 s[44:45], vcc
	s_cbranch_execz .LBB12_2863
; %bb.2855:                             ;   in Loop: Header=BB12_1245 Depth=2
	s_mov_b32 s9, 0
	s_mov_b64 s[92:93], 0
                                        ; implicit-def: $sgpr94_sgpr95
                                        ; implicit-def: $sgpr30_sgpr31
	s_branch .LBB12_2857
.LBB12_2856:                            ;   in Loop: Header=BB12_2857 Depth=3
	s_or_b64 exec, exec, s[36:37]
	s_and_b64 vcc, exec, vcc
	s_or_b64 s[92:93], vcc, s[92:93]
	s_andn2_b64 s[94:95], s[94:95], exec
	s_and_b64 vcc, s[30:31], exec
	s_or_b64 s[94:95], s[94:95], vcc
	s_andn2_b64 exec, exec, s[92:93]
	s_cbranch_execz .LBB12_2861
.LBB12_2857:                            ;   Parent Loop BB12_47 Depth=1
                                        ;     Parent Loop BB12_1245 Depth=2
                                        ; =>    This Inner Loop Header: Depth=3
	s_add_i32 s9, s9, 1
	s_cmpk_lg_i32 s9, 0x2710
	s_cselect_b64 s[34:35], -1, 0
	s_and_b64 vcc, exec, s[34:35]
	s_cbranch_vccz .LBB12_2859
; %bb.2858:                             ;   in Loop: Header=BB12_2857 Depth=3
	s_mov_b64 vcc, -1
	s_or_b64 s[30:31], s[30:31], exec
	s_and_saveexec_b64 s[36:37], s[34:35]
	s_cbranch_execz .LBB12_2856
	s_branch .LBB12_2860
.LBB12_2859:                            ;   in Loop: Header=BB12_2857 Depth=3
	s_trap 2
	ds_read_b64 v[1:2], v0
	s_andn2_b64 s[34:35], s[34:35], exec
	s_mov_b32 s9, 0
	s_waitcnt vmcnt(0) lgkmcnt(0)
	flat_load_dword v1, v[1:2] glc
	s_waitcnt vmcnt(0) lgkmcnt(0)
	buffer_wbinvl1_vol
	v_cmp_eq_u32_e32 vcc, 0, v1
	s_and_b64 vcc, vcc, exec
	s_or_b64 s[34:35], s[34:35], vcc
	s_mov_b64 vcc, -1
	s_or_b64 s[30:31], s[30:31], exec
	s_and_saveexec_b64 s[36:37], s[34:35]
	s_cbranch_execz .LBB12_2856
.LBB12_2860:                            ;   in Loop: Header=BB12_2857 Depth=3
	s_sleep 1
	s_trap 2
	ds_read_b64 v[1:2], v0
	s_waitcnt lgkmcnt(0)
	buffer_load_dword v3, off, s[0:3], s33 offset:160 ; 4-byte Folded Reload
	buffer_load_dword v4, off, s[0:3], s33 offset:164 ; 4-byte Folded Reload
	s_andn2_b64 s[30:31], s[30:31], exec
	s_waitcnt vmcnt(0)
	v_cmp_ge_u64_e32 vcc, v[1:2], v[3:4]
	s_orn2_b64 vcc, vcc, exec
	s_branch .LBB12_2856
.LBB12_2861:                            ;   in Loop: Header=BB12_1245 Depth=2
	s_or_b64 exec, exec, s[92:93]
	s_and_saveexec_b64 s[92:93], s[94:95]
	s_xor_b64 s[92:93], exec, s[92:93]
	s_cbranch_execz .LBB12_2863
; %bb.2862:                             ;   in Loop: Header=BB12_1245 Depth=2
	v_mov_b32_e32 v1, 1
	ds_write_b32 v0, v1
	s_trap 2
.LBB12_2863:                            ;   in Loop: Header=BB12_1245 Depth=2
	s_or_b64 exec, exec, s[44:45]
	;;#ASMSTART
	s_wakeup
	;;#ASMEND
.LBB12_2864:                            ;   in Loop: Header=BB12_1245 Depth=2
	s_or_b64 exec, exec, s[42:43]
.LBB12_2865:                            ;   in Loop: Header=BB12_1245 Depth=2
	s_andn2_saveexec_b64 s[40:41], s[40:41]
	s_cbranch_execz .LBB12_2867
; %bb.2866:                             ;   in Loop: Header=BB12_1245 Depth=2
	;;#ASMSTART
	s_waitcnt lgkmcnt(0) vmcnt(0)
	;;#ASMEND
	s_waitcnt vmcnt(0) lgkmcnt(0)
	s_barrier
.LBB12_2867:                            ;   in Loop: Header=BB12_1245 Depth=2
	s_or_b64 exec, exec, s[40:41]
.LBB12_2868:                            ;   in Loop: Header=BB12_1245 Depth=2
	s_or_b64 exec, exec, s[28:29]
	v_cmp_ne_u32_e32 vcc, 0, v0
	s_xor_b64 s[28:29], s[12:13], -1
	s_and_b64 s[40:41], vcc, s[28:29]
	s_and_saveexec_b64 s[28:29], s[40:41]
	s_cbranch_execz .LBB12_2870
; %bb.2869:                             ;   in Loop: Header=BB12_1245 Depth=2
	buffer_load_dword v0, off, s[0:3], s33 offset:428 ; 4-byte Folded Reload
	buffer_load_dword v1, off, s[0:3], s33 offset:432 ; 4-byte Folded Reload
	v_mov_b32_e32 v2, 1
	s_waitcnt vmcnt(0)
	flat_store_dword v[0:1], v2
.LBB12_2870:                            ;   in Loop: Header=BB12_1245 Depth=2
	s_or_b64 exec, exec, s[28:29]
	buffer_load_dword v0, off, s[0:3], s33 offset:156 ; 4-byte Folded Reload
	s_waitcnt vmcnt(0)
	v_and_b32_e32 v0, 48, v0
	v_cmp_ne_u32_e32 vcc, 0, v0
	s_and_saveexec_b64 s[28:29], vcc
	s_cbranch_execz .LBB12_1244
; %bb.2871:                             ;   in Loop: Header=BB12_1245 Depth=2
	buffer_load_dword v2, off, s[0:3], s33 offset:256 ; 4-byte Folded Reload
	buffer_load_dword v3, off, s[0:3], s33 offset:260 ; 4-byte Folded Reload
	;; [unrolled: 1-line block ×4, first 2 shown]
	s_waitcnt vmcnt(0)
	v_add_co_u32_e32 v2, vcc, 2, v2
	v_addc_co_u32_e32 v3, vcc, 0, v3, vcc
	buffer_store_dword v2, off, s[0:3], s33 offset:256 ; 4-byte Folded Spill
	s_nop 0
	buffer_store_dword v3, off, s[0:3], s33 offset:260 ; 4-byte Folded Spill
	flat_store_dwordx2 v[0:1], v[2:3]
	s_branch .LBB12_1244
.LBB12_2872:                            ;   in Loop: Header=BB12_47 Depth=1
	s_or_b64 exec, exec, s[78:79]
	v_cmp_gt_i32_e32 vcc, 2, v2
	s_and_saveexec_b64 s[40:41], vcc
	s_cbranch_execz .LBB12_2948
.LBB12_2873:                            ;   in Loop: Header=BB12_47 Depth=1
	v_cmp_eq_u32_e64 s[44:45], 0, v2
	s_mov_b64 s[42:43], 0
	s_branch .LBB12_2875
.LBB12_2874:                            ;   in Loop: Header=BB12_2875 Depth=2
	s_or_b64 exec, exec, s[28:29]
	v_add_u32_e32 v51, v49, v51
	s_mov_b64 s[44:45], 0
	s_andn2_b64 exec, exec, s[42:43]
	s_cbranch_execz .LBB12_2949
.LBB12_2875:                            ;   Parent Loop BB12_47 Depth=1
                                        ; =>  This Loop Header: Depth=2
                                        ;       Child Loop BB12_2881 Depth 3
                                        ;       Child Loop BB12_2909 Depth 3
	;; [unrolled: 1-line block ×3, first 2 shown]
	v_sub_u32_e32 v0, v48, v51
	v_min_i32_e32 v49, v49, v0
	buffer_load_dword v0, off, s[0:3], s33 offset:156 ; 4-byte Folded Reload
	s_waitcnt vmcnt(0)
	v_and_b32_e32 v0, 12, v0
	v_cmp_ne_u32_e32 vcc, 0, v0
	s_and_saveexec_b64 s[78:79], vcc
	s_cbranch_execz .LBB12_2901
; %bb.2876:                             ;   in Loop: Header=BB12_2875 Depth=2
	buffer_load_dword v0, off, s[0:3], s33 offset:156 ; 4-byte Folded Reload
	s_waitcnt vmcnt(0)
	v_and_b32_e32 v6, 8, v0
	buffer_load_dword v0, off, s[0:3], s33 offset:136 ; 4-byte Folded Reload
	buffer_load_dword v1, off, s[0:3], s33 offset:140 ; 4-byte Folded Reload
	s_waitcnt vmcnt(0)
	v_add_co_u32_e32 v2, vcc, v0, v6
	v_addc_co_u32_e32 v3, vcc, 0, v1, vcc
	buffer_load_dword v0, off, s[0:3], s33 offset:256 ; 4-byte Folded Reload
	buffer_load_dword v1, off, s[0:3], s33 offset:260 ; 4-byte Folded Reload
	s_waitcnt vmcnt(0)
	v_add_co_u32_e32 v0, vcc, 2, v0
	v_addc_co_u32_e32 v1, vcc, 0, v1, vcc
	v_cmp_lt_u64_e32 vcc, v[2:3], v[0:1]
	s_and_saveexec_b64 s[88:89], vcc
	s_cbranch_execz .LBB12_2888
; %bb.2877:                             ;   in Loop: Header=BB12_2875 Depth=2
	buffer_load_dword v2, off, s[0:3], s33 offset:156 ; 4-byte Folded Reload
	s_mov_b32 s9, 0
	s_mov_b64 s[90:91], 0
                                        ; implicit-def: $sgpr92_sgpr93
                                        ; implicit-def: $sgpr94_sgpr95
                                        ; implicit-def: $sgpr30_sgpr31
	s_waitcnt vmcnt(0)
	v_and_b32_e32 v2, 64, v2
	v_cmp_eq_u32_e32 vcc, 0, v2
	s_branch .LBB12_2881
.LBB12_2878:                            ;   in Loop: Header=BB12_2881 Depth=3
	buffer_load_dword v3, off, s[0:3], s33 offset:136 ; 4-byte Folded Reload
	buffer_load_dword v4, off, s[0:3], s33 offset:140 ; 4-byte Folded Reload
	s_or_b64 s[38:39], s[38:39], exec
	s_waitcnt vmcnt(1)
	v_add_co_u32_e64 v3, s[28:29], v3, v6
	s_waitcnt vmcnt(0)
	v_addc_co_u32_e64 v4, s[28:29], 0, v4, s[28:29]
	v_cmp_ge_u64_e64 s[28:29], v[3:4], v[0:1]
	s_orn2_b64 s[36:37], s[28:29], exec
.LBB12_2879:                            ;   in Loop: Header=BB12_2881 Depth=3
	s_or_b64 exec, exec, s[50:51]
	s_andn2_b64 s[28:29], s[30:31], exec
	s_and_b64 s[30:31], s[38:39], exec
	s_or_b64 s[30:31], s[28:29], s[30:31]
	s_andn2_b64 s[28:29], s[94:95], exec
	s_and_b64 s[94:95], s[36:37], exec
	s_or_b64 s[94:95], s[28:29], s[94:95]
.LBB12_2880:                            ;   in Loop: Header=BB12_2881 Depth=3
	s_or_b64 exec, exec, s[34:35]
	s_and_b64 s[28:29], exec, s[94:95]
	s_or_b64 s[90:91], s[28:29], s[90:91]
	s_andn2_b64 s[28:29], s[92:93], exec
	s_and_b64 s[92:93], s[30:31], exec
	s_or_b64 s[92:93], s[28:29], s[92:93]
	s_andn2_b64 exec, exec, s[90:91]
	s_cbranch_execz .LBB12_2885
.LBB12_2881:                            ;   Parent Loop BB12_47 Depth=1
                                        ;     Parent Loop BB12_2875 Depth=2
                                        ; =>    This Inner Loop Header: Depth=3
	s_sleep 1
	buffer_load_dword v2, off, s[0:3], s33 offset:144 ; 4-byte Folded Reload
	buffer_load_dword v3, off, s[0:3], s33 offset:148 ; 4-byte Folded Reload
	s_or_b64 s[30:31], s[30:31], exec
	s_or_b64 s[94:95], s[94:95], exec
	s_waitcnt vmcnt(0)
	flat_load_dwordx2 v[2:3], v[2:3] glc
	s_waitcnt vmcnt(0) lgkmcnt(0)
	buffer_store_dword v2, off, s[0:3], s33 offset:136 ; 4-byte Folded Spill
	s_nop 0
	buffer_store_dword v3, off, s[0:3], s33 offset:140 ; 4-byte Folded Spill
                                        ; implicit-def: $vgpr2
	s_and_saveexec_b64 s[34:35], vcc
	s_cbranch_execz .LBB12_2880
; %bb.2882:                             ;   in Loop: Header=BB12_2881 Depth=3
	s_cmpk_lt_i32 s9, 0x270f
	s_cselect_b64 s[48:49], -1, 0
	s_cmpk_gt_i32 s9, 0x270e
	s_mov_b64 s[36:37], -1
	s_cbranch_scc0 .LBB12_2884
; %bb.2883:                             ;   in Loop: Header=BB12_2881 Depth=3
	s_trap 2
	ds_read_b64 v[2:3], v0
	s_andn2_b64 s[48:49], s[48:49], exec
	s_mov_b32 s9, 0
	s_mov_b64 s[38:39], 0
	s_waitcnt vmcnt(0) lgkmcnt(0)
	flat_load_dword v2, v[2:3] glc
	s_waitcnt vmcnt(0) lgkmcnt(0)
	buffer_wbinvl1_vol
	v_cmp_eq_u32_e64 s[28:29], 0, v2
	s_and_b64 s[28:29], s[28:29], exec
	s_or_b64 s[48:49], s[48:49], s[28:29]
	s_and_saveexec_b64 s[50:51], s[48:49]
	s_cbranch_execz .LBB12_2879
	s_branch .LBB12_2878
.LBB12_2884:                            ;   in Loop: Header=BB12_2881 Depth=3
	s_add_i32 s9, s9, 1
	s_mov_b64 s[38:39], -1
                                        ; implicit-def: $vgpr2
	s_and_saveexec_b64 s[50:51], s[48:49]
	s_cbranch_execz .LBB12_2879
	s_branch .LBB12_2878
.LBB12_2885:                            ;   in Loop: Header=BB12_2875 Depth=2
	s_or_b64 exec, exec, s[90:91]
	s_xor_b64 s[28:29], s[92:93], -1
	s_and_saveexec_b64 s[90:91], s[28:29]
	s_xor_b64 s[28:29], exec, s[90:91]
	s_cbranch_execz .LBB12_2887
; %bb.2886:                             ;   in Loop: Header=BB12_2875 Depth=2
	ds_write_b32 v0, v2
	s_trap 2
	buffer_load_dword v2, off, s[0:3], s33 offset:156 ; 4-byte Folded Reload
	s_waitcnt vmcnt(0)
	v_or_b32_e32 v2, 64, v2
	buffer_store_dword v2, off, s[0:3], s33 offset:156 ; 4-byte Folded Spill
.LBB12_2887:                            ;   in Loop: Header=BB12_2875 Depth=2
	s_or_b64 exec, exec, s[28:29]
.LBB12_2888:                            ;   in Loop: Header=BB12_2875 Depth=2
	s_or_b64 exec, exec, s[88:89]
	;;#ASMSTART
	s_wakeup
	;;#ASMEND
	buffer_load_dword v2, off, s[0:3], s33 offset:156 ; 4-byte Folded Reload
	s_waitcnt vmcnt(0)
	v_and_b32_e32 v2, 0x108, v2
	v_cmp_ne_u32_e32 vcc, s97, v2
	buffer_load_dword v2, off, s[0:3], s33 offset:256 ; 4-byte Folded Reload
	buffer_load_dword v3, off, s[0:3], s33 offset:260 ; 4-byte Folded Reload
	s_waitcnt vmcnt(0)
	v_and_b32_e32 v7, 7, v2
	s_and_saveexec_b64 s[28:29], vcc
	s_xor_b64 s[28:29], exec, s[28:29]
                                        ; implicit-def: $vgpr8
	s_cbranch_execz .LBB12_2890
; %bb.2889:                             ;   in Loop: Header=BB12_2875 Depth=2
	buffer_load_dword v2, off, s[0:3], s33 offset:128 ; 4-byte Folded Reload
	buffer_load_dword v3, off, s[0:3], s33 offset:132 ; 4-byte Folded Reload
	s_waitcnt vmcnt(0)
	v_mov_b32_e32 v8, v2
.LBB12_2890:                            ;   in Loop: Header=BB12_2875 Depth=2
	s_andn2_saveexec_b64 s[28:29], s[28:29]
	s_cbranch_execz .LBB12_2892
; %bb.2891:                             ;   in Loop: Header=BB12_2875 Depth=2
	buffer_load_dword v2, off, s[0:3], s33 offset:412 ; 4-byte Folded Reload
	buffer_load_dword v3, off, s[0:3], s33 offset:416 ; 4-byte Folded Reload
	;; [unrolled: 1-line block ×6, first 2 shown]
	v_ashrrev_i32_e32 v50, 31, v49
	s_waitcnt vmcnt(0)
	v_lshlrev_b64 v[4:5], 1, v[49:50]
	v_mad_u64_u32 v[2:3], s[88:89], v7, 24, v[2:3]
	flat_store_dwordx2 v[2:3], v[4:5] offset:8
.LBB12_2892:                            ;   in Loop: Header=BB12_2875 Depth=2
	s_or_b64 exec, exec, s[28:29]
	buffer_load_dword v2, off, s[0:3], s33 offset:156 ; 4-byte Folded Reload
	s_mov_b64 s[28:29], -1
	s_waitcnt vmcnt(0)
	v_and_b32_e32 v2, 0x100, v2
	v_cmp_ne_u32_e32 vcc, 0, v2
                                        ; implicit-def: $vgpr2_vgpr3
	s_and_saveexec_b64 s[88:89], vcc
	s_cbranch_execz .LBB12_2896
; %bb.2893:                             ;   in Loop: Header=BB12_2875 Depth=2
	buffer_load_dword v2, off, s[0:3], s33 offset:412 ; 4-byte Folded Reload
	buffer_load_dword v3, off, s[0:3], s33 offset:416 ; 4-byte Folded Reload
	;; [unrolled: 1-line block ×4, first 2 shown]
	s_waitcnt vmcnt(0)
	v_mad_u64_u32 v[4:5], s[28:29], v7, 24, v[2:3]
	v_mov_b32_e32 v2, v5
	v_mad_u64_u32 v[2:3], s[28:29], v8, 24, v[2:3]
	v_mov_b32_e32 v5, v2
	flat_load_dword v2, v[4:5]
	s_waitcnt vmcnt(0) lgkmcnt(0)
	v_cmp_ne_u32_e32 vcc, 1, v2
	v_cmp_eq_u32_e64 s[28:29], 1, v2
                                        ; implicit-def: $vgpr2_vgpr3
	s_and_saveexec_b64 s[90:91], s[28:29]
	s_cbranch_execz .LBB12_2895
; %bb.2894:                             ;   in Loop: Header=BB12_2875 Depth=2
	flat_load_dword v2, v[4:5] offset:4 glc
	s_waitcnt vmcnt(0) lgkmcnt(0)
	v_ashrrev_i32_e32 v3, 31, v2
	v_lshrrev_b64 v[2:3], 1, v[2:3]
.LBB12_2895:                            ;   in Loop: Header=BB12_2875 Depth=2
	s_or_b64 exec, exec, s[90:91]
	s_orn2_b64 s[28:29], vcc, exec
.LBB12_2896:                            ;   in Loop: Header=BB12_2875 Depth=2
	s_or_b64 exec, exec, s[88:89]
	s_and_saveexec_b64 s[88:89], s[28:29]
	s_cbranch_execz .LBB12_2898
; %bb.2897:                             ;   in Loop: Header=BB12_2875 Depth=2
	buffer_load_dword v2, off, s[0:3], s33 offset:436 ; 4-byte Folded Reload
	buffer_load_dword v3, off, s[0:3], s33 offset:440 ; 4-byte Folded Reload
	s_waitcnt vmcnt(0)
	v_mul_lo_u32 v4, v8, v2
	v_mul_lo_u32 v5, v7, v3
	v_mad_u64_u32 v[2:3], s[28:29], v7, v2, 0
	v_add3_u32 v3, v3, v5, v4
.LBB12_2898:                            ;   in Loop: Header=BB12_2875 Depth=2
	s_or_b64 exec, exec, s[88:89]
	v_cmp_eq_u32_e32 vcc, 0, v6
	v_mov_b32_e32 v4, 0x90
	v_mov_b32_e32 v5, 0xd0
	v_cndmask_b32_e32 v4, v5, v4, vcc
	buffer_load_dword v5, off, s[0:3], s33 offset:404 ; 4-byte Folded Reload
	buffer_load_dword v6, off, s[0:3], s33 offset:408 ; 4-byte Folded Reload
	v_lshlrev_b64 v[2:3], 1, v[2:3]
	v_add_u32_e32 v4, v0, v4
	s_waitcnt vmcnt(0)
	v_add_co_u32_e32 v2, vcc, v5, v2
	v_addc_co_u32_e32 v3, vcc, v6, v3, vcc
	ds_write_b64 v4, v[2:3] offset:584
	buffer_load_dword v2, off, s[0:3], s33 offset:156 ; 4-byte Folded Reload
	s_waitcnt vmcnt(0)
	v_and_b32_e32 v2, 0x2000, v2
	v_cmp_ne_u32_e32 vcc, 0, v2
	s_and_saveexec_b64 s[28:29], vcc
	s_cbranch_execz .LBB12_2900
; %bb.2899:                             ;   in Loop: Header=BB12_2875 Depth=2
	ds_read_b64 v[2:3], v0 offset:872
	s_waitcnt lgkmcnt(0)
	v_add_co_u32_e32 v2, vcc, 1, v2
	v_addc_co_u32_e32 v3, vcc, 0, v3, vcc
	ds_write_b64 v0, v[2:3] offset:872
.LBB12_2900:                            ;   in Loop: Header=BB12_2875 Depth=2
	s_or_b64 exec, exec, s[28:29]
	buffer_store_dword v0, off, s[0:3], s33 offset:256 ; 4-byte Folded Spill
	s_nop 0
	buffer_store_dword v1, off, s[0:3], s33 offset:260 ; 4-byte Folded Spill
.LBB12_2901:                            ;   in Loop: Header=BB12_2875 Depth=2
	s_or_b64 exec, exec, s[78:79]
	s_xor_b64 s[28:29], s[44:45], -1
	s_and_b64 s[28:29], exec, s[28:29]
	s_or_b64 s[42:43], s[28:29], s[42:43]
	s_and_saveexec_b64 s[28:29], s[10:11]
	s_cbranch_execz .LBB12_2920
; %bb.2902:                             ;   in Loop: Header=BB12_2875 Depth=2
	s_and_saveexec_b64 s[44:45], s[58:59]
	s_xor_b64 s[44:45], exec, s[44:45]
	s_cbranch_execz .LBB12_2917
; %bb.2903:                             ;   in Loop: Header=BB12_2875 Depth=2
	s_and_saveexec_b64 s[78:79], s[16:17]
	s_cbranch_execz .LBB12_2916
; %bb.2904:                             ;   in Loop: Header=BB12_2875 Depth=2
	s_mov_b64 s[90:91], exec
	v_mbcnt_lo_u32_b32 v0, s90, 0
	v_mbcnt_hi_u32_b32 v0, s91, v0
	v_cmp_eq_u32_e32 vcc, 0, v0
	s_waitcnt vmcnt(0) lgkmcnt(0)
	buffer_wbinvl1_vol
	s_and_saveexec_b64 s[88:89], vcc
	s_cbranch_execz .LBB12_2906
; %bb.2905:                             ;   in Loop: Header=BB12_2875 Depth=2
	buffer_load_dword v1, off, s[0:3], s33 offset:128 ; 4-byte Folded Reload
	buffer_load_dword v2, off, s[0:3], s33 offset:132 ; 4-byte Folded Reload
	s_bcnt1_i32_b64 s9, s[90:91]
	v_mov_b32_e32 v0, s9
	s_waitcnt vmcnt(1)
	ds_add_u64 v0, v[0:1]
	s_trap 2
.LBB12_2906:                            ;   in Loop: Header=BB12_2875 Depth=2
	s_or_b64 exec, exec, s[88:89]
	s_trap 2
	ds_read_b64 v[0:1], v0
	s_waitcnt lgkmcnt(0)
	buffer_load_dword v2, off, s[0:3], s33 offset:152 ; 4-byte Folded Reload
	buffer_load_dword v3, off, s[0:3], s33 offset:160 ; 4-byte Folded Reload
	buffer_load_dword v4, off, s[0:3], s33 offset:164 ; 4-byte Folded Reload
	s_waitcnt vmcnt(1)
	v_add_co_u32_e32 v3, vcc, v3, v2
	s_waitcnt vmcnt(0)
	v_addc_co_u32_e32 v4, vcc, 0, v4, vcc
	buffer_store_dword v3, off, s[0:3], s33 offset:160 ; 4-byte Folded Spill
	s_nop 0
	buffer_store_dword v4, off, s[0:3], s33 offset:164 ; 4-byte Folded Spill
	v_cmp_lt_u64_e32 vcc, v[0:1], v[3:4]
	s_and_saveexec_b64 s[88:89], vcc
	s_cbranch_execz .LBB12_2915
; %bb.2907:                             ;   in Loop: Header=BB12_2875 Depth=2
	s_mov_b32 s9, 0
	s_mov_b64 s[90:91], 0
                                        ; implicit-def: $sgpr92_sgpr93
                                        ; implicit-def: $sgpr94_sgpr95
	s_branch .LBB12_2909
.LBB12_2908:                            ;   in Loop: Header=BB12_2909 Depth=3
	s_or_b64 exec, exec, s[34:35]
	s_and_b64 vcc, exec, vcc
	s_or_b64 s[90:91], vcc, s[90:91]
	s_andn2_b64 s[92:93], s[92:93], exec
	s_and_b64 vcc, s[94:95], exec
	s_or_b64 s[92:93], s[92:93], vcc
	s_andn2_b64 exec, exec, s[90:91]
	s_cbranch_execz .LBB12_2913
.LBB12_2909:                            ;   Parent Loop BB12_47 Depth=1
                                        ;     Parent Loop BB12_2875 Depth=2
                                        ; =>    This Inner Loop Header: Depth=3
	s_add_i32 s9, s9, 1
	s_cmpk_lg_i32 s9, 0x2710
	s_cselect_b64 s[30:31], -1, 0
	s_and_b64 vcc, exec, s[30:31]
	s_cbranch_vccz .LBB12_2911
; %bb.2910:                             ;   in Loop: Header=BB12_2909 Depth=3
	s_mov_b64 vcc, -1
	s_or_b64 s[94:95], s[94:95], exec
	s_and_saveexec_b64 s[34:35], s[30:31]
	s_cbranch_execz .LBB12_2908
	s_branch .LBB12_2912
.LBB12_2911:                            ;   in Loop: Header=BB12_2909 Depth=3
	s_trap 2
	ds_read_b64 v[0:1], v0
	s_andn2_b64 s[30:31], s[30:31], exec
	s_mov_b32 s9, 0
	s_waitcnt vmcnt(0) lgkmcnt(0)
	flat_load_dword v0, v[0:1] glc
	s_waitcnt vmcnt(0) lgkmcnt(0)
	buffer_wbinvl1_vol
	v_cmp_eq_u32_e32 vcc, 0, v0
	s_and_b64 vcc, vcc, exec
	s_or_b64 s[30:31], s[30:31], vcc
	s_mov_b64 vcc, -1
	s_or_b64 s[94:95], s[94:95], exec
	s_and_saveexec_b64 s[34:35], s[30:31]
	s_cbranch_execz .LBB12_2908
.LBB12_2912:                            ;   in Loop: Header=BB12_2909 Depth=3
	s_sleep 1
	s_trap 2
	ds_read_b64 v[0:1], v0
	s_waitcnt lgkmcnt(0)
	buffer_load_dword v2, off, s[0:3], s33 offset:160 ; 4-byte Folded Reload
	buffer_load_dword v3, off, s[0:3], s33 offset:164 ; 4-byte Folded Reload
	s_andn2_b64 s[94:95], s[94:95], exec
	s_waitcnt vmcnt(0)
	v_cmp_ge_u64_e32 vcc, v[0:1], v[2:3]
	s_orn2_b64 vcc, vcc, exec
	s_branch .LBB12_2908
.LBB12_2913:                            ;   in Loop: Header=BB12_2875 Depth=2
	s_or_b64 exec, exec, s[90:91]
	s_and_saveexec_b64 s[90:91], s[92:93]
	s_xor_b64 s[90:91], exec, s[90:91]
	s_cbranch_execz .LBB12_2915
; %bb.2914:                             ;   in Loop: Header=BB12_2875 Depth=2
	v_mov_b32_e32 v0, 1
	ds_write_b32 v0, v0
	s_trap 2
.LBB12_2915:                            ;   in Loop: Header=BB12_2875 Depth=2
	s_or_b64 exec, exec, s[88:89]
	;;#ASMSTART
	s_wakeup
	;;#ASMEND
.LBB12_2916:                            ;   in Loop: Header=BB12_2875 Depth=2
	s_or_b64 exec, exec, s[78:79]
.LBB12_2917:                            ;   in Loop: Header=BB12_2875 Depth=2
	s_andn2_saveexec_b64 s[44:45], s[44:45]
	s_cbranch_execz .LBB12_2919
; %bb.2918:                             ;   in Loop: Header=BB12_2875 Depth=2
	s_waitcnt vmcnt(0) lgkmcnt(0)
	buffer_wbinvl1_vol
	s_barrier
.LBB12_2919:                            ;   in Loop: Header=BB12_2875 Depth=2
	s_or_b64 exec, exec, s[44:45]
.LBB12_2920:                            ;   in Loop: Header=BB12_2875 Depth=2
	s_or_b64 exec, exec, s[28:29]
	buffer_load_dword v0, off, s[0:3], s33 offset:156 ; 4-byte Folded Reload
	s_waitcnt vmcnt(0)
	v_and_b32_e32 v0, 16, v0
	s_and_saveexec_b64 s[28:29], s[24:25]
	s_xor_b64 s[28:29], exec, s[28:29]
	s_cbranch_execz .LBB12_2924
; %bb.2921:                             ;   in Loop: Header=BB12_2875 Depth=2
	s_trap 2
	buffer_load_dword v1, off, s[0:3], s33 offset:156 ; 4-byte Folded Reload
	ds_read_b32 v0, v0
	v_cmp_lt_i32_e32 vcc, 0, v49
	s_waitcnt lgkmcnt(0)
	v_readfirstlane_b32 s9, v0
	s_cmp_eq_u32 s9, 0
	s_cselect_b64 s[44:45], -1, 0
	s_and_b64 s[44:45], vcc, s[44:45]
	s_waitcnt vmcnt(0)
	v_and_b32_e32 v0, 16, v1
	v_and_b32_e32 v1, 16, v1
	v_cmp_ne_u32_e32 vcc, 0, v1
	s_and_b64 s[78:79], vcc, s[44:45]
	s_and_saveexec_b64 s[44:45], s[78:79]
	s_cbranch_execz .LBB12_2923
; %bb.2922:                             ;   in Loop: Header=BB12_2875 Depth=2
	v_mov_b32_e32 v0, 1
	buffer_wbinvl1_vol
.LBB12_2923:                            ;   in Loop: Header=BB12_2875 Depth=2
	s_or_b64 exec, exec, s[44:45]
.LBB12_2924:                            ;   in Loop: Header=BB12_2875 Depth=2
	s_andn2_saveexec_b64 s[28:29], s[28:29]
	s_cbranch_execz .LBB12_2943
; %bb.2925:                             ;   in Loop: Header=BB12_2875 Depth=2
	s_and_saveexec_b64 s[44:45], s[58:59]
	s_xor_b64 s[44:45], exec, s[44:45]
	s_cbranch_execz .LBB12_2940
; %bb.2926:                             ;   in Loop: Header=BB12_2875 Depth=2
	s_and_saveexec_b64 s[78:79], s[16:17]
	s_cbranch_execz .LBB12_2939
; %bb.2927:                             ;   in Loop: Header=BB12_2875 Depth=2
	s_mov_b64 s[90:91], exec
	v_mbcnt_lo_u32_b32 v1, s90, 0
	v_mbcnt_hi_u32_b32 v1, s91, v1
	v_cmp_eq_u32_e32 vcc, 0, v1
	;;#ASMSTART
	s_waitcnt lgkmcnt(0) vmcnt(0)
	;;#ASMEND
	s_and_saveexec_b64 s[88:89], vcc
	s_cbranch_execz .LBB12_2929
; %bb.2928:                             ;   in Loop: Header=BB12_2875 Depth=2
	buffer_load_dword v2, off, s[0:3], s33 offset:128 ; 4-byte Folded Reload
	buffer_load_dword v3, off, s[0:3], s33 offset:132 ; 4-byte Folded Reload
	s_bcnt1_i32_b64 s9, s[90:91]
	v_mov_b32_e32 v1, s9
	s_waitcnt vmcnt(0) lgkmcnt(0)
	ds_add_u64 v0, v[1:2]
	s_trap 2
.LBB12_2929:                            ;   in Loop: Header=BB12_2875 Depth=2
	s_or_b64 exec, exec, s[88:89]
	s_trap 2
	ds_read_b64 v[1:2], v0
	s_waitcnt lgkmcnt(0)
	buffer_load_dword v3, off, s[0:3], s33 offset:152 ; 4-byte Folded Reload
	buffer_load_dword v4, off, s[0:3], s33 offset:160 ; 4-byte Folded Reload
	;; [unrolled: 1-line block ×3, first 2 shown]
	s_waitcnt vmcnt(1)
	v_add_co_u32_e32 v4, vcc, v4, v3
	s_waitcnt vmcnt(0)
	v_addc_co_u32_e32 v5, vcc, 0, v5, vcc
	buffer_store_dword v4, off, s[0:3], s33 offset:160 ; 4-byte Folded Spill
	s_nop 0
	buffer_store_dword v5, off, s[0:3], s33 offset:164 ; 4-byte Folded Spill
	v_cmp_lt_u64_e32 vcc, v[1:2], v[4:5]
	s_and_saveexec_b64 s[88:89], vcc
	s_cbranch_execz .LBB12_2938
; %bb.2930:                             ;   in Loop: Header=BB12_2875 Depth=2
	s_mov_b32 s9, 0
	s_mov_b64 s[90:91], 0
                                        ; implicit-def: $sgpr92_sgpr93
                                        ; implicit-def: $sgpr94_sgpr95
	s_branch .LBB12_2932
.LBB12_2931:                            ;   in Loop: Header=BB12_2932 Depth=3
	s_or_b64 exec, exec, s[34:35]
	s_and_b64 vcc, exec, vcc
	s_or_b64 s[90:91], vcc, s[90:91]
	s_andn2_b64 s[92:93], s[92:93], exec
	s_and_b64 vcc, s[94:95], exec
	s_or_b64 s[92:93], s[92:93], vcc
	s_andn2_b64 exec, exec, s[90:91]
	s_cbranch_execz .LBB12_2936
.LBB12_2932:                            ;   Parent Loop BB12_47 Depth=1
                                        ;     Parent Loop BB12_2875 Depth=2
                                        ; =>    This Inner Loop Header: Depth=3
	s_add_i32 s9, s9, 1
	s_cmpk_lg_i32 s9, 0x2710
	s_cselect_b64 s[30:31], -1, 0
	s_and_b64 vcc, exec, s[30:31]
	s_cbranch_vccz .LBB12_2934
; %bb.2933:                             ;   in Loop: Header=BB12_2932 Depth=3
	s_mov_b64 vcc, -1
	s_or_b64 s[94:95], s[94:95], exec
	s_and_saveexec_b64 s[34:35], s[30:31]
	s_cbranch_execz .LBB12_2931
	s_branch .LBB12_2935
.LBB12_2934:                            ;   in Loop: Header=BB12_2932 Depth=3
	s_trap 2
	ds_read_b64 v[1:2], v0
	s_andn2_b64 s[30:31], s[30:31], exec
	s_mov_b32 s9, 0
	s_waitcnt vmcnt(0) lgkmcnt(0)
	flat_load_dword v1, v[1:2] glc
	s_waitcnt vmcnt(0) lgkmcnt(0)
	buffer_wbinvl1_vol
	v_cmp_eq_u32_e32 vcc, 0, v1
	s_and_b64 vcc, vcc, exec
	s_or_b64 s[30:31], s[30:31], vcc
	s_mov_b64 vcc, -1
	s_or_b64 s[94:95], s[94:95], exec
	s_and_saveexec_b64 s[34:35], s[30:31]
	s_cbranch_execz .LBB12_2931
.LBB12_2935:                            ;   in Loop: Header=BB12_2932 Depth=3
	s_sleep 1
	s_trap 2
	ds_read_b64 v[1:2], v0
	s_waitcnt lgkmcnt(0)
	buffer_load_dword v3, off, s[0:3], s33 offset:160 ; 4-byte Folded Reload
	buffer_load_dword v4, off, s[0:3], s33 offset:164 ; 4-byte Folded Reload
	s_andn2_b64 s[94:95], s[94:95], exec
	s_waitcnt vmcnt(0)
	v_cmp_ge_u64_e32 vcc, v[1:2], v[3:4]
	s_orn2_b64 vcc, vcc, exec
	s_branch .LBB12_2931
.LBB12_2936:                            ;   in Loop: Header=BB12_2875 Depth=2
	s_or_b64 exec, exec, s[90:91]
	s_and_saveexec_b64 s[90:91], s[92:93]
	s_xor_b64 s[90:91], exec, s[90:91]
	s_cbranch_execz .LBB12_2938
; %bb.2937:                             ;   in Loop: Header=BB12_2875 Depth=2
	v_mov_b32_e32 v1, 1
	ds_write_b32 v0, v1
	s_trap 2
.LBB12_2938:                            ;   in Loop: Header=BB12_2875 Depth=2
	s_or_b64 exec, exec, s[88:89]
	;;#ASMSTART
	s_wakeup
	;;#ASMEND
.LBB12_2939:                            ;   in Loop: Header=BB12_2875 Depth=2
	s_or_b64 exec, exec, s[78:79]
.LBB12_2940:                            ;   in Loop: Header=BB12_2875 Depth=2
	s_andn2_saveexec_b64 s[44:45], s[44:45]
	s_cbranch_execz .LBB12_2942
; %bb.2941:                             ;   in Loop: Header=BB12_2875 Depth=2
	;;#ASMSTART
	s_waitcnt lgkmcnt(0) vmcnt(0)
	;;#ASMEND
	s_waitcnt vmcnt(0) lgkmcnt(0)
	s_barrier
.LBB12_2942:                            ;   in Loop: Header=BB12_2875 Depth=2
	s_or_b64 exec, exec, s[44:45]
.LBB12_2943:                            ;   in Loop: Header=BB12_2875 Depth=2
	s_or_b64 exec, exec, s[28:29]
	v_cmp_ne_u32_e32 vcc, 0, v0
	s_xor_b64 s[28:29], s[12:13], -1
	s_and_b64 s[44:45], vcc, s[28:29]
	s_and_saveexec_b64 s[28:29], s[44:45]
	s_cbranch_execz .LBB12_2945
; %bb.2944:                             ;   in Loop: Header=BB12_2875 Depth=2
	buffer_load_dword v0, off, s[0:3], s33 offset:428 ; 4-byte Folded Reload
	buffer_load_dword v1, off, s[0:3], s33 offset:432 ; 4-byte Folded Reload
	v_mov_b32_e32 v2, 1
	s_waitcnt vmcnt(0)
	flat_store_dword v[0:1], v2
.LBB12_2945:                            ;   in Loop: Header=BB12_2875 Depth=2
	s_or_b64 exec, exec, s[28:29]
	buffer_load_dword v0, off, s[0:3], s33 offset:156 ; 4-byte Folded Reload
	s_waitcnt vmcnt(0)
	v_and_b32_e32 v0, 48, v0
	v_cmp_ne_u32_e32 vcc, 0, v0
	s_and_saveexec_b64 s[28:29], vcc
	s_cbranch_execz .LBB12_2874
; %bb.2946:                             ;   in Loop: Header=BB12_2875 Depth=2
	buffer_load_dword v2, off, s[0:3], s33 offset:256 ; 4-byte Folded Reload
	buffer_load_dword v3, off, s[0:3], s33 offset:260 ; 4-byte Folded Reload
	;; [unrolled: 1-line block ×4, first 2 shown]
	s_waitcnt vmcnt(0)
	v_add_co_u32_e32 v2, vcc, 2, v2
	v_addc_co_u32_e32 v3, vcc, 0, v3, vcc
	buffer_store_dword v2, off, s[0:3], s33 offset:256 ; 4-byte Folded Spill
	s_nop 0
	buffer_store_dword v3, off, s[0:3], s33 offset:260 ; 4-byte Folded Spill
	flat_store_dwordx2 v[0:1], v[2:3]
	s_branch .LBB12_2874
.LBB12_2947:                            ;   in Loop: Header=BB12_47 Depth=1
	s_or_b64 exec, exec, s[88:89]
	s_or_b64 exec, exec, s[78:79]
	v_cmp_gt_i32_e32 vcc, 2, v2
	s_and_saveexec_b64 s[40:41], vcc
	s_cbranch_execnz .LBB12_2873
.LBB12_2948:                            ;   in Loop: Header=BB12_47 Depth=1
	s_or_b64 exec, exec, s[40:41]
	s_and_b64 vcc, exec, s[26:27]
	s_cbranch_vccz .LBB12_2950
	s_branch .LBB12_3272
.LBB12_2949:                            ;   in Loop: Header=BB12_47 Depth=1
	s_or_b64 exec, exec, s[42:43]
	s_or_b64 exec, exec, s[40:41]
	s_and_b64 vcc, exec, s[26:27]
	s_cbranch_vccnz .LBB12_3272
.LBB12_2950:                            ;   in Loop: Header=BB12_47 Depth=1
	s_mov_b32 s9, 1
.LBB12_2951:                            ;   Parent Loop BB12_47 Depth=1
                                        ; =>  This Loop Header: Depth=2
                                        ;       Child Loop BB12_2954 Depth 3
                                        ;         Child Loop BB12_2962 Depth 4
                                        ;         Child Loop BB12_2990 Depth 4
	;; [unrolled: 1-line block ×5, first 2 shown]
                                        ;           Child Loop BB12_3052 Depth 5
                                        ;           Child Loop BB12_3057 Depth 5
                                        ;         Child Loop BB12_3063 Depth 4
                                        ;         Child Loop BB12_3071 Depth 4
	;; [unrolled: 1-line block ×3, first 2 shown]
                                        ;           Child Loop BB12_3083 Depth 5
                                        ;           Child Loop BB12_3088 Depth 5
                                        ;         Child Loop BB12_3092 Depth 4
                                        ;         Child Loop BB12_3104 Depth 4
	;; [unrolled: 1-line block ×7, first 2 shown]
                                        ;       Child Loop BB12_3196 Depth 3
                                        ;         Child Loop BB12_3202 Depth 4
                                        ;         Child Loop BB12_3230 Depth 4
	;; [unrolled: 1-line block ×3, first 2 shown]
	buffer_load_dword v4, off, s[0:3], s33 offset:564 ; 4-byte Folded Reload
	buffer_load_dword v5, off, s[0:3], s33 offset:568 ; 4-byte Folded Reload
	s_sub_i32 s26, s67, s9
	s_cmp_ge_i32 s26, s52
	s_cselect_b32 s27, s52, 0
	s_sub_i32 s26, s26, s27
	s_ashr_i32 s28, s26, 31
	v_mov_b32_e32 v47, 0
	s_waitcnt vmcnt(0)
	v_mul_lo_u32 v3, v4, s28
	v_mul_lo_u32 v2, v5, s26
	v_mad_u64_u32 v[0:1], s[26:27], v4, s26, 0
	v_add3_u32 v1, v1, v3, v2
	buffer_load_dword v2, off, s[0:3], s33 offset:556 ; 4-byte Folded Reload
	buffer_load_dword v3, off, s[0:3], s33 offset:560 ; 4-byte Folded Reload
	s_waitcnt vmcnt(0)
	v_sub_co_u32_e32 v2, vcc, v2, v0
	v_subb_co_u32_e32 v3, vcc, v3, v1, vcc
	v_cmp_lt_i64_e32 vcc, v[4:5], v[2:3]
	v_cndmask_b32_e32 v2, v2, v4, vcc
	v_max_i32_e32 v40, 0, v2
	v_add_u32_e32 v3, 31, v40
	v_lshrrev_b32_e32 v3, 1, v3
	v_and_b32_e32 v3, 0x3ffffff0, v3
	v_cmp_lt_i32_e32 vcc, 0, v2
	v_max_i32_e32 v42, s70, v3
	s_and_b64 s[26:27], s[74:75], vcc
	v_mov_b32_e32 v2, 0
	s_and_saveexec_b64 s[42:43], s[26:27]
	s_cbranch_execz .LBB12_3193
; %bb.2952:                             ;   in Loop: Header=BB12_2951 Depth=2
	buffer_load_dword v2, off, s[0:3], s33 offset:472 ; 4-byte Folded Reload
	buffer_load_dword v3, off, s[0:3], s33 offset:476 ; 4-byte Folded Reload
	s_mov_b32 s47, 1
	s_mov_b64 s[78:79], -1
	v_mov_b32_e32 v47, 0
	s_mov_b64 s[44:45], 0
	s_waitcnt vmcnt(0)
	v_add_co_u32_e32 v0, vcc, v0, v2
	v_addc_co_u32_e32 v1, vcc, v1, v3, vcc
	v_lshlrev_b64 v[56:57], 1, v[0:1]
	buffer_store_dword v40, off, s[0:3], s33 offset:368 ; 4-byte Folded Spill
	buffer_store_dword v56, off, s[0:3], s33 offset:352 ; 4-byte Folded Spill
	s_nop 0
	buffer_store_dword v57, off, s[0:3], s33 offset:356 ; 4-byte Folded Spill
	s_branch .LBB12_2954
.LBB12_2953:                            ;   in Loop: Header=BB12_2954 Depth=3
	s_or_b64 exec, exec, s[26:27]
	v_add_u32_e32 v47, v42, v47
	v_cmp_ge_i32_e32 vcc, v47, v40
	s_xor_b64 s[26:27], s[78:79], -1
	s_or_b64 s[26:27], s[26:27], vcc
	s_and_b64 s[26:27], exec, s[26:27]
	s_or_b64 s[44:45], s[26:27], s[44:45]
	s_mov_b64 s[78:79], 0
	v_mov_b32_e32 v2, s47
	s_mov_b32 s47, 2
	s_andn2_b64 exec, exec, s[44:45]
	s_cbranch_execz .LBB12_3268
.LBB12_2954:                            ;   Parent Loop BB12_47 Depth=1
                                        ;     Parent Loop BB12_2951 Depth=2
                                        ; =>    This Loop Header: Depth=3
                                        ;         Child Loop BB12_2962 Depth 4
                                        ;         Child Loop BB12_2990 Depth 4
	;; [unrolled: 1-line block ×5, first 2 shown]
                                        ;           Child Loop BB12_3052 Depth 5
                                        ;           Child Loop BB12_3057 Depth 5
                                        ;         Child Loop BB12_3063 Depth 4
                                        ;         Child Loop BB12_3071 Depth 4
	;; [unrolled: 1-line block ×3, first 2 shown]
                                        ;           Child Loop BB12_3083 Depth 5
                                        ;           Child Loop BB12_3088 Depth 5
                                        ;         Child Loop BB12_3092 Depth 4
                                        ;         Child Loop BB12_3104 Depth 4
	;; [unrolled: 1-line block ×7, first 2 shown]
	s_and_saveexec_b64 s[26:27], s[4:5]
	s_cbranch_execz .LBB12_2956
; %bb.2955:                             ;   in Loop: Header=BB12_2954 Depth=3
	s_trap 2
	ds_read_b128 v[0:3], v0
	v_ashrrev_i32_e32 v48, 31, v47
	s_waitcnt lgkmcnt(0)
	v_add_co_u32_e32 v4, vcc, v0, v56
	v_addc_co_u32_e32 v5, vcc, v1, v57, vcc
	v_lshlrev_b64 v[0:1], 1, v[47:48]
	v_add_co_u32_e32 v4, vcc, v4, v0
	v_addc_co_u32_e32 v5, vcc, v5, v1, vcc
	ds_write_b64 v0, v[4:5]
	v_add_co_u32_e32 v4, vcc, v2, v56
	v_addc_co_u32_e32 v5, vcc, v3, v57, vcc
	v_add_co_u32_e32 v0, vcc, v4, v0
	v_addc_co_u32_e32 v1, vcc, v5, v1, vcc
	v_cmp_ne_u64_e32 vcc, 0, v[2:3]
	v_cndmask_b32_e32 v1, 0, v1, vcc
	v_cndmask_b32_e32 v0, 0, v0, vcc
	ds_write_b64 v0, v[0:1]
.LBB12_2956:                            ;   in Loop: Header=BB12_2954 Depth=3
	s_or_b64 exec, exec, s[26:27]
	v_sub_u32_e32 v0, v40, v47
	v_min_i32_e32 v42, v42, v0
	buffer_load_dword v0, off, s[0:3], s33 offset:156 ; 4-byte Folded Reload
	s_waitcnt vmcnt(0)
	v_and_b32_e32 v0, 12, v0
	v_cmp_ne_u32_e32 vcc, 0, v0
	s_and_saveexec_b64 s[28:29], vcc
	s_cbranch_execz .LBB12_2982
; %bb.2957:                             ;   in Loop: Header=BB12_2954 Depth=3
	buffer_load_dword v0, off, s[0:3], s33 offset:156 ; 4-byte Folded Reload
	buffer_load_dword v1, off, s[0:3], s33 offset:136 ; 4-byte Folded Reload
	;; [unrolled: 1-line block ×3, first 2 shown]
	s_waitcnt vmcnt(0)
	v_and_b32_e32 v0, 8, v0
	v_add_co_u32_e32 v3, vcc, v1, v0
	v_addc_co_u32_e32 v4, vcc, 0, v2, vcc
	buffer_load_dword v1, off, s[0:3], s33 offset:256 ; 4-byte Folded Reload
	buffer_load_dword v2, off, s[0:3], s33 offset:260 ; 4-byte Folded Reload
	s_waitcnt vmcnt(0)
	v_add_co_u32_e32 v1, vcc, 2, v1
	v_addc_co_u32_e32 v2, vcc, 0, v2, vcc
	v_cmp_lt_u64_e32 vcc, v[3:4], v[1:2]
	s_and_saveexec_b64 s[40:41], vcc
	s_cbranch_execz .LBB12_2969
; %bb.2958:                             ;   in Loop: Header=BB12_2954 Depth=3
	buffer_load_dword v3, off, s[0:3], s33 offset:156 ; 4-byte Folded Reload
	s_mov_b32 s77, 0
	s_mov_b64 s[88:89], 0
                                        ; implicit-def: $sgpr90_sgpr91
                                        ; implicit-def: $sgpr92_sgpr93
                                        ; implicit-def: $sgpr94_sgpr95
	s_waitcnt vmcnt(0)
	v_and_b32_e32 v3, 64, v3
	v_cmp_eq_u32_e32 vcc, 0, v3
	s_branch .LBB12_2962
.LBB12_2959:                            ;   in Loop: Header=BB12_2962 Depth=4
	buffer_load_dword v4, off, s[0:3], s33 offset:136 ; 4-byte Folded Reload
	buffer_load_dword v5, off, s[0:3], s33 offset:140 ; 4-byte Folded Reload
	s_or_b64 s[36:37], s[36:37], exec
	s_waitcnt vmcnt(1)
	v_add_co_u32_e64 v4, s[26:27], v4, v0
	s_waitcnt vmcnt(0)
	v_addc_co_u32_e64 v5, s[26:27], 0, v5, s[26:27]
	v_cmp_ge_u64_e64 s[26:27], v[4:5], v[1:2]
	s_orn2_b64 s[34:35], s[26:27], exec
.LBB12_2960:                            ;   in Loop: Header=BB12_2962 Depth=4
	s_or_b64 exec, exec, s[48:49]
	s_andn2_b64 s[26:27], s[94:95], exec
	s_and_b64 s[94:95], s[36:37], exec
	s_or_b64 s[94:95], s[26:27], s[94:95]
	s_andn2_b64 s[26:27], s[92:93], exec
	s_and_b64 s[92:93], s[34:35], exec
	s_or_b64 s[92:93], s[26:27], s[92:93]
.LBB12_2961:                            ;   in Loop: Header=BB12_2962 Depth=4
	s_or_b64 exec, exec, s[30:31]
	s_and_b64 s[26:27], exec, s[92:93]
	s_or_b64 s[88:89], s[26:27], s[88:89]
	s_andn2_b64 s[26:27], s[90:91], exec
	s_and_b64 s[90:91], s[94:95], exec
	s_or_b64 s[90:91], s[26:27], s[90:91]
	s_andn2_b64 exec, exec, s[88:89]
	s_cbranch_execz .LBB12_2966
.LBB12_2962:                            ;   Parent Loop BB12_47 Depth=1
                                        ;     Parent Loop BB12_2951 Depth=2
                                        ;       Parent Loop BB12_2954 Depth=3
                                        ; =>      This Inner Loop Header: Depth=4
	s_sleep 1
	buffer_load_dword v3, off, s[0:3], s33 offset:144 ; 4-byte Folded Reload
	buffer_load_dword v4, off, s[0:3], s33 offset:148 ; 4-byte Folded Reload
	s_or_b64 s[94:95], s[94:95], exec
	s_or_b64 s[92:93], s[92:93], exec
	s_waitcnt vmcnt(0)
	flat_load_dwordx2 v[3:4], v[3:4] glc
	s_waitcnt vmcnt(0) lgkmcnt(0)
	buffer_store_dword v3, off, s[0:3], s33 offset:136 ; 4-byte Folded Spill
	s_nop 0
	buffer_store_dword v4, off, s[0:3], s33 offset:140 ; 4-byte Folded Spill
                                        ; implicit-def: $vgpr3
	s_and_saveexec_b64 s[30:31], vcc
	s_cbranch_execz .LBB12_2961
; %bb.2963:                             ;   in Loop: Header=BB12_2962 Depth=4
	s_cmpk_lt_i32 s77, 0x270f
	s_cselect_b64 s[38:39], -1, 0
	s_cmpk_gt_i32 s77, 0x270e
	s_mov_b64 s[34:35], -1
	s_cbranch_scc0 .LBB12_2965
; %bb.2964:                             ;   in Loop: Header=BB12_2962 Depth=4
	s_trap 2
	ds_read_b64 v[3:4], v0
	s_andn2_b64 s[38:39], s[38:39], exec
	s_mov_b32 s77, 0
	s_mov_b64 s[36:37], 0
	s_waitcnt vmcnt(0) lgkmcnt(0)
	flat_load_dword v3, v[3:4] glc
	s_waitcnt vmcnt(0) lgkmcnt(0)
	buffer_wbinvl1_vol
	v_cmp_eq_u32_e64 s[26:27], 0, v3
	s_and_b64 s[26:27], s[26:27], exec
	s_or_b64 s[38:39], s[38:39], s[26:27]
	s_and_saveexec_b64 s[48:49], s[38:39]
	s_cbranch_execz .LBB12_2960
	s_branch .LBB12_2959
.LBB12_2965:                            ;   in Loop: Header=BB12_2962 Depth=4
	s_add_i32 s77, s77, 1
	s_mov_b64 s[36:37], -1
                                        ; implicit-def: $vgpr3
	s_and_saveexec_b64 s[48:49], s[38:39]
	s_cbranch_execz .LBB12_2960
	s_branch .LBB12_2959
.LBB12_2966:                            ;   in Loop: Header=BB12_2954 Depth=3
	s_or_b64 exec, exec, s[88:89]
	s_xor_b64 s[26:27], s[90:91], -1
	s_and_saveexec_b64 s[88:89], s[26:27]
	s_xor_b64 s[26:27], exec, s[88:89]
	s_cbranch_execz .LBB12_2968
; %bb.2967:                             ;   in Loop: Header=BB12_2954 Depth=3
	ds_write_b32 v0, v3
	s_trap 2
	buffer_load_dword v3, off, s[0:3], s33 offset:156 ; 4-byte Folded Reload
	s_waitcnt vmcnt(0)
	v_or_b32_e32 v3, 64, v3
	buffer_store_dword v3, off, s[0:3], s33 offset:156 ; 4-byte Folded Spill
.LBB12_2968:                            ;   in Loop: Header=BB12_2954 Depth=3
	s_or_b64 exec, exec, s[26:27]
.LBB12_2969:                            ;   in Loop: Header=BB12_2954 Depth=3
	s_or_b64 exec, exec, s[40:41]
	;;#ASMSTART
	s_wakeup
	;;#ASMEND
	buffer_load_dword v3, off, s[0:3], s33 offset:156 ; 4-byte Folded Reload
	s_waitcnt vmcnt(0)
	v_and_b32_e32 v3, 0x108, v3
	v_cmp_ne_u32_e32 vcc, s97, v3
                                        ; implicit-def: $vgpr3_vgpr4
	s_and_saveexec_b64 s[26:27], vcc
	s_xor_b64 s[26:27], exec, s[26:27]
	s_cbranch_execz .LBB12_2971
; %bb.2970:                             ;   in Loop: Header=BB12_2954 Depth=3
	buffer_load_dword v3, off, s[0:3], s33 offset:256 ; 4-byte Folded Reload
	buffer_load_dword v4, off, s[0:3], s33 offset:260 ; 4-byte Folded Reload
	;; [unrolled: 1-line block ×4, first 2 shown]
                                        ; implicit-def: $vgpr5_vgpr6
                                        ; kill: killed $vgpr5_vgpr6
	s_waitcnt vmcnt(0)
	v_and_b32_e32 v3, 7, v3
.LBB12_2971:                            ;   in Loop: Header=BB12_2954 Depth=3
	s_andn2_saveexec_b64 s[26:27], s[26:27]
	s_cbranch_execz .LBB12_2973
; %bb.2972:                             ;   in Loop: Header=BB12_2954 Depth=3
	buffer_load_dword v3, off, s[0:3], s33 offset:256 ; 4-byte Folded Reload
	buffer_load_dword v4, off, s[0:3], s33 offset:260 ; 4-byte Folded Reload
	;; [unrolled: 1-line block ×8, first 2 shown]
	v_ashrrev_i32_e32 v43, 31, v42
	s_waitcnt vmcnt(0)
	v_lshlrev_b64 v[7:8], 1, v[42:43]
	v_and_b32_e32 v3, 7, v3
	v_mad_u64_u32 v[5:6], s[40:41], v3, 24, v[4:5]
	v_mov_b32_e32 v4, v9
	flat_store_dwordx2 v[5:6], v[7:8] offset:8
.LBB12_2973:                            ;   in Loop: Header=BB12_2954 Depth=3
	s_or_b64 exec, exec, s[26:27]
	buffer_load_dword v5, off, s[0:3], s33 offset:156 ; 4-byte Folded Reload
	s_mov_b64 s[26:27], -1
	s_waitcnt vmcnt(0)
	v_and_b32_e32 v5, 0x100, v5
	v_cmp_ne_u32_e32 vcc, 0, v5
                                        ; implicit-def: $vgpr5_vgpr6
	s_and_saveexec_b64 s[40:41], vcc
	s_cbranch_execz .LBB12_2977
; %bb.2974:                             ;   in Loop: Header=BB12_2954 Depth=3
	buffer_load_dword v5, off, s[0:3], s33 offset:412 ; 4-byte Folded Reload
	buffer_load_dword v6, off, s[0:3], s33 offset:416 ; 4-byte Folded Reload
	;; [unrolled: 1-line block ×4, first 2 shown]
	s_waitcnt vmcnt(0)
	v_mad_u64_u32 v[7:8], s[26:27], v3, 24, v[5:6]
	v_mov_b32_e32 v5, v8
	v_mad_u64_u32 v[5:6], s[26:27], v4, 24, v[5:6]
	v_mov_b32_e32 v8, v5
	flat_load_dword v5, v[7:8]
	s_waitcnt vmcnt(0) lgkmcnt(0)
	v_cmp_ne_u32_e32 vcc, 1, v5
	v_cmp_eq_u32_e64 s[26:27], 1, v5
                                        ; implicit-def: $vgpr5_vgpr6
	s_and_saveexec_b64 s[88:89], s[26:27]
	s_cbranch_execz .LBB12_2976
; %bb.2975:                             ;   in Loop: Header=BB12_2954 Depth=3
	flat_load_dword v5, v[7:8] offset:4 glc
	s_waitcnt vmcnt(0) lgkmcnt(0)
	v_ashrrev_i32_e32 v6, 31, v5
	v_lshrrev_b64 v[5:6], 1, v[5:6]
.LBB12_2976:                            ;   in Loop: Header=BB12_2954 Depth=3
	s_or_b64 exec, exec, s[88:89]
	s_orn2_b64 s[26:27], vcc, exec
.LBB12_2977:                            ;   in Loop: Header=BB12_2954 Depth=3
	s_or_b64 exec, exec, s[40:41]
	s_and_saveexec_b64 s[40:41], s[26:27]
	s_cbranch_execz .LBB12_2979
; %bb.2978:                             ;   in Loop: Header=BB12_2954 Depth=3
	buffer_load_dword v5, off, s[0:3], s33 offset:436 ; 4-byte Folded Reload
	buffer_load_dword v6, off, s[0:3], s33 offset:440 ; 4-byte Folded Reload
	s_waitcnt vmcnt(0)
	v_mul_lo_u32 v4, v4, v5
	v_mul_lo_u32 v7, v3, v6
	v_mad_u64_u32 v[5:6], s[26:27], v3, v5, 0
	v_add3_u32 v6, v6, v7, v4
.LBB12_2979:                            ;   in Loop: Header=BB12_2954 Depth=3
	s_or_b64 exec, exec, s[40:41]
	v_cmp_eq_u32_e32 vcc, 0, v0
	v_mov_b32_e32 v0, 0xd0
	v_mov_b32_e32 v3, 0x88
	v_cndmask_b32_e32 v0, v0, v3, vcc
	v_lshlrev_b64 v[3:4], 1, v[5:6]
	buffer_load_dword v5, off, s[0:3], s33 offset:404 ; 4-byte Folded Reload
	buffer_load_dword v6, off, s[0:3], s33 offset:408 ; 4-byte Folded Reload
	v_add_u32_e32 v0, v0, v0
	s_waitcnt vmcnt(0)
	v_add_co_u32_e32 v3, vcc, v5, v3
	v_addc_co_u32_e32 v4, vcc, v6, v4, vcc
	ds_write_b64 v0, v[3:4] offset:584
	buffer_load_dword v0, off, s[0:3], s33 offset:156 ; 4-byte Folded Reload
	s_waitcnt vmcnt(0)
	v_and_b32_e32 v0, 0x2000, v0
	v_cmp_ne_u32_e32 vcc, 0, v0
	s_and_saveexec_b64 s[26:27], vcc
	s_cbranch_execz .LBB12_2981
; %bb.2980:                             ;   in Loop: Header=BB12_2954 Depth=3
	ds_read_b64 v[3:4], v0 offset:872
	s_waitcnt lgkmcnt(0)
	v_add_co_u32_e32 v3, vcc, 1, v3
	v_addc_co_u32_e32 v4, vcc, 0, v4, vcc
	ds_write_b64 v0, v[3:4] offset:872
.LBB12_2981:                            ;   in Loop: Header=BB12_2954 Depth=3
	s_or_b64 exec, exec, s[26:27]
	buffer_store_dword v1, off, s[0:3], s33 offset:256 ; 4-byte Folded Spill
	s_nop 0
	buffer_store_dword v2, off, s[0:3], s33 offset:260 ; 4-byte Folded Spill
.LBB12_2982:                            ;   in Loop: Header=BB12_2954 Depth=3
	s_or_b64 exec, exec, s[28:29]
	s_and_saveexec_b64 s[26:27], s[10:11]
	s_cbranch_execz .LBB12_3001
; %bb.2983:                             ;   in Loop: Header=BB12_2954 Depth=3
	s_and_saveexec_b64 s[28:29], s[58:59]
	s_xor_b64 s[28:29], exec, s[28:29]
	s_cbranch_execz .LBB12_2998
; %bb.2984:                             ;   in Loop: Header=BB12_2954 Depth=3
	s_and_saveexec_b64 s[40:41], s[16:17]
	s_cbranch_execz .LBB12_2997
; %bb.2985:                             ;   in Loop: Header=BB12_2954 Depth=3
	s_mov_b64 s[90:91], exec
	v_mbcnt_lo_u32_b32 v0, s90, 0
	v_mbcnt_hi_u32_b32 v0, s91, v0
	v_cmp_eq_u32_e32 vcc, 0, v0
	s_waitcnt vmcnt(0) lgkmcnt(0)
	buffer_wbinvl1_vol
	s_and_saveexec_b64 s[88:89], vcc
	s_cbranch_execz .LBB12_2987
; %bb.2986:                             ;   in Loop: Header=BB12_2954 Depth=3
	buffer_load_dword v1, off, s[0:3], s33 offset:128 ; 4-byte Folded Reload
	buffer_load_dword v2, off, s[0:3], s33 offset:132 ; 4-byte Folded Reload
	s_bcnt1_i32_b64 s77, s[90:91]
	v_mov_b32_e32 v0, s77
	s_waitcnt vmcnt(1)
	ds_add_u64 v0, v[0:1]
	s_trap 2
.LBB12_2987:                            ;   in Loop: Header=BB12_2954 Depth=3
	s_or_b64 exec, exec, s[88:89]
	s_trap 2
	ds_read_b64 v[0:1], v0
	s_waitcnt lgkmcnt(0)
	buffer_load_dword v2, off, s[0:3], s33 offset:152 ; 4-byte Folded Reload
	buffer_load_dword v3, off, s[0:3], s33 offset:160 ; 4-byte Folded Reload
	;; [unrolled: 1-line block ×3, first 2 shown]
	s_waitcnt vmcnt(1)
	v_add_co_u32_e32 v3, vcc, v3, v2
	s_waitcnt vmcnt(0)
	v_addc_co_u32_e32 v4, vcc, 0, v4, vcc
	buffer_store_dword v3, off, s[0:3], s33 offset:160 ; 4-byte Folded Spill
	s_nop 0
	buffer_store_dword v4, off, s[0:3], s33 offset:164 ; 4-byte Folded Spill
	v_cmp_lt_u64_e32 vcc, v[0:1], v[3:4]
	s_and_saveexec_b64 s[88:89], vcc
	s_cbranch_execz .LBB12_2996
; %bb.2988:                             ;   in Loop: Header=BB12_2954 Depth=3
	s_mov_b32 s77, 0
	s_mov_b64 s[90:91], 0
                                        ; implicit-def: $sgpr92_sgpr93
                                        ; implicit-def: $sgpr94_sgpr95
	s_branch .LBB12_2990
.LBB12_2989:                            ;   in Loop: Header=BB12_2990 Depth=4
	s_or_b64 exec, exec, s[34:35]
	s_and_b64 vcc, exec, vcc
	s_or_b64 s[90:91], vcc, s[90:91]
	s_andn2_b64 s[92:93], s[92:93], exec
	s_and_b64 vcc, s[94:95], exec
	s_or_b64 s[92:93], s[92:93], vcc
	s_andn2_b64 exec, exec, s[90:91]
	s_cbranch_execz .LBB12_2994
.LBB12_2990:                            ;   Parent Loop BB12_47 Depth=1
                                        ;     Parent Loop BB12_2951 Depth=2
                                        ;       Parent Loop BB12_2954 Depth=3
                                        ; =>      This Inner Loop Header: Depth=4
	s_add_i32 s77, s77, 1
	s_cmpk_lg_i32 s77, 0x2710
	s_cselect_b64 s[30:31], -1, 0
	s_and_b64 vcc, exec, s[30:31]
	s_cbranch_vccz .LBB12_2992
; %bb.2991:                             ;   in Loop: Header=BB12_2990 Depth=4
	s_mov_b64 vcc, -1
	s_or_b64 s[94:95], s[94:95], exec
	s_and_saveexec_b64 s[34:35], s[30:31]
	s_cbranch_execz .LBB12_2989
	s_branch .LBB12_2993
.LBB12_2992:                            ;   in Loop: Header=BB12_2990 Depth=4
	s_trap 2
	ds_read_b64 v[0:1], v0
	s_andn2_b64 s[30:31], s[30:31], exec
	s_mov_b32 s77, 0
	s_waitcnt vmcnt(0) lgkmcnt(0)
	flat_load_dword v0, v[0:1] glc
	s_waitcnt vmcnt(0) lgkmcnt(0)
	buffer_wbinvl1_vol
	v_cmp_eq_u32_e32 vcc, 0, v0
	s_and_b64 vcc, vcc, exec
	s_or_b64 s[30:31], s[30:31], vcc
	s_mov_b64 vcc, -1
	s_or_b64 s[94:95], s[94:95], exec
	s_and_saveexec_b64 s[34:35], s[30:31]
	s_cbranch_execz .LBB12_2989
.LBB12_2993:                            ;   in Loop: Header=BB12_2990 Depth=4
	s_sleep 1
	s_trap 2
	ds_read_b64 v[0:1], v0
	s_waitcnt lgkmcnt(0)
	buffer_load_dword v2, off, s[0:3], s33 offset:160 ; 4-byte Folded Reload
	buffer_load_dword v3, off, s[0:3], s33 offset:164 ; 4-byte Folded Reload
	s_andn2_b64 s[94:95], s[94:95], exec
	s_waitcnt vmcnt(0)
	v_cmp_ge_u64_e32 vcc, v[0:1], v[2:3]
	s_orn2_b64 vcc, vcc, exec
	s_branch .LBB12_2989
.LBB12_2994:                            ;   in Loop: Header=BB12_2954 Depth=3
	s_or_b64 exec, exec, s[90:91]
	s_and_saveexec_b64 s[90:91], s[92:93]
	s_xor_b64 s[90:91], exec, s[90:91]
	s_cbranch_execz .LBB12_2996
; %bb.2995:                             ;   in Loop: Header=BB12_2954 Depth=3
	v_mov_b32_e32 v0, 1
	ds_write_b32 v0, v0
	s_trap 2
.LBB12_2996:                            ;   in Loop: Header=BB12_2954 Depth=3
	s_or_b64 exec, exec, s[88:89]
	;;#ASMSTART
	s_wakeup
	;;#ASMEND
.LBB12_2997:                            ;   in Loop: Header=BB12_2954 Depth=3
	s_or_b64 exec, exec, s[40:41]
.LBB12_2998:                            ;   in Loop: Header=BB12_2954 Depth=3
	s_andn2_saveexec_b64 s[28:29], s[28:29]
	s_cbranch_execz .LBB12_3000
; %bb.2999:                             ;   in Loop: Header=BB12_2954 Depth=3
	s_waitcnt vmcnt(0) lgkmcnt(0)
	buffer_wbinvl1_vol
	s_barrier
.LBB12_3000:                            ;   in Loop: Header=BB12_2954 Depth=3
	s_or_b64 exec, exec, s[28:29]
.LBB12_3001:                            ;   in Loop: Header=BB12_2954 Depth=3
	s_or_b64 exec, exec, s[26:27]
	s_trap 2
	buffer_load_dword v1, off, s[0:3], s33 offset:156 ; 4-byte Folded Reload
	ds_read_b32 v0, v0
	s_xor_b64 s[26:27], s[6:7], -1
	s_waitcnt vmcnt(0)
	v_and_b32_e32 v1, 0x4000, v1
	v_cmp_ne_u32_e32 vcc, 0, v1
	s_and_b64 s[28:29], s[26:27], vcc
	s_and_saveexec_b64 s[26:27], s[28:29]
	s_cbranch_execz .LBB12_3020
; %bb.3002:                             ;   in Loop: Header=BB12_2954 Depth=3
	s_and_saveexec_b64 s[28:29], s[58:59]
	s_xor_b64 s[28:29], exec, s[28:29]
	s_cbranch_execz .LBB12_3017
; %bb.3003:                             ;   in Loop: Header=BB12_2954 Depth=3
	s_and_saveexec_b64 s[40:41], s[16:17]
	s_cbranch_execz .LBB12_3016
; %bb.3004:                             ;   in Loop: Header=BB12_2954 Depth=3
	s_mov_b64 s[90:91], exec
	v_mbcnt_lo_u32_b32 v1, s90, 0
	v_mbcnt_hi_u32_b32 v1, s91, v1
	v_cmp_eq_u32_e32 vcc, 0, v1
	s_waitcnt lgkmcnt(0)
	buffer_wbinvl1_vol
	s_and_saveexec_b64 s[88:89], vcc
	s_cbranch_execz .LBB12_3006
; %bb.3005:                             ;   in Loop: Header=BB12_2954 Depth=3
	buffer_load_dword v2, off, s[0:3], s33 offset:128 ; 4-byte Folded Reload
	buffer_load_dword v3, off, s[0:3], s33 offset:132 ; 4-byte Folded Reload
	s_bcnt1_i32_b64 s77, s[90:91]
	v_mov_b32_e32 v1, s77
	s_waitcnt vmcnt(1)
	ds_add_u64 v0, v[1:2]
	s_trap 2
.LBB12_3006:                            ;   in Loop: Header=BB12_2954 Depth=3
	s_or_b64 exec, exec, s[88:89]
	s_trap 2
	ds_read_b64 v[1:2], v0
	s_waitcnt lgkmcnt(0)
	buffer_load_dword v3, off, s[0:3], s33 offset:152 ; 4-byte Folded Reload
	buffer_load_dword v4, off, s[0:3], s33 offset:160 ; 4-byte Folded Reload
	;; [unrolled: 1-line block ×3, first 2 shown]
	s_waitcnt vmcnt(1)
	v_add_co_u32_e32 v4, vcc, v4, v3
	s_waitcnt vmcnt(0)
	v_addc_co_u32_e32 v5, vcc, 0, v5, vcc
	buffer_store_dword v4, off, s[0:3], s33 offset:160 ; 4-byte Folded Spill
	s_nop 0
	buffer_store_dword v5, off, s[0:3], s33 offset:164 ; 4-byte Folded Spill
	v_cmp_lt_u64_e32 vcc, v[1:2], v[4:5]
	s_and_saveexec_b64 s[88:89], vcc
	s_cbranch_execz .LBB12_3015
; %bb.3007:                             ;   in Loop: Header=BB12_2954 Depth=3
	s_mov_b32 s77, 0
	s_mov_b64 s[90:91], 0
                                        ; implicit-def: $sgpr92_sgpr93
                                        ; implicit-def: $sgpr94_sgpr95
	s_branch .LBB12_3009
.LBB12_3008:                            ;   in Loop: Header=BB12_3009 Depth=4
	s_or_b64 exec, exec, s[34:35]
	s_and_b64 vcc, exec, vcc
	s_or_b64 s[90:91], vcc, s[90:91]
	s_andn2_b64 s[92:93], s[92:93], exec
	s_and_b64 vcc, s[94:95], exec
	s_or_b64 s[92:93], s[92:93], vcc
	s_andn2_b64 exec, exec, s[90:91]
	s_cbranch_execz .LBB12_3013
.LBB12_3009:                            ;   Parent Loop BB12_47 Depth=1
                                        ;     Parent Loop BB12_2951 Depth=2
                                        ;       Parent Loop BB12_2954 Depth=3
                                        ; =>      This Inner Loop Header: Depth=4
	s_add_i32 s77, s77, 1
	s_cmpk_lg_i32 s77, 0x2710
	s_cselect_b64 s[30:31], -1, 0
	s_and_b64 vcc, exec, s[30:31]
	s_cbranch_vccz .LBB12_3011
; %bb.3010:                             ;   in Loop: Header=BB12_3009 Depth=4
	s_mov_b64 vcc, -1
	s_or_b64 s[94:95], s[94:95], exec
	s_and_saveexec_b64 s[34:35], s[30:31]
	s_cbranch_execz .LBB12_3008
	s_branch .LBB12_3012
.LBB12_3011:                            ;   in Loop: Header=BB12_3009 Depth=4
	s_trap 2
	ds_read_b64 v[1:2], v0
	s_andn2_b64 s[30:31], s[30:31], exec
	s_mov_b32 s77, 0
	s_waitcnt vmcnt(0) lgkmcnt(0)
	flat_load_dword v1, v[1:2] glc
	s_waitcnt vmcnt(0) lgkmcnt(0)
	buffer_wbinvl1_vol
	v_cmp_eq_u32_e32 vcc, 0, v1
	s_and_b64 vcc, vcc, exec
	s_or_b64 s[30:31], s[30:31], vcc
	s_mov_b64 vcc, -1
	s_or_b64 s[94:95], s[94:95], exec
	s_and_saveexec_b64 s[34:35], s[30:31]
	s_cbranch_execz .LBB12_3008
.LBB12_3012:                            ;   in Loop: Header=BB12_3009 Depth=4
	s_sleep 1
	s_trap 2
	ds_read_b64 v[1:2], v0
	s_waitcnt lgkmcnt(0)
	buffer_load_dword v3, off, s[0:3], s33 offset:160 ; 4-byte Folded Reload
	buffer_load_dword v4, off, s[0:3], s33 offset:164 ; 4-byte Folded Reload
	s_andn2_b64 s[94:95], s[94:95], exec
	s_waitcnt vmcnt(0)
	v_cmp_ge_u64_e32 vcc, v[1:2], v[3:4]
	s_orn2_b64 vcc, vcc, exec
	s_branch .LBB12_3008
.LBB12_3013:                            ;   in Loop: Header=BB12_2954 Depth=3
	s_or_b64 exec, exec, s[90:91]
	s_and_saveexec_b64 s[90:91], s[92:93]
	s_xor_b64 s[90:91], exec, s[90:91]
	s_cbranch_execz .LBB12_3015
; %bb.3014:                             ;   in Loop: Header=BB12_2954 Depth=3
	v_mov_b32_e32 v1, 1
	ds_write_b32 v0, v1
	s_trap 2
.LBB12_3015:                            ;   in Loop: Header=BB12_2954 Depth=3
	s_or_b64 exec, exec, s[88:89]
	;;#ASMSTART
	s_wakeup
	;;#ASMEND
.LBB12_3016:                            ;   in Loop: Header=BB12_2954 Depth=3
	s_or_b64 exec, exec, s[40:41]
.LBB12_3017:                            ;   in Loop: Header=BB12_2954 Depth=3
	s_andn2_saveexec_b64 s[28:29], s[28:29]
	s_cbranch_execz .LBB12_3019
; %bb.3018:                             ;   in Loop: Header=BB12_2954 Depth=3
	s_waitcnt vmcnt(0) lgkmcnt(0)
	buffer_wbinvl1_vol
	s_barrier
.LBB12_3019:                            ;   in Loop: Header=BB12_2954 Depth=3
	s_or_b64 exec, exec, s[28:29]
.LBB12_3020:                            ;   in Loop: Header=BB12_2954 Depth=3
	s_or_b64 exec, exec, s[26:27]
	s_trap 2
	s_waitcnt lgkmcnt(0)
	ds_read_b64 v[58:59], v0
	s_waitcnt lgkmcnt(0)
	v_cmp_eq_u64_e32 vcc, 0, v[58:59]
	s_cbranch_vccnz .LBB12_3036
; %bb.3021:                             ;   in Loop: Header=BB12_2954 Depth=3
	s_trap 2
	ds_read_b64 v[60:61], v0
	s_waitcnt lgkmcnt(0)
	v_cmp_eq_u64_e32 vcc, 0, v[60:61]
	s_cbranch_vccnz .LBB12_3036
; %bb.3022:                             ;   in Loop: Header=BB12_2954 Depth=3
	s_trap 2
	ds_read_b64 v[34:35], v0
	v_cmp_eq_u32_e32 vcc, 0, v0
	v_cndmask_b32_e32 v43, 0, v42, vcc
	v_lshlrev_b32_e32 v15, 1, v43
	s_mov_b64 s[26:27], -1
	s_waitcnt lgkmcnt(0)
	v_cmp_ne_u64_e32 vcc, 0, v[34:35]
	s_cbranch_vccz .LBB12_3094
; %bb.3023:                             ;   in Loop: Header=BB12_2954 Depth=3
	s_and_saveexec_b64 s[28:29], s[20:21]
	s_cbranch_execz .LBB12_3025
; %bb.3024:                             ;   in Loop: Header=BB12_2954 Depth=3
	ds_read_b32 v0, v0 offset:720
	s_waitcnt lgkmcnt(0)
	v_and_b32_e32 v0, 15, v0
	v_cmp_eq_u32_e32 vcc, 0, v0
	s_orn2_b64 s[26:27], vcc, exec
.LBB12_3025:                            ;   in Loop: Header=BB12_2954 Depth=3
	s_or_b64 exec, exec, s[28:29]
	s_and_saveexec_b64 s[28:29], s[22:23]
	s_cbranch_execz .LBB12_3027
; %bb.3026:                             ;   in Loop: Header=BB12_2954 Depth=3
	ds_read_b32 v0, v0 offset:784
	s_waitcnt lgkmcnt(0)
	v_and_b32_e32 v0, 15, v0
	v_cmp_eq_u32_e32 vcc, 0, v0
	s_and_b64 s[40:41], s[26:27], vcc
	s_andn2_b64 s[26:27], s[26:27], exec
	s_and_b64 s[40:41], s[40:41], exec
	s_or_b64 s[26:27], s[26:27], s[40:41]
.LBB12_3027:                            ;   in Loop: Header=BB12_2954 Depth=3
	s_or_b64 exec, exec, s[28:29]
	s_xor_b64 s[26:27], s[26:27], -1
	v_cndmask_b32_e64 v0, 0, 1, s[26:27]
	s_mov_b64 s[28:29], -1
	v_cmp_ne_u32_e32 vcc, 0, v0
	s_cbranch_vccz .LBB12_3041
; %bb.3028:                             ;   in Loop: Header=BB12_2954 Depth=3
	s_mov_b64 s[88:89], -1
	v_mov_b32_e32 v0, 0
	s_cbranch_execnz .LBB12_3042
.LBB12_3029:                            ;   in Loop: Header=BB12_2954 Depth=3
	v_ashrrev_i32_e32 v0, 31, v15
	v_lshrrev_b32_e32 v0, 20, v0
	v_add_u32_e32 v0, v15, v0
	v_ashrrev_i32_e32 v50, 12, v0
	buffer_load_dword v0, off, s[0:3], s33 offset:480 ; 4-byte Folded Reload
	v_mov_b32_e32 v53, v15
	s_mov_b64 s[28:29], 0
                                        ; implicit-def: $vgpr2_vgpr3
                                        ; implicit-def: $vgpr6_vgpr7
                                        ; implicit-def: $vgpr10_vgpr11
                                        ; implicit-def: $vgpr14_vgpr15
	s_waitcnt vmcnt(0)
	v_add_co_u32_e32 v38, vcc, v60, v0
	v_addc_co_u32_e32 v39, vcc, 0, v61, vcc
	v_add_co_u32_e32 v36, vcc, v34, v0
	buffer_load_dword v0, off, s[0:3], s33 offset:488 ; 4-byte Folded Reload
	v_addc_co_u32_e32 v37, vcc, 0, v35, vcc
	s_waitcnt vmcnt(0)
	v_sub_u32_e32 v51, v50, v0
	v_cmp_lt_i32_e32 vcc, 0, v51
	s_and_saveexec_b64 s[26:27], vcc
	s_cbranch_execz .LBB12_3044
; %bb.3030:                             ;   in Loop: Header=BB12_2954 Depth=3
	buffer_load_dword v0, off, s[0:3], s33 offset:480 ; 4-byte Folded Reload
	s_mov_b64 s[90:91], 0
                                        ; implicit-def: $sgpr40_sgpr41
                                        ; implicit-def: $vgpr2_vgpr3
                                        ; implicit-def: $vgpr6_vgpr7
                                        ; implicit-def: $vgpr10_vgpr11
                                        ; implicit-def: $vgpr14_vgpr15
	s_waitcnt vmcnt(0)
	v_add_co_u32_e32 v48, vcc, v58, v0
	v_addc_co_u32_e32 v49, vcc, 0, v59, vcc
	s_branch .LBB12_3032
.LBB12_3031:                            ;   in Loop: Header=BB12_3032 Depth=4
	s_or_b64 exec, exec, s[92:93]
	global_store_dwordx4 v[38:39], v[18:21], off glc slc
	global_store_dwordx4 v[38:39], v[22:25], off offset:1024 glc slc
	global_store_dwordx4 v[38:39], v[26:29], off offset:2048 glc slc
	;; [unrolled: 1-line block ×3, first 2 shown]
	global_store_dwordx4 v[36:37], v[18:21], off glc slc
	global_store_dwordx4 v[36:37], v[22:25], off offset:1024 glc slc
	global_store_dwordx4 v[36:37], v[26:29], off offset:2048 glc slc
	;; [unrolled: 1-line block ×3, first 2 shown]
	buffer_load_dword v22, off, s[0:3], s33 offset:332 ; 4-byte Folded Reload
	s_nop 0
	buffer_load_dword v23, off, s[0:3], s33 offset:336 ; 4-byte Folded Reload
	v_add_co_u32_e32 v38, vcc, s81, v38
	v_addc_co_u32_e32 v39, vcc, 0, v39, vcc
	v_add_co_u32_e32 v18, vcc, s81, v36
	v_addc_co_u32_e32 v19, vcc, 0, v37, vcc
	s_waitcnt vmcnt(12)
	v_sub_u32_e32 v51, v51, v52
	s_waitcnt vmcnt(1)
	v_add_co_u32_e32 v20, vcc, v38, v22
	s_waitcnt vmcnt(0)
	v_addc_co_u32_e32 v21, vcc, v39, v23, vcc
	v_add_co_u32_e32 v22, vcc, v18, v22
	v_addc_co_u32_e32 v23, vcc, v19, v23, vcc
	v_add_co_u32_e32 v48, vcc, v48, v0
	v_addc_co_u32_e32 v49, vcc, v49, v1, vcc
	v_cmp_gt_i32_e32 vcc, 1, v51
	s_or_b64 s[28:29], vcc, s[28:29]
	s_andn2_b64 s[40:41], s[40:41], exec
	s_and_b64 s[92:93], s[90:91], exec
	v_cndmask_b32_e64 v39, v39, v21, s[90:91]
	v_cndmask_b32_e64 v38, v38, v20, s[90:91]
	;; [unrolled: 1-line block ×4, first 2 shown]
	s_or_b64 s[40:41], s[40:41], s[92:93]
	s_andn2_b64 exec, exec, s[28:29]
	s_cbranch_execz .LBB12_3043
.LBB12_3032:                            ;   Parent Loop BB12_47 Depth=1
                                        ;     Parent Loop BB12_2951 Depth=2
                                        ;       Parent Loop BB12_2954 Depth=3
                                        ; =>      This Inner Loop Header: Depth=4
	global_load_dwordx4 v[18:21], v[48:49], off glc slc
	global_load_dwordx4 v[22:25], v[48:49], off offset:1024 glc slc
	global_load_dwordx4 v[26:29], v[48:49], off offset:2048 glc slc
	;; [unrolled: 1-line block ×3, first 2 shown]
	s_and_saveexec_b64 s[92:93], s[90:91]
	s_cbranch_execz .LBB12_3034
; %bb.3033:                             ;   in Loop: Header=BB12_3032 Depth=4
	global_store_dwordx4 v[38:39], v[2:5], off glc slc
	global_store_dwordx4 v[38:39], v[6:9], off offset:1024 glc slc
	global_store_dwordx4 v[38:39], v[10:13], off offset:2048 glc slc
	;; [unrolled: 1-line block ×3, first 2 shown]
	global_store_dwordx4 v[36:37], v[2:5], off glc slc
	global_store_dwordx4 v[36:37], v[6:9], off offset:1024 glc slc
	global_store_dwordx4 v[36:37], v[10:13], off offset:2048 glc slc
	;; [unrolled: 1-line block ×3, first 2 shown]
	buffer_load_dword v0, off, s[0:3], s33 offset:264 ; 4-byte Folded Reload
	buffer_load_dword v1, off, s[0:3], s33 offset:268 ; 4-byte Folded Reload
	s_waitcnt vmcnt(1)
	v_add_co_u32_e32 v38, vcc, v38, v0
	s_waitcnt vmcnt(0)
	v_addc_co_u32_e32 v39, vcc, v39, v1, vcc
	v_add_co_u32_e32 v36, vcc, v36, v0
	v_addc_co_u32_e32 v37, vcc, v37, v1, vcc
.LBB12_3034:                            ;   in Loop: Header=BB12_3032 Depth=4
	s_or_b64 exec, exec, s[92:93]
	buffer_load_dword v0, off, s[0:3], s33 offset:264 ; 4-byte Folded Reload
	v_mov_b32_e32 v52, 0
	s_waitcnt vmcnt(0)
	v_add_co_u32_e32 v48, vcc, v48, v0
	buffer_load_dword v0, off, s[0:3], s33 offset:268 ; 4-byte Folded Reload
	s_waitcnt vmcnt(0)
	v_addc_co_u32_e32 v49, vcc, v49, v0, vcc
	buffer_load_dword v0, off, s[0:3], s33 offset:152 ; 4-byte Folded Reload
	s_waitcnt vmcnt(0)
	v_sub_u32_e32 v51, v51, v0
	v_mov_b32_e32 v0, 0
	v_mov_b32_e32 v1, 0
	v_cmp_lt_i32_e64 s[90:91], 0, v51
	s_and_saveexec_b64 s[92:93], s[90:91]
	s_cbranch_execz .LBB12_3031
; %bb.3035:                             ;   in Loop: Header=BB12_3032 Depth=4
	global_load_dwordx4 v[2:5], v[48:49], off glc slc
	global_load_dwordx4 v[6:9], v[48:49], off offset:1024 glc slc
	global_load_dwordx4 v[10:13], v[48:49], off offset:2048 glc slc
	;; [unrolled: 1-line block ×3, first 2 shown]
	buffer_load_dword v52, off, s[0:3], s33 offset:152 ; 4-byte Folded Reload
	buffer_load_dword v0, off, s[0:3], s33 offset:332 ; 4-byte Folded Reload
	buffer_load_dword v1, off, s[0:3], s33 offset:336 ; 4-byte Folded Reload
	v_add_co_u32_e32 v48, vcc, 0x1000, v48
	v_addc_co_u32_e32 v49, vcc, 0, v49, vcc
	s_branch .LBB12_3031
.LBB12_3036:                            ;   in Loop: Header=BB12_2954 Depth=3
	s_mov_b64 s[26:27], 0
	s_and_saveexec_b64 s[28:29], s[10:11]
	s_cbranch_execnz .LBB12_3152
.LBB12_3037:                            ;   in Loop: Header=BB12_2954 Depth=3
	s_or_b64 exec, exec, s[28:29]
                                        ; implicit-def: $vgpr0
	s_and_saveexec_b64 s[28:29], s[24:25]
	s_xor_b64 s[28:29], exec, s[28:29]
	s_cbranch_execz .LBB12_3170
.LBB12_3038:                            ;   in Loop: Header=BB12_2954 Depth=3
	buffer_load_dword v1, off, s[0:3], s33 offset:156 ; 4-byte Folded Reload
	s_waitcnt vmcnt(0)
	v_and_b32_e32 v0, 16, v1
	v_and_b32_e32 v1, 16, v1
	v_cmp_ne_u32_e32 vcc, 0, v1
	s_and_b64 s[40:41], vcc, s[26:27]
	s_and_saveexec_b64 s[26:27], s[40:41]
	s_cbranch_execz .LBB12_3040
; %bb.3039:                             ;   in Loop: Header=BB12_2954 Depth=3
	v_mov_b32_e32 v0, 1
	s_waitcnt lgkmcnt(0)
	buffer_wbinvl1_vol
.LBB12_3040:                            ;   in Loop: Header=BB12_2954 Depth=3
	s_or_b64 exec, exec, s[26:27]
	s_andn2_saveexec_b64 s[26:27], s[28:29]
	s_cbranch_execz .LBB12_3189
	s_branch .LBB12_3171
.LBB12_3041:                            ;   in Loop: Header=BB12_2954 Depth=3
	s_mov_b64 s[88:89], 0
	s_andn2_b64 vcc, exec, s[28:29]
	v_mov_b32_e32 v0, 0
	s_cbranch_vccz .LBB12_3029
.LBB12_3042:                            ;   in Loop: Header=BB12_2954 Depth=3
	buffer_load_dword v2, off, s[0:3], s33 offset:484 ; 4-byte Folded Reload
	v_mov_b32_e32 v9, v15
	v_mov_b32_e32 v10, v41
	s_and_saveexec_b64 s[40:41], s[88:89]
	s_cbranch_execnz .LBB12_3068
	s_branch .LBB12_3093
.LBB12_3043:                            ;   in Loop: Header=BB12_2954 Depth=3
	s_or_b64 exec, exec, s[28:29]
	s_and_b64 s[28:29], s[40:41], exec
.LBB12_3044:                            ;   in Loop: Header=BB12_2954 Depth=3
	s_or_b64 exec, exec, s[26:27]
	s_and_saveexec_b64 s[26:27], s[28:29]
	s_cbranch_execz .LBB12_3046
; %bb.3045:                             ;   in Loop: Header=BB12_2954 Depth=3
	global_store_dwordx4 v[38:39], v[2:5], off glc slc
	global_store_dwordx4 v[38:39], v[6:9], off offset:1024 glc slc
	global_store_dwordx4 v[38:39], v[10:13], off offset:2048 glc slc
	;; [unrolled: 1-line block ×3, first 2 shown]
	global_store_dwordx4 v[36:37], v[2:5], off glc slc
	global_store_dwordx4 v[36:37], v[6:9], off offset:1024 glc slc
	global_store_dwordx4 v[36:37], v[10:13], off offset:2048 glc slc
	;; [unrolled: 1-line block ×3, first 2 shown]
.LBB12_3046:                            ;   in Loop: Header=BB12_2954 Depth=3
	s_or_b64 exec, exec, s[26:27]
	v_lshlrev_b32_e32 v1, 12, v50
	v_mov_b32_e32 v15, v53
	v_cmp_ne_u32_e32 vcc, v15, v1
                                        ; implicit-def: $vgpr9
                                        ; implicit-def: $vgpr0
                                        ; implicit-def: $vgpr2
                                        ; implicit-def: $vgpr10
	s_and_saveexec_b64 s[90:91], vcc
	s_cbranch_execz .LBB12_3067
; %bb.3047:                             ;   in Loop: Header=BB12_2954 Depth=3
	v_lshlrev_b32_e32 v2, 6, v51
	v_sub_u32_e32 v2, v41, v2
	v_ashrrev_i32_e32 v3, 31, v2
	v_lshrrev_b32_e32 v3, 26, v3
	v_add_u32_e32 v3, v2, v3
	v_ashrrev_i32_e32 v6, 6, v3
	v_and_b32_e32 v3, 0xffffffc0, v3
	v_sub_u32_e32 v12, v2, v3
	v_lshlrev_b32_e32 v2, 4, v12
	v_sub_u32_e32 v0, v15, v1
	v_lshl_add_u32 v2, v6, 10, v2
	v_add_u32_e32 v4, v2, v1
	v_sub_u32_e32 v19, v0, v2
	v_ashrrev_i32_e32 v2, 31, v0
	v_lshrrev_b32_e32 v2, 22, v2
	v_add_u32_e32 v2, v0, v2
	v_and_b32_e32 v13, 0xfffffc00, v2
	v_sub_u32_e32 v14, v0, v13
	v_ashrrev_i32_e32 v3, 10, v2
	v_cmp_lt_i32_e64 s[26:27], 15, v14
	v_addc_co_u32_e64 v2, vcc, 0, v3, s[26:27]
	v_ashrrev_i32_e32 v5, 31, v4
	v_add_co_u32_e32 v0, vcc, v4, v60
	v_addc_co_u32_e32 v16, vcc, v5, v61, vcc
	v_add_co_u32_e32 v17, vcc, v4, v34
	v_addc_co_u32_e32 v18, vcc, v5, v35, vcc
	v_sub_u32_e32 v15, v2, v6
	v_cmp_lt_i32_e32 vcc, 15, v19
	s_mov_b64 s[28:29], 0
                                        ; implicit-def: $vgpr2_vgpr3
	s_and_saveexec_b64 s[92:93], vcc
	s_cbranch_execz .LBB12_3061
; %bb.3048:                             ;   in Loop: Header=BB12_2954 Depth=3
	v_add_co_u32_e32 v10, vcc, v4, v58
	v_addc_co_u32_e32 v11, vcc, v5, v59, vcc
	s_mov_b64 s[34:35], 0
	s_mov_b64 s[94:95], 0
                                        ; implicit-def: $sgpr30_sgpr31
                                        ; implicit-def: $vgpr2_vgpr3
	s_branch .LBB12_3050
.LBB12_3049:                            ;   in Loop: Header=BB12_3050 Depth=4
	s_or_b64 exec, exec, s[28:29]
	v_cmp_gt_i32_e32 vcc, 16, v19
	s_or_b64 s[94:95], vcc, s[94:95]
	s_andn2_b64 s[28:29], s[30:31], exec
	s_and_b64 s[40:41], s[34:35], exec
	s_or_b64 s[30:31], s[28:29], s[40:41]
	s_andn2_b64 exec, exec, s[94:95]
	s_cbranch_execz .LBB12_3060
.LBB12_3050:                            ;   Parent Loop BB12_47 Depth=1
                                        ;     Parent Loop BB12_2951 Depth=2
                                        ;       Parent Loop BB12_2954 Depth=3
                                        ; =>      This Loop Header: Depth=4
                                        ;           Child Loop BB12_3052 Depth 5
                                        ;           Child Loop BB12_3057 Depth 5
	global_load_dwordx4 v[6:9], v[10:11], off glc slc
	s_and_saveexec_b64 s[36:37], s[34:35]
	s_cbranch_execz .LBB12_3054
; %bb.3051:                             ;   in Loop: Header=BB12_3050 Depth=4
	s_mov_b64 s[38:39], 0
	s_mov_b64 s[34:35], -1
.LBB12_3052:                            ;   Parent Loop BB12_47 Depth=1
                                        ;     Parent Loop BB12_2951 Depth=2
                                        ;       Parent Loop BB12_2954 Depth=3
                                        ;         Parent Loop BB12_3050 Depth=4
                                        ; =>        This Inner Loop Header: Depth=5
	s_cmp_eq_u32 s38, 1
	s_cselect_b64 s[28:29], -1, 0
	v_cndmask_b32_e64 v21, v16, v18, s[28:29]
	v_cndmask_b32_e64 v20, v0, v17, s[28:29]
	global_store_dwordx4 v[20:21], v[2:5], off glc slc
	v_add_co_u32_e32 v20, vcc, 0x400, v20
	s_cmp_eq_u32 s38, 0
	v_addc_co_u32_e32 v21, vcc, 0, v21, vcc
	s_cselect_b64 vcc, -1, 0
	s_and_b64 s[40:41], exec, s[34:35]
	s_mov_b64 s[38:39], 1
	v_cndmask_b32_e64 v17, v17, v20, s[28:29]
	s_mov_b64 s[34:35], 0
	v_cndmask_b32_e64 v18, v18, v21, s[28:29]
	v_cndmask_b32_e32 v16, v16, v21, vcc
	v_cndmask_b32_e32 v0, v0, v20, vcc
	s_mov_b64 vcc, s[40:41]
	s_cbranch_vccnz .LBB12_3052
; %bb.3053:                             ;   in Loop: Header=BB12_3050 Depth=4
	buffer_load_dword v20, off, s[0:3], s33 offset:340 ; 4-byte Folded Reload
	v_add_co_u32_e32 v0, vcc, v0, v46
	s_waitcnt vmcnt(0)
	v_addc_co_u32_e32 v16, vcc, v16, v20, vcc
	v_add_co_u32_e32 v17, vcc, v17, v46
	v_addc_co_u32_e32 v18, vcc, v18, v20, vcc
.LBB12_3054:                            ;   in Loop: Header=BB12_3050 Depth=4
	s_or_b64 exec, exec, s[36:37]
	buffer_load_dword v20, off, s[0:3], s33 offset:344 ; 4-byte Folded Reload
	v_sub_u32_e32 v19, v19, v44
	v_cmp_lt_i32_e64 s[34:35], 15, v19
	s_waitcnt vmcnt(0)
	v_add_co_u32_e32 v10, vcc, v20, v10
	buffer_load_dword v20, off, s[0:3], s33 offset:348 ; 4-byte Folded Reload
	s_waitcnt vmcnt(0)
	v_addc_co_u32_e32 v11, vcc, v20, v11, vcc
	s_and_saveexec_b64 s[28:29], s[34:35]
	s_cbranch_execz .LBB12_3056
; %bb.3055:                             ;   in Loop: Header=BB12_3050 Depth=4
	global_load_dwordx4 v[2:5], v[10:11], off glc slc
	v_add_co_u32_e32 v10, vcc, 0x400, v10
	v_addc_co_u32_e32 v11, vcc, 0, v11, vcc
.LBB12_3056:                            ;   in Loop: Header=BB12_3050 Depth=4
	s_or_b64 exec, exec, s[28:29]
	s_mov_b64 s[38:39], 0
	s_mov_b64 s[36:37], -1
.LBB12_3057:                            ;   Parent Loop BB12_47 Depth=1
                                        ;     Parent Loop BB12_2951 Depth=2
                                        ;       Parent Loop BB12_2954 Depth=3
                                        ;         Parent Loop BB12_3050 Depth=4
                                        ; =>        This Inner Loop Header: Depth=5
	s_cmp_eq_u32 s38, 1
	s_cselect_b64 s[28:29], -1, 0
	v_cndmask_b32_e64 v21, v16, v18, s[28:29]
	v_cndmask_b32_e64 v20, v0, v17, s[28:29]
	global_store_dwordx4 v[20:21], v[6:9], off glc slc
	v_add_co_u32_e32 v20, vcc, 0x400, v20
	s_cmp_eq_u32 s38, 0
	v_addc_co_u32_e32 v21, vcc, 0, v21, vcc
	s_cselect_b64 vcc, -1, 0
	s_and_b64 s[40:41], exec, s[36:37]
	s_mov_b64 s[38:39], 1
	v_cndmask_b32_e64 v17, v17, v20, s[28:29]
	s_mov_b64 s[36:37], 0
	v_cndmask_b32_e64 v18, v18, v21, s[28:29]
	v_cndmask_b32_e32 v16, v16, v21, vcc
	v_cndmask_b32_e32 v0, v0, v20, vcc
	s_mov_b64 vcc, s[40:41]
	s_cbranch_vccnz .LBB12_3057
; %bb.3058:                             ;   in Loop: Header=BB12_3050 Depth=4
	buffer_load_dword v6, off, s[0:3], s33 offset:152 ; 4-byte Folded Reload
	s_waitcnt vmcnt(0)
	v_sub_u32_e32 v15, v15, v6
	s_and_saveexec_b64 s[28:29], s[34:35]
	s_cbranch_execz .LBB12_3049
; %bb.3059:                             ;   in Loop: Header=BB12_3050 Depth=4
	buffer_load_dword v6, off, s[0:3], s33 offset:340 ; 4-byte Folded Reload
	v_add_co_u32_e32 v0, vcc, v0, v46
	v_sub_u32_e32 v19, v19, v44
	s_waitcnt vmcnt(0)
	v_addc_co_u32_e32 v16, vcc, v16, v6, vcc
	v_add_co_u32_e32 v17, vcc, v17, v46
	v_addc_co_u32_e32 v18, vcc, v18, v6, vcc
	v_add_co_u32_e32 v10, vcc, v10, v46
	v_addc_co_u32_e32 v11, vcc, v11, v6, vcc
	buffer_load_dword v6, off, s[0:3], s33 offset:152 ; 4-byte Folded Reload
	s_waitcnt vmcnt(0)
	v_sub_u32_e32 v15, v15, v6
	s_branch .LBB12_3049
.LBB12_3060:                            ;   in Loop: Header=BB12_2954 Depth=3
	s_or_b64 exec, exec, s[94:95]
	s_and_b64 s[28:29], s[30:31], exec
.LBB12_3061:                            ;   in Loop: Header=BB12_2954 Depth=3
	s_or_b64 exec, exec, s[92:93]
	s_and_saveexec_b64 s[92:93], s[28:29]
	s_cbranch_execz .LBB12_3064
; %bb.3062:                             ;   in Loop: Header=BB12_2954 Depth=3
	s_mov_b64 s[30:31], 0
	s_mov_b64 s[94:95], -1
.LBB12_3063:                            ;   Parent Loop BB12_47 Depth=1
                                        ;     Parent Loop BB12_2951 Depth=2
                                        ;       Parent Loop BB12_2954 Depth=3
                                        ; =>      This Inner Loop Header: Depth=4
	s_cmp_eq_u32 s30, 1
	s_cselect_b64 s[28:29], -1, 0
	v_cndmask_b32_e64 v7, v16, v18, s[28:29]
	v_cndmask_b32_e64 v6, v0, v17, s[28:29]
	global_store_dwordx4 v[6:7], v[2:5], off glc slc
	v_add_co_u32_e32 v6, vcc, 0x400, v6
	s_cmp_eq_u32 s30, 0
	v_addc_co_u32_e32 v7, vcc, 0, v7, vcc
	s_cselect_b64 vcc, -1, 0
	s_and_b64 s[40:41], exec, s[94:95]
	s_mov_b64 s[30:31], 1
	v_cndmask_b32_e64 v17, v17, v6, s[28:29]
	s_mov_b64 s[94:95], 0
	v_cndmask_b32_e64 v18, v18, v7, s[28:29]
	v_cndmask_b32_e32 v16, v16, v7, vcc
	v_cndmask_b32_e32 v0, v0, v6, vcc
	s_mov_b64 vcc, s[40:41]
	s_cbranch_vccnz .LBB12_3063
.LBB12_3064:                            ;   in Loop: Header=BB12_2954 Depth=3
	s_or_b64 exec, exec, s[92:93]
	v_and_b32_e32 v3, 14, v53
	v_cndmask_b32_e64 v9, v14, v3, s[26:27]
	v_cmp_ne_u32_e32 vcc, 0, v9
	s_mov_b64 s[28:29], s[88:89]
                                        ; implicit-def: $vgpr0
                                        ; implicit-def: $vgpr2
                                        ; implicit-def: $vgpr10
	s_and_saveexec_b64 s[40:41], vcc
	s_cbranch_execz .LBB12_3066
; %bb.3065:                             ;   in Loop: Header=BB12_2954 Depth=3
	v_sub_u32_e32 v0, v14, v3
	v_cndmask_b32_e64 v0, 0, v0, s[26:27]
	v_add3_u32 v0, v13, v1, v0
	buffer_load_dword v1, off, s[0:3], s33 offset:152 ; 4-byte Folded Reload
	v_cmp_lt_i32_e32 vcc, 0, v15
	s_or_b64 s[28:29], s[88:89], exec
	s_waitcnt vmcnt(0)
	v_cndmask_b32_e32 v1, 0, v1, vcc
	v_sub_u32_e32 v1, v1, v15
	v_lshl_add_u32 v2, v1, 6, v12
	v_ashrrev_i32_e32 v1, 31, v2
	v_lshrrev_b32_e32 v1, 26, v1
	v_add_u32_e32 v1, v2, v1
	v_and_b32_e32 v1, 0xffffffc0, v1
	v_sub_u32_e32 v10, v2, v1
.LBB12_3066:                            ;   in Loop: Header=BB12_2954 Depth=3
	s_or_b64 exec, exec, s[40:41]
	s_andn2_b64 s[26:27], s[88:89], exec
	s_and_b64 s[28:29], s[28:29], exec
	s_or_b64 s[88:89], s[26:27], s[28:29]
	v_mov_b32_e32 v15, v53
.LBB12_3067:                            ;   in Loop: Header=BB12_2954 Depth=3
	s_or_b64 exec, exec, s[90:91]
	s_and_saveexec_b64 s[40:41], s[88:89]
	s_cbranch_execz .LBB12_3093
.LBB12_3068:                            ;   in Loop: Header=BB12_2954 Depth=3
	s_waitcnt vmcnt(0)
	v_ashrrev_i32_e32 v1, 31, v2
	v_lshrrev_b32_e32 v1, 26, v1
	v_add_u32_e32 v1, v2, v1
	v_ashrrev_i32_e32 v7, 6, v1
	v_lshlrev_b32_e32 v1, 11, v7
	v_lshlrev_b32_e32 v2, 1, v10
	v_add3_u32 v5, v0, v2, v1
	v_ashrrev_i32_e32 v1, 31, v9
	v_lshrrev_b32_e32 v1, 21, v1
	v_ashrrev_i32_e32 v6, 31, v5
	v_add_co_u32_e32 v3, vcc, v60, v5
	v_add_u32_e32 v1, v9, v1
	v_addc_co_u32_e32 v4, vcc, v61, v6, vcc
	v_ashrrev_i32_e32 v11, 11, v1
	v_add_co_u32_e32 v1, vcc, v34, v5
	v_addc_co_u32_e32 v2, vcc, v35, v6, vcc
	v_sub_u32_e32 v7, v11, v7
	v_mov_b32_e32 v45, v15
	v_cmp_lt_i32_e32 vcc, 0, v7
	s_mov_b64 s[28:29], 0
                                        ; implicit-def: $vgpr12
                                        ; implicit-def: $vgpr13
                                        ; implicit-def: $vgpr14
                                        ; implicit-def: $vgpr15
                                        ; implicit-def: $vgpr16
                                        ; implicit-def: $vgpr17
                                        ; implicit-def: $vgpr18
                                        ; implicit-def: $vgpr19
                                        ; implicit-def: $vgpr20
                                        ; implicit-def: $vgpr21
                                        ; implicit-def: $vgpr22
                                        ; implicit-def: $vgpr23
                                        ; implicit-def: $vgpr24
                                        ; implicit-def: $vgpr25
                                        ; implicit-def: $vgpr26
                                        ; implicit-def: $vgpr27
	s_and_saveexec_b64 s[26:27], vcc
	s_cbranch_execz .LBB12_3076
; %bb.3069:                             ;   in Loop: Header=BB12_2954 Depth=3
	v_add_co_u32_e32 v5, vcc, v5, v58
	v_addc_co_u32_e32 v6, vcc, v6, v59, vcc
	s_mov_b64 s[90:91], 0
                                        ; implicit-def: $sgpr88_sgpr89
                                        ; implicit-def: $vgpr12
                                        ; implicit-def: $vgpr13
                                        ; implicit-def: $vgpr14
                                        ; implicit-def: $vgpr15
                                        ; implicit-def: $vgpr16
                                        ; implicit-def: $vgpr17
                                        ; implicit-def: $vgpr18
                                        ; implicit-def: $vgpr19
                                        ; implicit-def: $vgpr20
                                        ; implicit-def: $vgpr21
                                        ; implicit-def: $vgpr22
                                        ; implicit-def: $vgpr23
                                        ; implicit-def: $vgpr24
                                        ; implicit-def: $vgpr25
                                        ; implicit-def: $vgpr26
                                        ; implicit-def: $vgpr27
	s_branch .LBB12_3071
.LBB12_3070:                            ;   in Loop: Header=BB12_3071 Depth=4
	s_or_b64 exec, exec, s[92:93]
	s_waitcnt lgkmcnt(0)
	flat_store_short v[3:4], v28 glc slc
	flat_store_short v[3:4], v29 offset:128 glc slc
	flat_store_short v[3:4], v30 offset:256 glc slc
	;; [unrolled: 1-line block ×15, first 2 shown]
	flat_store_short v[1:2], v28 glc slc
	flat_store_short v[1:2], v29 offset:128 glc slc
	flat_store_short v[1:2], v30 offset:256 glc slc
	;; [unrolled: 1-line block ×15, first 2 shown]
	buffer_load_dword v30, off, s[0:3], s33 offset:272 ; 4-byte Folded Reload
	buffer_load_dword v31, off, s[0:3], s33 offset:276 ; 4-byte Folded Reload
	v_add_co_u32_e32 v3, vcc, s64, v3
	v_addc_co_u32_e32 v4, vcc, 0, v4, vcc
	v_add_co_u32_e32 v1, vcc, s64, v1
	v_addc_co_u32_e32 v2, vcc, 0, v2, vcc
	s_waitcnt vmcnt(0)
	v_add_co_u32_e32 v28, vcc, v3, v30
	v_addc_co_u32_e32 v29, vcc, v4, v31, vcc
	v_add_co_u32_e32 v30, vcc, v1, v30
	v_addc_co_u32_e32 v31, vcc, v2, v31, vcc
	v_add_co_u32_e32 v5, vcc, v5, v7
	v_addc_co_u32_e32 v6, vcc, v6, v8, vcc
	v_sub_u32_e32 v7, v54, v55
	v_cmp_gt_i32_e32 vcc, 1, v7
	s_or_b64 s[28:29], vcc, s[28:29]
	s_andn2_b64 s[88:89], s[88:89], exec
	s_and_b64 s[92:93], s[90:91], exec
	v_cndmask_b32_e64 v4, v4, v29, s[90:91]
	v_cndmask_b32_e64 v3, v3, v28, s[90:91]
	;; [unrolled: 1-line block ×4, first 2 shown]
	s_or_b64 s[88:89], s[88:89], s[92:93]
	s_andn2_b64 exec, exec, s[28:29]
	s_cbranch_execz .LBB12_3075
.LBB12_3071:                            ;   Parent Loop BB12_47 Depth=1
                                        ;     Parent Loop BB12_2951 Depth=2
                                        ;       Parent Loop BB12_2954 Depth=3
                                        ; =>      This Inner Loop Header: Depth=4
	flat_load_ushort v28, v[5:6] glc slc
	flat_load_ushort v29, v[5:6] offset:128 glc slc
	flat_load_ushort v30, v[5:6] offset:256 glc slc
	;; [unrolled: 1-line block ×15, first 2 shown]
	s_and_saveexec_b64 s[92:93], s[90:91]
	s_cbranch_execz .LBB12_3073
; %bb.3072:                             ;   in Loop: Header=BB12_3071 Depth=4
	flat_store_short v[3:4], v12 glc slc
	flat_store_short v[3:4], v13 offset:128 glc slc
	flat_store_short v[3:4], v14 offset:256 glc slc
	;; [unrolled: 1-line block ×15, first 2 shown]
	flat_store_short v[1:2], v12 glc slc
	flat_store_short v[1:2], v13 offset:128 glc slc
	flat_store_short v[1:2], v14 offset:256 glc slc
	;; [unrolled: 1-line block ×15, first 2 shown]
	buffer_load_dword v8, off, s[0:3], s33 offset:232 ; 4-byte Folded Reload
	buffer_load_dword v54, off, s[0:3], s33 offset:236 ; 4-byte Folded Reload
	s_waitcnt vmcnt(0)
	v_add_co_u32_e32 v3, vcc, v3, v8
	v_addc_co_u32_e32 v4, vcc, v4, v54, vcc
	v_add_co_u32_e32 v1, vcc, v1, v8
	v_addc_co_u32_e32 v2, vcc, v2, v54, vcc
.LBB12_3073:                            ;   in Loop: Header=BB12_3071 Depth=4
	s_or_b64 exec, exec, s[92:93]
	buffer_load_dword v8, off, s[0:3], s33 offset:232 ; 4-byte Folded Reload
	v_mov_b32_e32 v55, 0
	s_waitcnt vmcnt(0)
	v_add_co_u32_e32 v5, vcc, v5, v8
	buffer_load_dword v8, off, s[0:3], s33 offset:236 ; 4-byte Folded Reload
	s_waitcnt vmcnt(0)
	v_addc_co_u32_e32 v6, vcc, v6, v8, vcc
	buffer_load_dword v8, off, s[0:3], s33 offset:152 ; 4-byte Folded Reload
	s_waitcnt vmcnt(0)
	v_sub_u32_e32 v54, v7, v8
	v_mov_b32_e32 v7, 0
	v_mov_b32_e32 v8, 0
	v_cmp_lt_i32_e64 s[90:91], 0, v54
	s_and_saveexec_b64 s[92:93], s[90:91]
	s_cbranch_execz .LBB12_3070
; %bb.3074:                             ;   in Loop: Header=BB12_3071 Depth=4
	flat_load_ushort v12, v[5:6] glc slc
	flat_load_ushort v13, v[5:6] offset:128 glc slc
	flat_load_ushort v14, v[5:6] offset:256 glc slc
	;; [unrolled: 1-line block ×15, first 2 shown]
	buffer_load_dword v55, off, s[0:3], s33 offset:152 ; 4-byte Folded Reload
	buffer_load_dword v7, off, s[0:3], s33 offset:272 ; 4-byte Folded Reload
	;; [unrolled: 1-line block ×3, first 2 shown]
	v_add_co_u32_e32 v5, vcc, 0x800, v5
	v_addc_co_u32_e32 v6, vcc, 0, v6, vcc
	s_branch .LBB12_3070
.LBB12_3075:                            ;   in Loop: Header=BB12_2954 Depth=3
	s_or_b64 exec, exec, s[28:29]
	s_and_b64 s[28:29], s[88:89], exec
.LBB12_3076:                            ;   in Loop: Header=BB12_2954 Depth=3
	s_or_b64 exec, exec, s[26:27]
	s_and_saveexec_b64 s[26:27], s[28:29]
	s_cbranch_execz .LBB12_3078
; %bb.3077:                             ;   in Loop: Header=BB12_2954 Depth=3
	flat_store_short v[3:4], v12 glc slc
	flat_store_short v[3:4], v13 offset:128 glc slc
	flat_store_short v[3:4], v14 offset:256 glc slc
	;; [unrolled: 1-line block ×15, first 2 shown]
	flat_store_short v[1:2], v12 glc slc
	flat_store_short v[1:2], v13 offset:128 glc slc
	flat_store_short v[1:2], v14 offset:256 glc slc
	;; [unrolled: 1-line block ×15, first 2 shown]
.LBB12_3078:                            ;   in Loop: Header=BB12_2954 Depth=3
	s_or_b64 exec, exec, s[26:27]
	v_lshlrev_b32_e32 v1, 11, v11
	v_cmp_ne_u32_e32 vcc, v9, v1
	s_and_b64 s[26:27], exec, vcc
	v_mov_b32_e32 v15, v45
	s_mov_b64 exec, s[26:27]
	s_cbranch_execz .LBB12_3093
; %bb.3079:                             ;   in Loop: Header=BB12_2954 Depth=3
	v_lshlrev_b32_e32 v2, 6, v7
	v_sub_u32_e32 v2, v10, v2
	v_ashrrev_i32_e32 v3, 31, v2
	v_lshrrev_b32_e32 v3, 26, v3
	v_add_u32_e32 v3, v2, v3
	v_and_b32_e32 v4, 0x7fffffc0, v3
	v_sub_u32_e32 v2, v2, v4
	v_lshlrev_b32_e32 v3, 1, v3
	v_and_b32_e32 v3, 0xffffff80, v3
	v_lshlrev_b32_e32 v2, 1, v2
	v_add3_u32 v1, v3, v2, v1
	v_sub_u32_e32 v8, v9, v1
	v_cmp_lt_i32_e32 vcc, 1, v8
	s_and_b64 exec, exec, vcc
	s_cbranch_execz .LBB12_3093
; %bb.3080:                             ;   in Loop: Header=BB12_2954 Depth=3
	v_add_u32_e32 v0, v1, v0
	s_trap 2
	ds_read_b64 v[1:2], v0
	v_ashrrev_i32_e32 v7, 31, v0
	v_add_co_u32_e32 v3, vcc, v60, v0
	v_addc_co_u32_e32 v4, vcc, v61, v7, vcc
	v_add_co_u32_e32 v5, vcc, v34, v0
	v_addc_co_u32_e32 v6, vcc, v35, v7, vcc
	s_waitcnt lgkmcnt(0)
	v_add_co_u32_e32 v1, vcc, v1, v0
	v_addc_co_u32_e32 v2, vcc, v2, v7, vcc
	s_mov_b64 s[92:93], 0
	s_mov_b64 s[88:89], 0
                                        ; implicit-def: $sgpr90_sgpr91
                                        ; implicit-def: $vgpr0
.LBB12_3081:                            ;   Parent Loop BB12_47 Depth=1
                                        ;     Parent Loop BB12_2951 Depth=2
                                        ;       Parent Loop BB12_2954 Depth=3
                                        ; =>      This Loop Header: Depth=4
                                        ;           Child Loop BB12_3083 Depth 5
                                        ;           Child Loop BB12_3088 Depth 5
	flat_load_ushort v7, v[1:2] glc slc
	s_and_saveexec_b64 s[94:95], s[92:93]
	s_cbranch_execz .LBB12_3085
; %bb.3082:                             ;   in Loop: Header=BB12_3081 Depth=4
	s_mov_b64 s[30:31], 0
	s_mov_b64 s[92:93], -1
.LBB12_3083:                            ;   Parent Loop BB12_47 Depth=1
                                        ;     Parent Loop BB12_2951 Depth=2
                                        ;       Parent Loop BB12_2954 Depth=3
                                        ;         Parent Loop BB12_3081 Depth=4
                                        ; =>        This Inner Loop Header: Depth=5
	s_cmp_eq_u32 s30, 1
	s_cselect_b64 s[26:27], -1, 0
	v_cndmask_b32_e64 v10, v4, v6, s[26:27]
	v_cndmask_b32_e64 v9, v3, v5, s[26:27]
	flat_store_short v[9:10], v0 glc slc
	v_add_co_u32_e32 v9, vcc, 0x80, v9
	s_cmp_eq_u32 s30, 0
	v_addc_co_u32_e32 v10, vcc, 0, v10, vcc
	s_cselect_b64 vcc, -1, 0
	s_and_b64 s[28:29], exec, s[92:93]
	s_mov_b64 s[30:31], 1
	v_cndmask_b32_e64 v5, v5, v9, s[26:27]
	s_mov_b64 s[92:93], 0
	v_cndmask_b32_e64 v6, v6, v10, s[26:27]
	v_cndmask_b32_e32 v4, v4, v10, vcc
	v_cndmask_b32_e32 v3, v3, v9, vcc
	s_mov_b64 vcc, s[28:29]
	s_cbranch_vccnz .LBB12_3083
; %bb.3084:                             ;   in Loop: Header=BB12_3081 Depth=4
	buffer_load_dword v9, off, s[0:3], s33 offset:316 ; 4-byte Folded Reload
	buffer_load_dword v10, off, s[0:3], s33 offset:320 ; 4-byte Folded Reload
	s_waitcnt vmcnt(0)
	v_add_co_u32_e32 v3, vcc, v3, v9
	v_addc_co_u32_e32 v4, vcc, v4, v10, vcc
	v_add_co_u32_e32 v5, vcc, v5, v9
	v_addc_co_u32_e32 v6, vcc, v6, v10, vcc
.LBB12_3085:                            ;   in Loop: Header=BB12_3081 Depth=4
	s_or_b64 exec, exec, s[94:95]
	buffer_load_dword v9, off, s[0:3], s33 offset:324 ; 4-byte Folded Reload
	s_waitcnt vmcnt(0)
	v_add_co_u32_e32 v1, vcc, v9, v1
	buffer_load_dword v9, off, s[0:3], s33 offset:328 ; 4-byte Folded Reload
	s_waitcnt vmcnt(0)
	v_addc_co_u32_e32 v2, vcc, v9, v2, vcc
	buffer_load_dword v9, off, s[0:3], s33 offset:280 ; 4-byte Folded Reload
	s_waitcnt vmcnt(0)
	v_sub_u32_e32 v8, v8, v9
	v_cmp_lt_i32_e64 s[92:93], 1, v8
	s_and_saveexec_b64 s[26:27], s[92:93]
	s_cbranch_execz .LBB12_3087
; %bb.3086:                             ;   in Loop: Header=BB12_3081 Depth=4
	flat_load_ushort v0, v[1:2] glc slc
	v_add_co_u32_e32 v1, vcc, 0x80, v1
	v_addc_co_u32_e32 v2, vcc, 0, v2, vcc
.LBB12_3087:                            ;   in Loop: Header=BB12_3081 Depth=4
	s_or_b64 exec, exec, s[26:27]
	s_mov_b64 s[30:31], 0
	s_mov_b64 s[94:95], -1
.LBB12_3088:                            ;   Parent Loop BB12_47 Depth=1
                                        ;     Parent Loop BB12_2951 Depth=2
                                        ;       Parent Loop BB12_2954 Depth=3
                                        ;         Parent Loop BB12_3081 Depth=4
                                        ; =>        This Inner Loop Header: Depth=5
	s_cmp_eq_u32 s30, 1
	s_cselect_b64 s[26:27], -1, 0
	v_cndmask_b32_e64 v10, v4, v6, s[26:27]
	v_cndmask_b32_e64 v9, v3, v5, s[26:27]
	s_waitcnt lgkmcnt(0)
	flat_store_short v[9:10], v7 glc slc
	v_add_co_u32_e32 v9, vcc, 0x80, v9
	s_cmp_eq_u32 s30, 0
	v_addc_co_u32_e32 v10, vcc, 0, v10, vcc
	s_cselect_b64 vcc, -1, 0
	s_and_b64 s[28:29], exec, s[94:95]
	s_mov_b64 s[30:31], 1
	v_cndmask_b32_e64 v5, v5, v9, s[26:27]
	s_mov_b64 s[94:95], 0
	v_cndmask_b32_e64 v6, v6, v10, s[26:27]
	v_cndmask_b32_e32 v4, v4, v10, vcc
	v_cndmask_b32_e32 v3, v3, v9, vcc
	s_mov_b64 vcc, s[28:29]
	s_cbranch_vccnz .LBB12_3088
; %bb.3089:                             ;   in Loop: Header=BB12_3081 Depth=4
	buffer_load_dword v13, off, s[0:3], s33 offset:316 ; 4-byte Folded Reload
	buffer_load_dword v14, off, s[0:3], s33 offset:320 ; 4-byte Folded Reload
	s_waitcnt vmcnt(0)
	v_add_co_u32_e32 v7, vcc, v3, v13
	v_addc_co_u32_e32 v9, vcc, v4, v14, vcc
	v_add_co_u32_e32 v10, vcc, v5, v13
	v_addc_co_u32_e32 v11, vcc, v6, v14, vcc
	v_cndmask_b32_e64 v13, 0, v13, s[92:93]
	v_cndmask_b32_e64 v12, 0, v14, s[92:93]
	v_add_co_u32_e32 v1, vcc, v1, v13
	v_addc_co_u32_e32 v2, vcc, v2, v12, vcc
	buffer_load_dword v12, off, s[0:3], s33 offset:280 ; 4-byte Folded Reload
	v_cndmask_b32_e64 v6, v6, v11, s[92:93]
	v_cndmask_b32_e64 v5, v5, v10, s[92:93]
	;; [unrolled: 1-line block ×4, first 2 shown]
	s_waitcnt vmcnt(0)
	v_cndmask_b32_e64 v12, 0, v12, s[92:93]
	v_sub_u32_e32 v8, v8, v12
	v_cmp_gt_i32_e32 vcc, 2, v8
	s_or_b64 s[88:89], vcc, s[88:89]
	s_andn2_b64 s[26:27], s[90:91], exec
	s_and_b64 s[28:29], s[92:93], exec
	s_or_b64 s[90:91], s[26:27], s[28:29]
	s_andn2_b64 exec, exec, s[88:89]
	s_cbranch_execnz .LBB12_3081
; %bb.3090:                             ;   in Loop: Header=BB12_2954 Depth=3
	s_or_b64 exec, exec, s[88:89]
	s_and_b64 exec, exec, s[90:91]
	s_cbranch_execz .LBB12_3093
; %bb.3091:                             ;   in Loop: Header=BB12_2954 Depth=3
	s_mov_b64 s[90:91], 0
	s_mov_b64 s[88:89], -1
.LBB12_3092:                            ;   Parent Loop BB12_47 Depth=1
                                        ;     Parent Loop BB12_2951 Depth=2
                                        ;       Parent Loop BB12_2954 Depth=3
                                        ; =>      This Inner Loop Header: Depth=4
	s_cmp_eq_u32 s90, 1
	s_cselect_b64 s[26:27], -1, 0
	v_cndmask_b32_e64 v2, v9, v11, s[26:27]
	v_cndmask_b32_e64 v1, v7, v10, s[26:27]
	flat_store_short v[1:2], v0 glc slc
	v_add_co_u32_e32 v1, vcc, 0x80, v1
	s_cmp_eq_u32 s90, 0
	v_addc_co_u32_e32 v2, vcc, 0, v2, vcc
	s_cselect_b64 vcc, -1, 0
	s_and_b64 s[28:29], exec, s[88:89]
	s_mov_b64 s[90:91], 1
	v_cndmask_b32_e64 v10, v10, v1, s[26:27]
	s_mov_b64 s[88:89], 0
	v_cndmask_b32_e32 v9, v9, v2, vcc
	v_cndmask_b32_e32 v7, v7, v1, vcc
	v_cndmask_b32_e64 v11, v11, v2, s[26:27]
	s_mov_b64 vcc, s[28:29]
	s_cbranch_vccnz .LBB12_3092
.LBB12_3093:                            ;   in Loop: Header=BB12_2954 Depth=3
	s_or_b64 exec, exec, s[40:41]
	s_mov_b64 s[26:27], 0
.LBB12_3094:                            ;   in Loop: Header=BB12_2954 Depth=3
	s_and_b64 vcc, exec, s[26:27]
	s_cbranch_vccz .LBB12_3108
; %bb.3095:                             ;   in Loop: Header=BB12_2954 Depth=3
	s_mov_b64 s[26:27], -1
	s_and_saveexec_b64 s[28:29], s[20:21]
	s_cbranch_execz .LBB12_3097
; %bb.3096:                             ;   in Loop: Header=BB12_2954 Depth=3
	ds_read_b32 v0, v0 offset:720
	s_waitcnt lgkmcnt(0)
	v_and_b32_e32 v0, 15, v0
	v_cmp_eq_u32_e32 vcc, 0, v0
	s_orn2_b64 s[26:27], vcc, exec
.LBB12_3097:                            ;   in Loop: Header=BB12_2954 Depth=3
	s_or_b64 exec, exec, s[28:29]
	s_and_saveexec_b64 s[28:29], s[18:19]
	s_cbranch_execz .LBB12_3099
; %bb.3098:                             ;   in Loop: Header=BB12_2954 Depth=3
	ds_read_b32 v0, v0 offset:784
	s_waitcnt lgkmcnt(0)
	v_and_b32_e32 v0, 15, v0
	v_cmp_eq_u32_e32 vcc, 0, v0
	s_and_b64 s[40:41], s[26:27], vcc
	s_andn2_b64 s[26:27], s[26:27], exec
	s_and_b64 s[40:41], s[40:41], exec
	s_or_b64 s[26:27], s[26:27], s[40:41]
.LBB12_3099:                            ;   in Loop: Header=BB12_2954 Depth=3
	s_or_b64 exec, exec, s[28:29]
	s_xor_b64 s[26:27], s[26:27], -1
	v_cndmask_b32_e64 v0, 0, 1, s[26:27]
	s_mov_b64 s[40:41], -1
	v_cmp_ne_u32_e32 vcc, 0, v0
	s_cbranch_vccz .LBB12_3109
; %bb.3100:                             ;   in Loop: Header=BB12_2954 Depth=3
	s_mov_b64 s[28:29], -1
	v_mov_b32_e32 v0, 0
	s_cbranch_execnz .LBB12_3110
.LBB12_3101:                            ;   in Loop: Header=BB12_2954 Depth=3
	v_ashrrev_i32_e32 v0, 31, v15
	v_lshrrev_b32_e32 v0, 19, v0
	buffer_store_dword v58, off, s[0:3], s33 offset:216 ; 4-byte Folded Spill
	s_nop 0
	buffer_store_dword v59, off, s[0:3], s33 offset:220 ; 4-byte Folded Spill
	buffer_store_dword v43, off, s[0:3], s33 offset:300 ; 4-byte Folded Spill
	;; [unrolled: 1-line block ×3, first 2 shown]
	s_nop 0
	buffer_store_dword v48, off, s[0:3], s33 offset:296 ; 4-byte Folded Spill
	buffer_store_dword v42, off, s[0:3], s33 offset:284 ; 4-byte Folded Spill
	s_nop 0
	buffer_store_dword v43, off, s[0:3], s33 offset:288 ; 4-byte Folded Spill
	v_add_u32_e32 v0, v15, v0
	v_ashrrev_i32_e32 v4, 13, v0
	buffer_load_dword v0, off, s[0:3], s33 offset:488 ; 4-byte Folded Reload
	s_waitcnt vmcnt(0)
	v_mov_b32_e32 v2, v60
	v_mov_b32_e32 v3, v61
	buffer_store_dword v15, off, s[0:3], s33 offset:240 ; 4-byte Folded Spill
	s_mov_b64 s[40:41], 0
                                        ; implicit-def: $vgpr14_vgpr15
                                        ; implicit-def: $vgpr18_vgpr19
                                        ; implicit-def: $vgpr22_vgpr23
                                        ; implicit-def: $vgpr26_vgpr27
                                        ; implicit-def: $vgpr30_vgpr31
	v_sub_u32_e32 v1, v4, v0
	buffer_load_dword v0, off, s[0:3], s33 offset:552 ; 4-byte Folded Reload
	s_waitcnt vmcnt(0)
	v_add_co_u32_e32 v60, vcc, v2, v0
	buffer_store_dword v2, off, s[0:3], s33 offset:308 ; 4-byte Folded Spill
	s_nop 0
	buffer_store_dword v3, off, s[0:3], s33 offset:312 ; 4-byte Folded Spill
	v_addc_co_u32_e32 v61, vcc, 0, v3, vcc
	v_cmp_lt_i32_e32 vcc, 0, v1
                                        ; implicit-def: $vgpr2_vgpr3
	buffer_store_dword v2, off, s[0:3], s33 offset:168 ; 4-byte Folded Spill
	s_nop 0
	buffer_store_dword v3, off, s[0:3], s33 offset:172 ; 4-byte Folded Spill
	buffer_store_dword v4, off, s[0:3], s33 offset:176 ; 4-byte Folded Spill
	buffer_store_dword v5, off, s[0:3], s33 offset:180 ; 4-byte Folded Spill
                                        ; implicit-def: $vgpr2_vgpr3
	buffer_store_dword v2, off, s[0:3], s33 offset:184 ; 4-byte Folded Spill
	s_nop 0
	buffer_store_dword v3, off, s[0:3], s33 offset:188 ; 4-byte Folded Spill
	buffer_store_dword v4, off, s[0:3], s33 offset:192 ; 4-byte Folded Spill
	buffer_store_dword v5, off, s[0:3], s33 offset:196 ; 4-byte Folded Spill
	;; [unrolled: 6-line block ×3, first 2 shown]
	s_and_saveexec_b64 s[26:27], vcc
	s_cbranch_execz .LBB12_3112
; %bb.3102:                             ;   in Loop: Header=BB12_2954 Depth=3
	buffer_store_dword v4, off, s[0:3], s33 offset:360 ; 4-byte Folded Spill
	buffer_load_dword v0, off, s[0:3], s33 offset:552 ; 4-byte Folded Reload
	buffer_load_dword v2, off, s[0:3], s33 offset:216 ; 4-byte Folded Reload
	;; [unrolled: 1-line block ×3, first 2 shown]
	s_mov_b64 s[90:91], 0
                                        ; implicit-def: $sgpr88_sgpr89
                                        ; implicit-def: $vgpr14_vgpr15
                                        ; implicit-def: $vgpr18_vgpr19
                                        ; implicit-def: $vgpr22_vgpr23
                                        ; implicit-def: $vgpr26_vgpr27
                                        ; implicit-def: $vgpr30_vgpr31
	s_waitcnt vmcnt(0)
	v_add_co_u32_e32 v46, vcc, v2, v0
	v_addc_co_u32_e32 v47, vcc, 0, v3, vcc
                                        ; implicit-def: $vgpr2_vgpr3
	buffer_store_dword v2, off, s[0:3], s33 offset:168 ; 4-byte Folded Spill
	s_nop 0
	buffer_store_dword v3, off, s[0:3], s33 offset:172 ; 4-byte Folded Spill
	buffer_store_dword v4, off, s[0:3], s33 offset:176 ; 4-byte Folded Spill
	buffer_store_dword v5, off, s[0:3], s33 offset:180 ; 4-byte Folded Spill
                                        ; implicit-def: $vgpr2_vgpr3
	buffer_store_dword v2, off, s[0:3], s33 offset:184 ; 4-byte Folded Spill
	s_nop 0
	buffer_store_dword v3, off, s[0:3], s33 offset:188 ; 4-byte Folded Spill
	buffer_store_dword v4, off, s[0:3], s33 offset:192 ; 4-byte Folded Spill
	buffer_store_dword v5, off, s[0:3], s33 offset:196 ; 4-byte Folded Spill
	;; [unrolled: 6-line block ×3, first 2 shown]
	s_branch .LBB12_3104
.LBB12_3103:                            ;   in Loop: Header=BB12_3104 Depth=4
	s_or_b64 exec, exec, s[92:93]
	v_add_co_u32_e32 v12, vcc, s81, v60
	v_addc_co_u32_e32 v13, vcc, 0, v61, vcc
	global_store_dwordx4 v[60:61], v[34:37], off glc slc
	global_store_dwordx4 v[60:61], v[48:51], off offset:1024 glc slc
	global_store_dwordx4 v[60:61], v[52:55], off offset:2048 glc slc
	;; [unrolled: 1-line block ×3, first 2 shown]
	global_store_dwordx4 v[12:13], v[42:45], off glc slc
	global_store_dwordx4 v[12:13], v[56:59], off offset:1024 glc slc
	global_store_dwordx4 v[12:13], v[2:5], off offset:2048 glc slc
	;; [unrolled: 1-line block ×3, first 2 shown]
	s_waitcnt vmcnt(0)
	v_add_co_u32_e32 v2, vcc, v60, v0
	v_addc_co_u32_e32 v3, vcc, v61, v1, vcc
	v_add_co_u32_e32 v60, vcc, s54, v2
	v_addc_co_u32_e32 v61, vcc, 0, v3, vcc
	;; [unrolled: 2-line block ×3, first 2 shown]
	v_sub_u32_e32 v1, v10, v11
	v_cmp_gt_i32_e32 vcc, 1, v1
	s_or_b64 s[40:41], vcc, s[40:41]
	s_andn2_b64 s[88:89], s[88:89], exec
	s_and_b64 s[92:93], s[90:91], exec
	s_or_b64 s[88:89], s[88:89], s[92:93]
	s_andn2_b64 exec, exec, s[40:41]
	s_cbranch_execz .LBB12_3111
.LBB12_3104:                            ;   Parent Loop BB12_47 Depth=1
                                        ;     Parent Loop BB12_2951 Depth=2
                                        ;       Parent Loop BB12_2954 Depth=3
                                        ; =>      This Inner Loop Header: Depth=4
	v_add_co_u32_e32 v6, vcc, 0x1000, v46
	v_addc_co_u32_e32 v7, vcc, 0, v47, vcc
	global_load_dwordx4 v[34:37], v[46:47], off glc slc
	global_load_dwordx4 v[48:51], v[46:47], off offset:1024 glc slc
	global_load_dwordx4 v[52:55], v[46:47], off offset:2048 glc slc
	;; [unrolled: 1-line block ×3, first 2 shown]
	global_load_dwordx4 v[42:45], v[6:7], off glc slc
	global_load_dwordx4 v[56:59], v[6:7], off offset:1024 glc slc
	global_load_dwordx4 v[2:5], v[6:7], off offset:2048 glc slc
	s_nop 0
	global_load_dwordx4 v[6:9], v[6:7], off offset:3072 glc slc
	s_and_saveexec_b64 s[92:93], s[90:91]
	s_cbranch_execz .LBB12_3106
; %bb.3105:                             ;   in Loop: Header=BB12_3104 Depth=4
	buffer_load_dword v10, off, s[0:3], s33 offset:168 ; 4-byte Folded Reload
	buffer_load_dword v11, off, s[0:3], s33 offset:172 ; 4-byte Folded Reload
	;; [unrolled: 1-line block ×4, first 2 shown]
	s_waitcnt vmcnt(0)
	global_store_dwordx4 v[60:61], v[10:13], off glc slc
	buffer_load_dword v10, off, s[0:3], s33 offset:184 ; 4-byte Folded Reload
	s_nop 0
	buffer_load_dword v11, off, s[0:3], s33 offset:188 ; 4-byte Folded Reload
	buffer_load_dword v12, off, s[0:3], s33 offset:192 ; 4-byte Folded Reload
	;; [unrolled: 1-line block ×3, first 2 shown]
	s_waitcnt vmcnt(0)
	global_store_dwordx4 v[60:61], v[10:13], off offset:1024 glc slc
	buffer_load_dword v10, off, s[0:3], s33 offset:200 ; 4-byte Folded Reload
	s_nop 0
	buffer_load_dword v11, off, s[0:3], s33 offset:204 ; 4-byte Folded Reload
	buffer_load_dword v12, off, s[0:3], s33 offset:208 ; 4-byte Folded Reload
	;; [unrolled: 1-line block ×3, first 2 shown]
	s_waitcnt vmcnt(0)
	global_store_dwordx4 v[60:61], v[10:13], off offset:2048 glc slc
	global_store_dwordx4 v[60:61], v[14:17], off offset:3072 glc slc
	v_add_co_u32_e32 v10, vcc, 0x1000, v60
	v_addc_co_u32_e32 v11, vcc, 0, v61, vcc
	global_store_dwordx4 v[10:11], v[18:21], off glc slc
	global_store_dwordx4 v[10:11], v[22:25], off offset:1024 glc slc
	global_store_dwordx4 v[10:11], v[26:29], off offset:2048 glc slc
	global_store_dwordx4 v[10:11], v[30:33], off offset:3072 glc slc
	buffer_load_dword v0, off, s[0:3], s33 offset:396 ; 4-byte Folded Reload
	s_waitcnt vmcnt(0)
	v_add_co_u32_e32 v60, vcc, v60, v0
	buffer_load_dword v0, off, s[0:3], s33 offset:400 ; 4-byte Folded Reload
	s_waitcnt vmcnt(0)
	v_addc_co_u32_e32 v61, vcc, v61, v0, vcc
.LBB12_3106:                            ;   in Loop: Header=BB12_3104 Depth=4
	s_or_b64 exec, exec, s[92:93]
	buffer_load_dword v0, off, s[0:3], s33 offset:396 ; 4-byte Folded Reload
	v_mov_b32_e32 v11, 0
	s_waitcnt vmcnt(0)
	v_add_co_u32_e32 v46, vcc, v46, v0
	buffer_load_dword v0, off, s[0:3], s33 offset:400 ; 4-byte Folded Reload
	s_waitcnt vmcnt(0)
	v_addc_co_u32_e32 v47, vcc, v47, v0, vcc
	buffer_load_dword v0, off, s[0:3], s33 offset:152 ; 4-byte Folded Reload
	s_waitcnt vmcnt(0)
	v_sub_u32_e32 v10, v1, v0
	v_mov_b32_e32 v0, 0
	v_mov_b32_e32 v1, 0
	v_cmp_lt_i32_e64 s[90:91], 0, v10
	s_and_saveexec_b64 s[92:93], s[90:91]
	s_cbranch_execz .LBB12_3103
; %bb.3107:                             ;   in Loop: Header=BB12_3104 Depth=4
	global_load_dwordx4 v[11:14], v[46:47], off glc slc
	v_add_co_u32_e32 v0, vcc, s81, v46
	v_addc_co_u32_e32 v1, vcc, 0, v47, vcc
	s_waitcnt vmcnt(0)
	buffer_store_dword v11, off, s[0:3], s33 offset:168 ; 4-byte Folded Spill
	s_nop 0
	buffer_store_dword v12, off, s[0:3], s33 offset:172 ; 4-byte Folded Spill
	buffer_store_dword v13, off, s[0:3], s33 offset:176 ; 4-byte Folded Spill
	buffer_store_dword v14, off, s[0:3], s33 offset:180 ; 4-byte Folded Spill
	global_load_dwordx4 v[11:14], v[46:47], off offset:1024 glc slc
	s_waitcnt vmcnt(0)
	buffer_store_dword v11, off, s[0:3], s33 offset:184 ; 4-byte Folded Spill
	s_nop 0
	buffer_store_dword v12, off, s[0:3], s33 offset:188 ; 4-byte Folded Spill
	buffer_store_dword v13, off, s[0:3], s33 offset:192 ; 4-byte Folded Spill
	buffer_store_dword v14, off, s[0:3], s33 offset:196 ; 4-byte Folded Spill
	global_load_dwordx4 v[11:14], v[46:47], off offset:2048 glc slc
	s_waitcnt vmcnt(0)
	buffer_store_dword v11, off, s[0:3], s33 offset:200 ; 4-byte Folded Spill
	s_nop 0
	buffer_store_dword v12, off, s[0:3], s33 offset:204 ; 4-byte Folded Spill
	buffer_store_dword v13, off, s[0:3], s33 offset:208 ; 4-byte Folded Spill
	buffer_store_dword v14, off, s[0:3], s33 offset:212 ; 4-byte Folded Spill
	global_load_dwordx4 v[14:17], v[46:47], off offset:3072 glc slc
	s_nop 0
	global_load_dwordx4 v[18:21], v[0:1], off glc slc
	global_load_dwordx4 v[22:25], v[0:1], off offset:1024 glc slc
	global_load_dwordx4 v[26:29], v[0:1], off offset:2048 glc slc
	;; [unrolled: 1-line block ×3, first 2 shown]
	buffer_load_dword v11, off, s[0:3], s33 offset:152 ; 4-byte Folded Reload
	s_nop 0
	buffer_load_dword v0, off, s[0:3], s33 offset:444 ; 4-byte Folded Reload
	buffer_load_dword v1, off, s[0:3], s33 offset:448 ; 4-byte Folded Reload
	v_add_co_u32_e32 v46, vcc, 0x2000, v46
	v_addc_co_u32_e32 v47, vcc, 0, v47, vcc
	s_branch .LBB12_3103
.LBB12_3108:                            ;   in Loop: Header=BB12_2954 Depth=3
	v_cmp_lt_i32_e64 s[26:27], 0, v43
	s_and_saveexec_b64 s[28:29], s[10:11]
	s_cbranch_execnz .LBB12_3152
	s_branch .LBB12_3037
.LBB12_3109:                            ;   in Loop: Header=BB12_2954 Depth=3
	s_mov_b64 s[28:29], 0
	s_andn2_b64 vcc, exec, s[40:41]
	v_mov_b32_e32 v0, 0
	s_cbranch_vccz .LBB12_3101
.LBB12_3110:                            ;   in Loop: Header=BB12_2954 Depth=3
	buffer_load_dword v2, off, s[0:3], s33 offset:484 ; 4-byte Folded Reload
	v_mov_b32_e32 v7, v41
	s_and_saveexec_b64 s[26:27], s[28:29]
	s_cbranch_execnz .LBB12_3131
	s_branch .LBB12_3151
.LBB12_3111:                            ;   in Loop: Header=BB12_2954 Depth=3
	s_or_b64 exec, exec, s[40:41]
	buffer_load_dword v41, off, s[0:3], s33 offset:524 ; 4-byte Folded Reload
	buffer_load_dword v44, off, s[0:3], s33 offset:528 ; 4-byte Folded Reload
	;; [unrolled: 1-line block ×5, first 2 shown]
	s_and_b64 s[40:41], s[88:89], exec
.LBB12_3112:                            ;   in Loop: Header=BB12_2954 Depth=3
	s_or_b64 exec, exec, s[26:27]
	s_and_saveexec_b64 s[26:27], s[40:41]
	s_cbranch_execz .LBB12_3114
; %bb.3113:                             ;   in Loop: Header=BB12_2954 Depth=3
	buffer_load_dword v5, off, s[0:3], s33 offset:168 ; 4-byte Folded Reload
	buffer_load_dword v6, off, s[0:3], s33 offset:172 ; 4-byte Folded Reload
	buffer_load_dword v7, off, s[0:3], s33 offset:176 ; 4-byte Folded Reload
	buffer_load_dword v8, off, s[0:3], s33 offset:180 ; 4-byte Folded Reload
	v_add_co_u32_e32 v2, vcc, 0x1000, v60
	v_addc_co_u32_e32 v3, vcc, 0, v61, vcc
	s_waitcnt vmcnt(0)
	global_store_dwordx4 v[60:61], v[5:8], off glc slc
	buffer_load_dword v5, off, s[0:3], s33 offset:184 ; 4-byte Folded Reload
	s_nop 0
	buffer_load_dword v6, off, s[0:3], s33 offset:188 ; 4-byte Folded Reload
	buffer_load_dword v7, off, s[0:3], s33 offset:192 ; 4-byte Folded Reload
	;; [unrolled: 1-line block ×3, first 2 shown]
	s_waitcnt vmcnt(0)
	global_store_dwordx4 v[60:61], v[5:8], off offset:1024 glc slc
	buffer_load_dword v5, off, s[0:3], s33 offset:200 ; 4-byte Folded Reload
	s_nop 0
	buffer_load_dword v6, off, s[0:3], s33 offset:204 ; 4-byte Folded Reload
	buffer_load_dword v7, off, s[0:3], s33 offset:208 ; 4-byte Folded Reload
	;; [unrolled: 1-line block ×3, first 2 shown]
	s_waitcnt vmcnt(0)
	global_store_dwordx4 v[60:61], v[5:8], off offset:2048 glc slc
	global_store_dwordx4 v[60:61], v[14:17], off offset:3072 glc slc
	global_store_dwordx4 v[2:3], v[18:21], off glc slc
	global_store_dwordx4 v[2:3], v[22:25], off offset:1024 glc slc
	global_store_dwordx4 v[2:3], v[26:29], off offset:2048 glc slc
	;; [unrolled: 1-line block ×3, first 2 shown]
.LBB12_3114:                            ;   in Loop: Header=BB12_2954 Depth=3
	s_or_b64 exec, exec, s[26:27]
	buffer_load_dword v15, off, s[0:3], s33 offset:240 ; 4-byte Folded Reload
	s_waitcnt vmcnt(0)
	v_lshlrev_b32_e32 v14, 13, v4
                                        ; implicit-def: $vgpr0
                                        ; implicit-def: $vgpr2
                                        ; implicit-def: $vgpr7
	v_cmp_ne_u32_e32 vcc, v15, v14
	s_mov_b64 s[40:41], exec
	buffer_load_dword v42, off, s[0:3], s33 offset:284 ; 4-byte Folded Reload
	buffer_load_dword v43, off, s[0:3], s33 offset:288 ; 4-byte Folded Reload
	;; [unrolled: 1-line block ×11, first 2 shown]
	s_and_b64 s[26:27], s[40:41], vcc
	s_mov_b64 exec, s[26:27]
	s_cbranch_execz .LBB12_3130
; %bb.3115:                             ;   in Loop: Header=BB12_2954 Depth=3
	v_lshlrev_b32_e32 v0, 6, v1
	v_sub_u32_e32 v0, v41, v0
	v_sub_u32_e32 v2, v15, v14
	v_ashrrev_i32_e32 v1, 31, v0
	v_lshrrev_b32_e32 v1, 26, v1
	v_ashrrev_i32_e32 v5, 31, v2
	v_add_u32_e32 v1, v0, v1
	v_lshrrev_b32_e32 v5, 22, v5
	v_ashrrev_i32_e32 v3, 6, v1
	v_and_b32_e32 v1, 0xffffffc0, v1
	v_add_u32_e32 v5, v2, v5
	v_sub_u32_e32 v1, v0, v1
	v_and_b32_e32 v15, 0xfffffc00, v5
	v_lshlrev_b32_e32 v0, 4, v1
	v_sub_u32_e32 v17, v2, v15
	v_lshl_add_u32 v0, v3, 10, v0
	v_ashrrev_i32_e32 v6, 10, v5
	v_cmp_lt_i32_e64 s[26:27], 15, v17
	v_add_u32_e32 v4, v0, v14
	v_sub_u32_e32 v0, v2, v0
	v_addc_co_u32_e64 v2, vcc, 0, v6, s[26:27]
	v_ashrrev_i32_e32 v5, 31, v4
	s_waitcnt vmcnt(0)
	v_add_co_u32_e32 v10, vcc, v4, v60
	v_addc_co_u32_e32 v11, vcc, v5, v61, vcc
	v_sub_u32_e32 v16, v2, v3
	v_cmp_lt_i32_e32 vcc, 15, v0
	s_mov_b64 s[90:91], 0
                                        ; implicit-def: $vgpr2_vgpr3
	s_and_saveexec_b64 s[88:89], vcc
	s_cbranch_execz .LBB12_3125
; %bb.3116:                             ;   in Loop: Header=BB12_2954 Depth=3
	v_add_co_u32_e32 v12, vcc, v4, v58
	v_addc_co_u32_e32 v13, vcc, v5, v59, vcc
	s_mov_b64 s[94:95], 0
                                        ; implicit-def: $sgpr92_sgpr93
                                        ; implicit-def: $vgpr2_vgpr3
	s_branch .LBB12_3118
.LBB12_3117:                            ;   in Loop: Header=BB12_3118 Depth=4
	s_or_b64 exec, exec, s[30:31]
	v_cmp_gt_i32_e32 vcc, 16, v0
	s_or_b64 s[90:91], vcc, s[90:91]
	s_andn2_b64 s[92:93], s[92:93], exec
	s_and_b64 vcc, s[94:95], exec
	s_or_b64 s[92:93], s[92:93], vcc
	s_andn2_b64 exec, exec, s[90:91]
	s_cbranch_execz .LBB12_3124
.LBB12_3118:                            ;   Parent Loop BB12_47 Depth=1
                                        ;     Parent Loop BB12_2951 Depth=2
                                        ;       Parent Loop BB12_2954 Depth=3
                                        ; =>      This Inner Loop Header: Depth=4
	global_load_dwordx4 v[6:9], v[12:13], off glc slc
	s_and_saveexec_b64 s[30:31], s[94:95]
	s_cbranch_execz .LBB12_3120
; %bb.3119:                             ;   in Loop: Header=BB12_3118 Depth=4
	buffer_load_dword v18, off, s[0:3], s33 offset:344 ; 4-byte Folded Reload
	buffer_load_dword v19, off, s[0:3], s33 offset:348 ; 4-byte Folded Reload
	s_waitcnt vmcnt(0)
	v_add_co_u32_e32 v18, vcc, v10, v18
	v_addc_co_u32_e32 v19, vcc, v11, v19, vcc
	global_store_dwordx4 v[10:11], v[2:5], off glc slc
	v_mov_b32_e32 v10, v18
	v_mov_b32_e32 v11, v19
.LBB12_3120:                            ;   in Loop: Header=BB12_3118 Depth=4
	s_or_b64 exec, exec, s[30:31]
	buffer_load_dword v18, off, s[0:3], s33 offset:344 ; 4-byte Folded Reload
	v_sub_u32_e32 v0, v0, v44
	v_cmp_lt_i32_e64 s[94:95], 15, v0
	s_waitcnt vmcnt(0)
	v_add_co_u32_e32 v12, vcc, v12, v18
	buffer_load_dword v18, off, s[0:3], s33 offset:348 ; 4-byte Folded Reload
	s_waitcnt vmcnt(0)
	v_addc_co_u32_e32 v13, vcc, v13, v18, vcc
	s_and_saveexec_b64 s[30:31], s[94:95]
	s_cbranch_execz .LBB12_3122
; %bb.3121:                             ;   in Loop: Header=BB12_3118 Depth=4
	global_load_dwordx4 v[2:5], v[12:13], off glc slc
	v_add_co_u32_e32 v12, vcc, 0x400, v12
	v_addc_co_u32_e32 v13, vcc, 0, v13, vcc
.LBB12_3122:                            ;   in Loop: Header=BB12_3118 Depth=4
	s_or_b64 exec, exec, s[30:31]
	buffer_load_dword v18, off, s[0:3], s33 offset:152 ; 4-byte Folded Reload
	s_waitcnt vmcnt(0)
	v_sub_u32_e32 v16, v16, v18
	global_store_dwordx4 v[10:11], v[6:9], off glc slc
	v_add_co_u32_e32 v10, vcc, 0x400, v10
	v_addc_co_u32_e32 v11, vcc, 0, v11, vcc
	s_and_saveexec_b64 s[30:31], s[94:95]
	s_cbranch_execz .LBB12_3117
; %bb.3123:                             ;   in Loop: Header=BB12_3118 Depth=4
	buffer_load_dword v6, off, s[0:3], s33 offset:152 ; 4-byte Folded Reload
	v_add_co_u32_e32 v12, vcc, v12, v46
	v_sub_u32_e32 v0, v0, v44
	s_waitcnt vmcnt(0)
	v_sub_u32_e32 v16, v16, v6
	buffer_load_dword v6, off, s[0:3], s33 offset:340 ; 4-byte Folded Reload
	s_waitcnt vmcnt(0)
	v_addc_co_u32_e32 v13, vcc, v13, v6, vcc
	v_add_co_u32_e32 v10, vcc, v10, v46
	v_addc_co_u32_e32 v11, vcc, v11, v6, vcc
	s_branch .LBB12_3117
.LBB12_3124:                            ;   in Loop: Header=BB12_2954 Depth=3
	s_or_b64 exec, exec, s[90:91]
	s_and_b64 s[90:91], s[92:93], exec
.LBB12_3125:                            ;   in Loop: Header=BB12_2954 Depth=3
	s_or_b64 exec, exec, s[88:89]
	s_and_saveexec_b64 s[88:89], s[90:91]
	s_cbranch_execz .LBB12_3127
; %bb.3126:                             ;   in Loop: Header=BB12_2954 Depth=3
	global_store_dwordx4 v[10:11], v[2:5], off glc slc
.LBB12_3127:                            ;   in Loop: Header=BB12_2954 Depth=3
	s_or_b64 exec, exec, s[88:89]
	buffer_load_dword v0, off, s[0:3], s33 offset:240 ; 4-byte Folded Reload
	s_mov_b64 s[90:91], s[28:29]
                                        ; implicit-def: $vgpr2
                                        ; implicit-def: $vgpr7
	s_waitcnt vmcnt(0)
	v_and_b32_e32 v3, 14, v0
	v_cndmask_b32_e64 v0, v17, v3, s[26:27]
	v_mov_b32_e32 v4, v0
	v_cmp_ne_u32_e32 vcc, 0, v0
                                        ; implicit-def: $vgpr0
	s_and_saveexec_b64 s[88:89], vcc
	s_cbranch_execz .LBB12_3129
; %bb.3128:                             ;   in Loop: Header=BB12_2954 Depth=3
	buffer_load_dword v2, off, s[0:3], s33 offset:152 ; 4-byte Folded Reload
	v_cmp_lt_i32_e32 vcc, 0, v16
	v_sub_u32_e32 v0, v17, v3
	v_cndmask_b32_e64 v0, 0, v0, s[26:27]
	v_add3_u32 v0, v15, v14, v0
	s_or_b64 s[90:91], s[28:29], exec
	s_waitcnt vmcnt(0)
	v_cndmask_b32_e32 v2, 0, v2, vcc
	v_sub_u32_e32 v2, v2, v16
	v_lshl_add_u32 v2, v2, 6, v1
	v_ashrrev_i32_e32 v1, 31, v2
	v_lshrrev_b32_e32 v1, 26, v1
	v_add_u32_e32 v1, v2, v1
	v_and_b32_e32 v1, 0xffffffc0, v1
	v_sub_u32_e32 v7, v2, v1
.LBB12_3129:                            ;   in Loop: Header=BB12_2954 Depth=3
	s_or_b64 exec, exec, s[88:89]
	s_andn2_b64 s[26:27], s[28:29], exec
	s_and_b64 s[28:29], s[90:91], exec
	s_or_b64 s[28:29], s[26:27], s[28:29]
	v_mov_b32_e32 v15, v4
.LBB12_3130:                            ;   in Loop: Header=BB12_2954 Depth=3
	s_or_b64 exec, exec, s[40:41]
	s_and_saveexec_b64 s[26:27], s[28:29]
	s_cbranch_execz .LBB12_3151
.LBB12_3131:                            ;   in Loop: Header=BB12_2954 Depth=3
	s_waitcnt vmcnt(0)
	v_ashrrev_i32_e32 v1, 31, v2
	v_lshrrev_b32_e32 v1, 26, v1
	v_add_u32_e32 v1, v2, v1
	v_ashrrev_i32_e32 v1, 6, v1
	v_lshlrev_b32_e32 v2, 11, v1
	v_lshlrev_b32_e32 v3, 1, v7
	v_add3_u32 v3, v0, v3, v2
	v_ashrrev_i32_e32 v2, 31, v15
	v_lshrrev_b32_e32 v2, 21, v2
	v_add_u32_e32 v2, v15, v2
	v_ashrrev_i32_e32 v8, 11, v2
	v_sub_u32_e32 v5, v8, v1
	v_ashrrev_i32_e32 v4, 31, v3
	v_add_co_u32_e32 v1, vcc, v60, v3
	v_addc_co_u32_e32 v2, vcc, v61, v4, vcc
	v_mov_b32_e32 v51, v15
	v_cmp_lt_i32_e32 vcc, 0, v5
	s_mov_b64 s[40:41], 0
                                        ; implicit-def: $vgpr9
                                        ; implicit-def: $vgpr10
                                        ; implicit-def: $vgpr11
                                        ; implicit-def: $vgpr12
                                        ; implicit-def: $vgpr13
                                        ; implicit-def: $vgpr14
                                        ; implicit-def: $vgpr15
                                        ; implicit-def: $vgpr16
                                        ; implicit-def: $vgpr17
                                        ; implicit-def: $vgpr18
                                        ; implicit-def: $vgpr19
                                        ; implicit-def: $vgpr20
                                        ; implicit-def: $vgpr21
                                        ; implicit-def: $vgpr22
                                        ; implicit-def: $vgpr23
                                        ; implicit-def: $vgpr24
	s_and_saveexec_b64 s[28:29], vcc
	s_cbranch_execz .LBB12_3139
; %bb.3132:                             ;   in Loop: Header=BB12_2954 Depth=3
	v_add_co_u32_e32 v3, vcc, v3, v58
	v_addc_co_u32_e32 v4, vcc, v4, v59, vcc
	s_mov_b64 s[90:91], 0
                                        ; implicit-def: $sgpr88_sgpr89
                                        ; implicit-def: $vgpr9
                                        ; implicit-def: $vgpr10
                                        ; implicit-def: $vgpr11
                                        ; implicit-def: $vgpr12
                                        ; implicit-def: $vgpr13
                                        ; implicit-def: $vgpr14
                                        ; implicit-def: $vgpr15
                                        ; implicit-def: $vgpr16
                                        ; implicit-def: $vgpr17
                                        ; implicit-def: $vgpr18
                                        ; implicit-def: $vgpr19
                                        ; implicit-def: $vgpr20
                                        ; implicit-def: $vgpr21
                                        ; implicit-def: $vgpr22
                                        ; implicit-def: $vgpr23
                                        ; implicit-def: $vgpr24
	s_branch .LBB12_3134
.LBB12_3133:                            ;   in Loop: Header=BB12_3134 Depth=4
	s_or_b64 exec, exec, s[92:93]
	s_waitcnt lgkmcnt(0)
	flat_store_short v[1:2], v25 glc slc
	flat_store_short v[1:2], v26 offset:128 glc slc
	flat_store_short v[1:2], v27 offset:256 glc slc
	;; [unrolled: 1-line block ×15, first 2 shown]
	s_waitcnt vmcnt(0)
	v_add_co_u32_e32 v1, vcc, v1, v5
	v_addc_co_u32_e32 v2, vcc, v2, v6, vcc
	v_add_co_u32_e32 v1, vcc, s64, v1
	v_addc_co_u32_e32 v2, vcc, 0, v2, vcc
	;; [unrolled: 2-line block ×3, first 2 shown]
	v_sub_u32_e32 v5, v49, v50
	v_cmp_gt_i32_e32 vcc, 1, v5
	s_or_b64 s[40:41], vcc, s[40:41]
	s_andn2_b64 s[88:89], s[88:89], exec
	s_and_b64 s[92:93], s[90:91], exec
	s_or_b64 s[88:89], s[88:89], s[92:93]
	s_andn2_b64 exec, exec, s[40:41]
	s_cbranch_execz .LBB12_3138
.LBB12_3134:                            ;   Parent Loop BB12_47 Depth=1
                                        ;     Parent Loop BB12_2951 Depth=2
                                        ;       Parent Loop BB12_2954 Depth=3
                                        ; =>      This Inner Loop Header: Depth=4
	flat_load_ushort v25, v[3:4] glc slc
	flat_load_ushort v26, v[3:4] offset:128 glc slc
	flat_load_ushort v27, v[3:4] offset:256 glc slc
	;; [unrolled: 1-line block ×15, first 2 shown]
	s_and_saveexec_b64 s[92:93], s[90:91]
	s_cbranch_execz .LBB12_3136
; %bb.3135:                             ;   in Loop: Header=BB12_3134 Depth=4
	flat_store_short v[1:2], v9 glc slc
	flat_store_short v[1:2], v10 offset:128 glc slc
	flat_store_short v[1:2], v11 offset:256 glc slc
	;; [unrolled: 1-line block ×15, first 2 shown]
	buffer_load_dword v6, off, s[0:3], s33 offset:232 ; 4-byte Folded Reload
	s_waitcnt vmcnt(0)
	v_add_co_u32_e32 v1, vcc, v1, v6
	buffer_load_dword v6, off, s[0:3], s33 offset:236 ; 4-byte Folded Reload
	s_waitcnt vmcnt(0)
	v_addc_co_u32_e32 v2, vcc, v2, v6, vcc
.LBB12_3136:                            ;   in Loop: Header=BB12_3134 Depth=4
	s_or_b64 exec, exec, s[92:93]
	buffer_load_dword v6, off, s[0:3], s33 offset:232 ; 4-byte Folded Reload
	v_mov_b32_e32 v50, 0
	s_waitcnt vmcnt(0)
	v_add_co_u32_e32 v3, vcc, v3, v6
	buffer_load_dword v6, off, s[0:3], s33 offset:236 ; 4-byte Folded Reload
	s_waitcnt vmcnt(0)
	v_addc_co_u32_e32 v4, vcc, v4, v6, vcc
	buffer_load_dword v6, off, s[0:3], s33 offset:152 ; 4-byte Folded Reload
	s_waitcnt vmcnt(0)
	v_sub_u32_e32 v49, v5, v6
	v_mov_b32_e32 v5, 0
	v_mov_b32_e32 v6, 0
	v_cmp_lt_i32_e64 s[90:91], 0, v49
	s_and_saveexec_b64 s[92:93], s[90:91]
	s_cbranch_execz .LBB12_3133
; %bb.3137:                             ;   in Loop: Header=BB12_3134 Depth=4
	flat_load_ushort v9, v[3:4] glc slc
	flat_load_ushort v10, v[3:4] offset:128 glc slc
	flat_load_ushort v11, v[3:4] offset:256 glc slc
	;; [unrolled: 1-line block ×15, first 2 shown]
	buffer_load_dword v50, off, s[0:3], s33 offset:152 ; 4-byte Folded Reload
	buffer_load_dword v5, off, s[0:3], s33 offset:272 ; 4-byte Folded Reload
	;; [unrolled: 1-line block ×3, first 2 shown]
	v_add_co_u32_e32 v3, vcc, 0x800, v3
	v_addc_co_u32_e32 v4, vcc, 0, v4, vcc
	s_branch .LBB12_3133
.LBB12_3138:                            ;   in Loop: Header=BB12_2954 Depth=3
	s_or_b64 exec, exec, s[40:41]
	s_and_b64 s[40:41], s[88:89], exec
.LBB12_3139:                            ;   in Loop: Header=BB12_2954 Depth=3
	s_or_b64 exec, exec, s[28:29]
	s_and_saveexec_b64 s[28:29], s[40:41]
	s_cbranch_execz .LBB12_3141
; %bb.3140:                             ;   in Loop: Header=BB12_2954 Depth=3
	flat_store_short v[1:2], v9 glc slc
	flat_store_short v[1:2], v10 offset:128 glc slc
	flat_store_short v[1:2], v11 offset:256 glc slc
	;; [unrolled: 1-line block ×15, first 2 shown]
.LBB12_3141:                            ;   in Loop: Header=BB12_2954 Depth=3
	s_or_b64 exec, exec, s[28:29]
	v_lshlrev_b32_e32 v1, 11, v8
	v_cmp_ne_u32_e32 vcc, v51, v1
	s_and_b64 exec, exec, vcc
	s_cbranch_execz .LBB12_3151
; %bb.3142:                             ;   in Loop: Header=BB12_2954 Depth=3
	v_lshlrev_b32_e32 v2, 6, v5
	v_sub_u32_e32 v2, v7, v2
	v_ashrrev_i32_e32 v3, 31, v2
	v_lshrrev_b32_e32 v3, 26, v3
	v_add_u32_e32 v3, v2, v3
	v_and_b32_e32 v4, 0x7fffffc0, v3
	v_sub_u32_e32 v2, v2, v4
	v_lshlrev_b32_e32 v3, 1, v3
	v_and_b32_e32 v3, 0xffffff80, v3
	v_lshlrev_b32_e32 v2, 1, v2
	v_add3_u32 v1, v3, v2, v1
	v_sub_u32_e32 v5, v51, v1
	v_cmp_lt_i32_e32 vcc, 1, v5
	s_and_b64 exec, exec, vcc
	s_cbranch_execz .LBB12_3151
; %bb.3143:                             ;   in Loop: Header=BB12_2954 Depth=3
	v_add_u32_e32 v0, v1, v0
	v_ashrrev_i32_e32 v4, 31, v0
	v_add_co_u32_e32 v1, vcc, v60, v0
	v_addc_co_u32_e32 v2, vcc, v61, v4, vcc
	v_add_co_u32_e32 v3, vcc, v0, v58
	v_addc_co_u32_e32 v4, vcc, v4, v59, vcc
	s_mov_b64 s[88:89], 0
	s_mov_b64 s[28:29], 0
                                        ; implicit-def: $sgpr40_sgpr41
                                        ; implicit-def: $vgpr0
	s_branch .LBB12_3145
.LBB12_3144:                            ;   in Loop: Header=BB12_3145 Depth=4
	s_or_b64 exec, exec, s[90:91]
	s_waitcnt lgkmcnt(0)
	flat_store_short v[1:2], v7 glc slc
	s_waitcnt vmcnt(0)
	v_add_co_u32_e32 v1, vcc, v1, v5
	v_addc_co_u32_e32 v2, vcc, v2, v6, vcc
	v_add_co_u32_e32 v3, vcc, v3, v5
	v_addc_co_u32_e32 v4, vcc, v4, v6, vcc
	;; [unrolled: 2-line block ×3, first 2 shown]
	v_sub_u32_e32 v5, v8, v9
	v_cmp_gt_i32_e32 vcc, 2, v5
	s_or_b64 s[28:29], vcc, s[28:29]
	s_andn2_b64 s[40:41], s[40:41], exec
	s_and_b64 s[90:91], s[88:89], exec
	s_or_b64 s[40:41], s[40:41], s[90:91]
	s_andn2_b64 exec, exec, s[28:29]
	s_cbranch_execz .LBB12_3149
.LBB12_3145:                            ;   Parent Loop BB12_47 Depth=1
                                        ;     Parent Loop BB12_2951 Depth=2
                                        ;       Parent Loop BB12_2954 Depth=3
                                        ; =>      This Inner Loop Header: Depth=4
	flat_load_ushort v7, v[3:4] glc slc
	s_and_saveexec_b64 s[90:91], s[88:89]
	s_cbranch_execz .LBB12_3147
; %bb.3146:                             ;   in Loop: Header=BB12_3145 Depth=4
	buffer_load_dword v6, off, s[0:3], s33 offset:324 ; 4-byte Folded Reload
	s_waitcnt vmcnt(0)
	v_add_co_u32_e32 v8, vcc, v1, v6
	buffer_load_dword v6, off, s[0:3], s33 offset:328 ; 4-byte Folded Reload
	s_waitcnt vmcnt(0)
	v_addc_co_u32_e32 v9, vcc, v2, v6, vcc
	flat_store_short v[1:2], v0 glc slc
	v_mov_b32_e32 v1, v8
	v_mov_b32_e32 v2, v9
.LBB12_3147:                            ;   in Loop: Header=BB12_3145 Depth=4
	s_or_b64 exec, exec, s[90:91]
	buffer_load_dword v6, off, s[0:3], s33 offset:324 ; 4-byte Folded Reload
	v_mov_b32_e32 v9, 0
	s_waitcnt vmcnt(0)
	v_add_co_u32_e32 v3, vcc, v3, v6
	buffer_load_dword v6, off, s[0:3], s33 offset:328 ; 4-byte Folded Reload
	s_waitcnt vmcnt(0)
	v_addc_co_u32_e32 v4, vcc, v4, v6, vcc
	buffer_load_dword v6, off, s[0:3], s33 offset:280 ; 4-byte Folded Reload
	s_waitcnt vmcnt(0)
	v_sub_u32_e32 v8, v5, v6
	v_mov_b32_e32 v5, 0
	v_cmp_lt_i32_e64 s[88:89], 1, v8
	v_mov_b32_e32 v6, 0
	s_and_saveexec_b64 s[90:91], s[88:89]
	s_cbranch_execz .LBB12_3144
; %bb.3148:                             ;   in Loop: Header=BB12_3145 Depth=4
	flat_load_ushort v0, v[3:4] glc slc
	buffer_load_dword v9, off, s[0:3], s33 offset:280 ; 4-byte Folded Reload
	buffer_load_dword v5, off, s[0:3], s33 offset:316 ; 4-byte Folded Reload
	;; [unrolled: 1-line block ×3, first 2 shown]
	v_add_co_u32_e32 v3, vcc, 0x80, v3
	v_addc_co_u32_e32 v4, vcc, 0, v4, vcc
	s_branch .LBB12_3144
.LBB12_3149:                            ;   in Loop: Header=BB12_2954 Depth=3
	s_or_b64 exec, exec, s[28:29]
	s_and_b64 exec, exec, s[40:41]
	s_cbranch_execz .LBB12_3151
; %bb.3150:                             ;   in Loop: Header=BB12_2954 Depth=3
	flat_store_short v[1:2], v0 glc slc
.LBB12_3151:                            ;   in Loop: Header=BB12_2954 Depth=3
	s_or_b64 exec, exec, s[26:27]
	s_waitcnt vmcnt(0)
	v_cmp_lt_i32_e64 s[26:27], 0, v43
	s_and_saveexec_b64 s[28:29], s[10:11]
	s_cbranch_execz .LBB12_3037
.LBB12_3152:                            ;   in Loop: Header=BB12_2954 Depth=3
	s_and_saveexec_b64 s[40:41], s[58:59]
	s_xor_b64 s[40:41], exec, s[40:41]
	s_cbranch_execz .LBB12_3167
; %bb.3153:                             ;   in Loop: Header=BB12_2954 Depth=3
	s_and_saveexec_b64 s[88:89], s[16:17]
	s_cbranch_execz .LBB12_3166
; %bb.3154:                             ;   in Loop: Header=BB12_2954 Depth=3
	s_mov_b64 s[92:93], exec
	v_mbcnt_lo_u32_b32 v0, s92, 0
	v_mbcnt_hi_u32_b32 v0, s93, v0
	v_cmp_eq_u32_e32 vcc, 0, v0
	s_waitcnt vmcnt(0) lgkmcnt(0)
	buffer_wbinvl1_vol
	s_and_saveexec_b64 s[90:91], vcc
	s_cbranch_execz .LBB12_3156
; %bb.3155:                             ;   in Loop: Header=BB12_2954 Depth=3
	buffer_load_dword v1, off, s[0:3], s33 offset:128 ; 4-byte Folded Reload
	buffer_load_dword v2, off, s[0:3], s33 offset:132 ; 4-byte Folded Reload
	s_bcnt1_i32_b64 s77, s[92:93]
	v_mov_b32_e32 v0, s77
	s_waitcnt vmcnt(1)
	ds_add_u64 v0, v[0:1]
	s_trap 2
.LBB12_3156:                            ;   in Loop: Header=BB12_2954 Depth=3
	s_or_b64 exec, exec, s[90:91]
	s_trap 2
	ds_read_b64 v[0:1], v0
	s_waitcnt lgkmcnt(0)
	buffer_load_dword v2, off, s[0:3], s33 offset:152 ; 4-byte Folded Reload
	buffer_load_dword v3, off, s[0:3], s33 offset:160 ; 4-byte Folded Reload
	;; [unrolled: 1-line block ×3, first 2 shown]
	s_waitcnt vmcnt(1)
	v_add_co_u32_e32 v3, vcc, v3, v2
	s_waitcnt vmcnt(0)
	v_addc_co_u32_e32 v4, vcc, 0, v4, vcc
	buffer_store_dword v3, off, s[0:3], s33 offset:160 ; 4-byte Folded Spill
	s_nop 0
	buffer_store_dword v4, off, s[0:3], s33 offset:164 ; 4-byte Folded Spill
	v_cmp_lt_u64_e32 vcc, v[0:1], v[3:4]
	s_and_saveexec_b64 s[90:91], vcc
	s_cbranch_execz .LBB12_3165
; %bb.3157:                             ;   in Loop: Header=BB12_2954 Depth=3
	s_mov_b32 s77, 0
	s_mov_b64 s[92:93], 0
                                        ; implicit-def: $sgpr94_sgpr95
                                        ; implicit-def: $sgpr30_sgpr31
	s_branch .LBB12_3159
.LBB12_3158:                            ;   in Loop: Header=BB12_3159 Depth=4
	s_or_b64 exec, exec, s[36:37]
	s_and_b64 vcc, exec, vcc
	s_or_b64 s[92:93], vcc, s[92:93]
	s_andn2_b64 s[94:95], s[94:95], exec
	s_and_b64 vcc, s[30:31], exec
	s_or_b64 s[94:95], s[94:95], vcc
	s_andn2_b64 exec, exec, s[92:93]
	s_cbranch_execz .LBB12_3163
.LBB12_3159:                            ;   Parent Loop BB12_47 Depth=1
                                        ;     Parent Loop BB12_2951 Depth=2
                                        ;       Parent Loop BB12_2954 Depth=3
                                        ; =>      This Inner Loop Header: Depth=4
	s_add_i32 s77, s77, 1
	s_cmpk_lg_i32 s77, 0x2710
	s_cselect_b64 s[34:35], -1, 0
	s_and_b64 vcc, exec, s[34:35]
	s_cbranch_vccz .LBB12_3161
; %bb.3160:                             ;   in Loop: Header=BB12_3159 Depth=4
	s_mov_b64 vcc, -1
	s_or_b64 s[30:31], s[30:31], exec
	s_and_saveexec_b64 s[36:37], s[34:35]
	s_cbranch_execz .LBB12_3158
	s_branch .LBB12_3162
.LBB12_3161:                            ;   in Loop: Header=BB12_3159 Depth=4
	s_trap 2
	ds_read_b64 v[0:1], v0
	s_andn2_b64 s[34:35], s[34:35], exec
	s_mov_b32 s77, 0
	s_waitcnt vmcnt(0) lgkmcnt(0)
	flat_load_dword v0, v[0:1] glc
	s_waitcnt vmcnt(0) lgkmcnt(0)
	buffer_wbinvl1_vol
	v_cmp_eq_u32_e32 vcc, 0, v0
	s_and_b64 vcc, vcc, exec
	s_or_b64 s[34:35], s[34:35], vcc
	s_mov_b64 vcc, -1
	s_or_b64 s[30:31], s[30:31], exec
	s_and_saveexec_b64 s[36:37], s[34:35]
	s_cbranch_execz .LBB12_3158
.LBB12_3162:                            ;   in Loop: Header=BB12_3159 Depth=4
	s_sleep 1
	s_trap 2
	ds_read_b64 v[0:1], v0
	s_waitcnt lgkmcnt(0)
	buffer_load_dword v2, off, s[0:3], s33 offset:160 ; 4-byte Folded Reload
	buffer_load_dword v3, off, s[0:3], s33 offset:164 ; 4-byte Folded Reload
	s_andn2_b64 s[30:31], s[30:31], exec
	s_waitcnt vmcnt(0)
	v_cmp_ge_u64_e32 vcc, v[0:1], v[2:3]
	s_orn2_b64 vcc, vcc, exec
	s_branch .LBB12_3158
.LBB12_3163:                            ;   in Loop: Header=BB12_2954 Depth=3
	s_or_b64 exec, exec, s[92:93]
	s_and_saveexec_b64 s[92:93], s[94:95]
	s_xor_b64 s[92:93], exec, s[92:93]
	s_cbranch_execz .LBB12_3165
; %bb.3164:                             ;   in Loop: Header=BB12_2954 Depth=3
	v_mov_b32_e32 v0, 1
	ds_write_b32 v0, v0
	s_trap 2
.LBB12_3165:                            ;   in Loop: Header=BB12_2954 Depth=3
	s_or_b64 exec, exec, s[90:91]
	;;#ASMSTART
	s_wakeup
	;;#ASMEND
.LBB12_3166:                            ;   in Loop: Header=BB12_2954 Depth=3
	s_or_b64 exec, exec, s[88:89]
.LBB12_3167:                            ;   in Loop: Header=BB12_2954 Depth=3
	s_andn2_saveexec_b64 s[40:41], s[40:41]
	s_cbranch_execz .LBB12_3169
; %bb.3168:                             ;   in Loop: Header=BB12_2954 Depth=3
	s_waitcnt vmcnt(0) lgkmcnt(0)
	buffer_wbinvl1_vol
	s_barrier
.LBB12_3169:                            ;   in Loop: Header=BB12_2954 Depth=3
	s_or_b64 exec, exec, s[40:41]
	s_or_b64 exec, exec, s[28:29]
                                        ; implicit-def: $vgpr0
	s_and_saveexec_b64 s[28:29], s[24:25]
	s_xor_b64 s[28:29], exec, s[28:29]
	s_cbranch_execnz .LBB12_3038
.LBB12_3170:                            ;   in Loop: Header=BB12_2954 Depth=3
	s_andn2_saveexec_b64 s[26:27], s[28:29]
	s_cbranch_execz .LBB12_3189
.LBB12_3171:                            ;   in Loop: Header=BB12_2954 Depth=3
	s_and_saveexec_b64 s[28:29], s[58:59]
	s_xor_b64 s[28:29], exec, s[28:29]
	s_cbranch_execz .LBB12_3186
; %bb.3172:                             ;   in Loop: Header=BB12_2954 Depth=3
	s_and_saveexec_b64 s[40:41], s[16:17]
	s_cbranch_execz .LBB12_3185
; %bb.3173:                             ;   in Loop: Header=BB12_2954 Depth=3
	s_mov_b64 s[90:91], exec
	v_mbcnt_lo_u32_b32 v0, s90, 0
	v_mbcnt_hi_u32_b32 v0, s91, v0
	v_cmp_eq_u32_e32 vcc, 0, v0
	;;#ASMSTART
	s_waitcnt lgkmcnt(0) vmcnt(0)
	;;#ASMEND
	s_and_saveexec_b64 s[88:89], vcc
	s_cbranch_execz .LBB12_3175
; %bb.3174:                             ;   in Loop: Header=BB12_2954 Depth=3
	buffer_load_dword v1, off, s[0:3], s33 offset:128 ; 4-byte Folded Reload
	buffer_load_dword v2, off, s[0:3], s33 offset:132 ; 4-byte Folded Reload
	s_bcnt1_i32_b64 s77, s[90:91]
	v_mov_b32_e32 v0, s77
	s_waitcnt vmcnt(0) lgkmcnt(0)
	ds_add_u64 v0, v[0:1]
	s_trap 2
.LBB12_3175:                            ;   in Loop: Header=BB12_2954 Depth=3
	s_or_b64 exec, exec, s[88:89]
	s_trap 2
	ds_read_b64 v[0:1], v0
	s_waitcnt lgkmcnt(0)
	buffer_load_dword v2, off, s[0:3], s33 offset:152 ; 4-byte Folded Reload
	buffer_load_dword v3, off, s[0:3], s33 offset:160 ; 4-byte Folded Reload
	;; [unrolled: 1-line block ×3, first 2 shown]
	s_waitcnt vmcnt(0)
	v_add_co_u32_e32 v3, vcc, v3, v2
	v_addc_co_u32_e32 v4, vcc, 0, v4, vcc
	buffer_store_dword v3, off, s[0:3], s33 offset:160 ; 4-byte Folded Spill
	s_nop 0
	buffer_store_dword v4, off, s[0:3], s33 offset:164 ; 4-byte Folded Spill
	v_cmp_lt_u64_e32 vcc, v[0:1], v[3:4]
	s_and_saveexec_b64 s[88:89], vcc
	s_cbranch_execz .LBB12_3184
; %bb.3176:                             ;   in Loop: Header=BB12_2954 Depth=3
	s_mov_b32 s77, 0
	s_mov_b64 s[90:91], 0
                                        ; implicit-def: $sgpr92_sgpr93
                                        ; implicit-def: $sgpr94_sgpr95
	s_branch .LBB12_3178
.LBB12_3177:                            ;   in Loop: Header=BB12_3178 Depth=4
	s_or_b64 exec, exec, s[34:35]
	s_and_b64 vcc, exec, vcc
	s_or_b64 s[90:91], vcc, s[90:91]
	s_andn2_b64 s[92:93], s[92:93], exec
	s_and_b64 vcc, s[94:95], exec
	s_or_b64 s[92:93], s[92:93], vcc
	s_andn2_b64 exec, exec, s[90:91]
	s_cbranch_execz .LBB12_3182
.LBB12_3178:                            ;   Parent Loop BB12_47 Depth=1
                                        ;     Parent Loop BB12_2951 Depth=2
                                        ;       Parent Loop BB12_2954 Depth=3
                                        ; =>      This Inner Loop Header: Depth=4
	s_add_i32 s77, s77, 1
	s_cmpk_lg_i32 s77, 0x2710
	s_cselect_b64 s[30:31], -1, 0
	s_and_b64 vcc, exec, s[30:31]
	s_cbranch_vccz .LBB12_3180
; %bb.3179:                             ;   in Loop: Header=BB12_3178 Depth=4
	s_mov_b64 vcc, -1
	s_or_b64 s[94:95], s[94:95], exec
	s_and_saveexec_b64 s[34:35], s[30:31]
	s_cbranch_execz .LBB12_3177
	s_branch .LBB12_3181
.LBB12_3180:                            ;   in Loop: Header=BB12_3178 Depth=4
	s_trap 2
	ds_read_b64 v[0:1], v0
	s_andn2_b64 s[30:31], s[30:31], exec
	s_mov_b32 s77, 0
	s_waitcnt vmcnt(0) lgkmcnt(0)
	flat_load_dword v0, v[0:1] glc
	s_waitcnt vmcnt(0) lgkmcnt(0)
	buffer_wbinvl1_vol
	v_cmp_eq_u32_e32 vcc, 0, v0
	s_and_b64 vcc, vcc, exec
	s_or_b64 s[30:31], s[30:31], vcc
	s_mov_b64 vcc, -1
	s_or_b64 s[94:95], s[94:95], exec
	s_and_saveexec_b64 s[34:35], s[30:31]
	s_cbranch_execz .LBB12_3177
.LBB12_3181:                            ;   in Loop: Header=BB12_3178 Depth=4
	s_sleep 1
	s_trap 2
	ds_read_b64 v[0:1], v0
	s_waitcnt lgkmcnt(0)
	buffer_load_dword v2, off, s[0:3], s33 offset:160 ; 4-byte Folded Reload
	buffer_load_dword v3, off, s[0:3], s33 offset:164 ; 4-byte Folded Reload
	s_andn2_b64 s[94:95], s[94:95], exec
	s_waitcnt vmcnt(0)
	v_cmp_ge_u64_e32 vcc, v[0:1], v[2:3]
	s_orn2_b64 vcc, vcc, exec
	s_branch .LBB12_3177
.LBB12_3182:                            ;   in Loop: Header=BB12_2954 Depth=3
	s_or_b64 exec, exec, s[90:91]
	s_and_saveexec_b64 s[90:91], s[92:93]
	s_xor_b64 s[90:91], exec, s[90:91]
	s_cbranch_execz .LBB12_3184
; %bb.3183:                             ;   in Loop: Header=BB12_2954 Depth=3
	v_mov_b32_e32 v0, 1
	ds_write_b32 v0, v0
	s_trap 2
.LBB12_3184:                            ;   in Loop: Header=BB12_2954 Depth=3
	s_or_b64 exec, exec, s[88:89]
	;;#ASMSTART
	s_wakeup
	;;#ASMEND
.LBB12_3185:                            ;   in Loop: Header=BB12_2954 Depth=3
	s_or_b64 exec, exec, s[40:41]
.LBB12_3186:                            ;   in Loop: Header=BB12_2954 Depth=3
	s_andn2_saveexec_b64 s[28:29], s[28:29]
	s_cbranch_execz .LBB12_3188
; %bb.3187:                             ;   in Loop: Header=BB12_2954 Depth=3
	;;#ASMSTART
	s_waitcnt lgkmcnt(0) vmcnt(0)
	;;#ASMEND
	s_waitcnt vmcnt(0) lgkmcnt(0)
	s_barrier
.LBB12_3188:                            ;   in Loop: Header=BB12_2954 Depth=3
	s_or_b64 exec, exec, s[28:29]
	buffer_load_dword v0, off, s[0:3], s33 offset:156 ; 4-byte Folded Reload
	s_waitcnt vmcnt(0)
	v_and_b32_e32 v0, 16, v0
.LBB12_3189:                            ;   in Loop: Header=BB12_2954 Depth=3
	s_or_b64 exec, exec, s[26:27]
	v_cmp_ne_u32_e32 vcc, 0, v0
	s_xor_b64 s[26:27], s[12:13], -1
	s_and_b64 s[28:29], vcc, s[26:27]
	s_and_saveexec_b64 s[26:27], s[28:29]
	s_cbranch_execz .LBB12_3191
; %bb.3190:                             ;   in Loop: Header=BB12_2954 Depth=3
	buffer_load_dword v0, off, s[0:3], s33 offset:428 ; 4-byte Folded Reload
	buffer_load_dword v1, off, s[0:3], s33 offset:432 ; 4-byte Folded Reload
	s_waitcnt vmcnt(0)
	v_mov_b32_e32 v2, 1
	flat_store_dword v[0:1], v2
.LBB12_3191:                            ;   in Loop: Header=BB12_2954 Depth=3
	s_or_b64 exec, exec, s[26:27]
	buffer_load_dword v0, off, s[0:3], s33 offset:156 ; 4-byte Folded Reload
	s_waitcnt vmcnt(0)
	v_and_b32_e32 v0, 48, v0
	v_cmp_ne_u32_e32 vcc, 0, v0
	s_and_saveexec_b64 s[26:27], vcc
	s_cbranch_execz .LBB12_2953
; %bb.3192:                             ;   in Loop: Header=BB12_2954 Depth=3
	buffer_load_dword v2, off, s[0:3], s33 offset:256 ; 4-byte Folded Reload
	buffer_load_dword v3, off, s[0:3], s33 offset:260 ; 4-byte Folded Reload
	;; [unrolled: 1-line block ×4, first 2 shown]
	s_waitcnt vmcnt(0)
	v_add_co_u32_e32 v2, vcc, 2, v2
	v_addc_co_u32_e32 v3, vcc, 0, v3, vcc
	buffer_store_dword v2, off, s[0:3], s33 offset:256 ; 4-byte Folded Spill
	s_nop 0
	buffer_store_dword v3, off, s[0:3], s33 offset:260 ; 4-byte Folded Spill
	flat_store_dwordx2 v[0:1], v[2:3]
	s_branch .LBB12_2953
.LBB12_3193:                            ;   in Loop: Header=BB12_2951 Depth=2
	s_or_b64 exec, exec, s[42:43]
	v_cmp_gt_i32_e32 vcc, 2, v2
	s_and_saveexec_b64 s[28:29], vcc
	s_cbranch_execz .LBB12_3269
.LBB12_3194:                            ;   in Loop: Header=BB12_2951 Depth=2
	v_cmp_eq_u32_e64 s[42:43], 0, v2
	s_mov_b64 s[40:41], 0
	s_branch .LBB12_3196
.LBB12_3195:                            ;   in Loop: Header=BB12_3196 Depth=3
	s_or_b64 exec, exec, s[26:27]
	v_add_u32_e32 v47, v42, v47
	s_mov_b64 s[42:43], 0
	s_andn2_b64 exec, exec, s[40:41]
	s_cbranch_execz .LBB12_3270
.LBB12_3196:                            ;   Parent Loop BB12_47 Depth=1
                                        ;     Parent Loop BB12_2951 Depth=2
                                        ; =>    This Loop Header: Depth=3
                                        ;         Child Loop BB12_3202 Depth 4
                                        ;         Child Loop BB12_3230 Depth 4
                                        ;         Child Loop BB12_3253 Depth 4
	v_sub_u32_e32 v0, v40, v47
	v_min_i32_e32 v42, v42, v0
	buffer_load_dword v0, off, s[0:3], s33 offset:156 ; 4-byte Folded Reload
	s_waitcnt vmcnt(0)
	v_and_b32_e32 v0, 12, v0
	v_cmp_ne_u32_e32 vcc, 0, v0
	s_and_saveexec_b64 s[44:45], vcc
	s_cbranch_execz .LBB12_3222
; %bb.3197:                             ;   in Loop: Header=BB12_3196 Depth=3
	buffer_load_dword v0, off, s[0:3], s33 offset:156 ; 4-byte Folded Reload
	buffer_load_dword v1, off, s[0:3], s33 offset:136 ; 4-byte Folded Reload
	;; [unrolled: 1-line block ×3, first 2 shown]
	s_waitcnt vmcnt(0)
	v_and_b32_e32 v0, 8, v0
	v_add_co_u32_e32 v3, vcc, v1, v0
	v_addc_co_u32_e32 v4, vcc, 0, v2, vcc
	buffer_load_dword v1, off, s[0:3], s33 offset:256 ; 4-byte Folded Reload
	buffer_load_dword v2, off, s[0:3], s33 offset:260 ; 4-byte Folded Reload
	s_waitcnt vmcnt(0)
	v_add_co_u32_e32 v1, vcc, 2, v1
	v_addc_co_u32_e32 v2, vcc, 0, v2, vcc
	v_cmp_lt_u64_e32 vcc, v[3:4], v[1:2]
	s_and_saveexec_b64 s[78:79], vcc
	s_cbranch_execz .LBB12_3209
; %bb.3198:                             ;   in Loop: Header=BB12_3196 Depth=3
	buffer_load_dword v3, off, s[0:3], s33 offset:156 ; 4-byte Folded Reload
	s_mov_b32 s47, 0
	s_mov_b64 s[88:89], 0
                                        ; implicit-def: $sgpr90_sgpr91
                                        ; implicit-def: $sgpr92_sgpr93
                                        ; implicit-def: $sgpr94_sgpr95
	s_waitcnt vmcnt(0)
	v_and_b32_e32 v3, 64, v3
	v_cmp_eq_u32_e32 vcc, 0, v3
	s_branch .LBB12_3202
.LBB12_3199:                            ;   in Loop: Header=BB12_3202 Depth=4
	buffer_load_dword v4, off, s[0:3], s33 offset:136 ; 4-byte Folded Reload
	buffer_load_dword v5, off, s[0:3], s33 offset:140 ; 4-byte Folded Reload
	s_or_b64 s[36:37], s[36:37], exec
	s_waitcnt vmcnt(1)
	v_add_co_u32_e64 v4, s[26:27], v4, v0
	s_waitcnt vmcnt(0)
	v_addc_co_u32_e64 v5, s[26:27], 0, v5, s[26:27]
	v_cmp_ge_u64_e64 s[26:27], v[4:5], v[1:2]
	s_orn2_b64 s[34:35], s[26:27], exec
.LBB12_3200:                            ;   in Loop: Header=BB12_3202 Depth=4
	s_or_b64 exec, exec, s[48:49]
	s_andn2_b64 s[26:27], s[94:95], exec
	s_and_b64 s[94:95], s[36:37], exec
	s_or_b64 s[94:95], s[26:27], s[94:95]
	s_andn2_b64 s[26:27], s[92:93], exec
	s_and_b64 s[92:93], s[34:35], exec
	s_or_b64 s[92:93], s[26:27], s[92:93]
.LBB12_3201:                            ;   in Loop: Header=BB12_3202 Depth=4
	s_or_b64 exec, exec, s[30:31]
	s_and_b64 s[26:27], exec, s[92:93]
	s_or_b64 s[88:89], s[26:27], s[88:89]
	s_andn2_b64 s[26:27], s[90:91], exec
	s_and_b64 s[90:91], s[94:95], exec
	s_or_b64 s[90:91], s[26:27], s[90:91]
	s_andn2_b64 exec, exec, s[88:89]
	s_cbranch_execz .LBB12_3206
.LBB12_3202:                            ;   Parent Loop BB12_47 Depth=1
                                        ;     Parent Loop BB12_2951 Depth=2
                                        ;       Parent Loop BB12_3196 Depth=3
                                        ; =>      This Inner Loop Header: Depth=4
	s_sleep 1
	buffer_load_dword v3, off, s[0:3], s33 offset:144 ; 4-byte Folded Reload
	buffer_load_dword v4, off, s[0:3], s33 offset:148 ; 4-byte Folded Reload
	s_or_b64 s[94:95], s[94:95], exec
	s_or_b64 s[92:93], s[92:93], exec
	s_waitcnt vmcnt(0)
	flat_load_dwordx2 v[3:4], v[3:4] glc
	s_waitcnt vmcnt(0) lgkmcnt(0)
	buffer_store_dword v3, off, s[0:3], s33 offset:136 ; 4-byte Folded Spill
	s_nop 0
	buffer_store_dword v4, off, s[0:3], s33 offset:140 ; 4-byte Folded Spill
                                        ; implicit-def: $vgpr3
	s_and_saveexec_b64 s[30:31], vcc
	s_cbranch_execz .LBB12_3201
; %bb.3203:                             ;   in Loop: Header=BB12_3202 Depth=4
	s_cmpk_lt_i32 s47, 0x270f
	s_cselect_b64 s[38:39], -1, 0
	s_cmpk_gt_i32 s47, 0x270e
	s_mov_b64 s[34:35], -1
	s_cbranch_scc0 .LBB12_3205
; %bb.3204:                             ;   in Loop: Header=BB12_3202 Depth=4
	s_trap 2
	ds_read_b64 v[3:4], v0
	s_andn2_b64 s[38:39], s[38:39], exec
	s_mov_b32 s47, 0
	s_mov_b64 s[36:37], 0
	s_waitcnt vmcnt(0) lgkmcnt(0)
	flat_load_dword v3, v[3:4] glc
	s_waitcnt vmcnt(0) lgkmcnt(0)
	buffer_wbinvl1_vol
	v_cmp_eq_u32_e64 s[26:27], 0, v3
	s_and_b64 s[26:27], s[26:27], exec
	s_or_b64 s[38:39], s[38:39], s[26:27]
	s_and_saveexec_b64 s[48:49], s[38:39]
	s_cbranch_execz .LBB12_3200
	s_branch .LBB12_3199
.LBB12_3205:                            ;   in Loop: Header=BB12_3202 Depth=4
	s_add_i32 s47, s47, 1
	s_mov_b64 s[36:37], -1
                                        ; implicit-def: $vgpr3
	s_and_saveexec_b64 s[48:49], s[38:39]
	s_cbranch_execz .LBB12_3200
	s_branch .LBB12_3199
.LBB12_3206:                            ;   in Loop: Header=BB12_3196 Depth=3
	s_or_b64 exec, exec, s[88:89]
	s_xor_b64 s[26:27], s[90:91], -1
	s_and_saveexec_b64 s[88:89], s[26:27]
	s_xor_b64 s[26:27], exec, s[88:89]
	s_cbranch_execz .LBB12_3208
; %bb.3207:                             ;   in Loop: Header=BB12_3196 Depth=3
	ds_write_b32 v0, v3
	s_trap 2
	buffer_load_dword v3, off, s[0:3], s33 offset:156 ; 4-byte Folded Reload
	s_waitcnt vmcnt(0)
	v_or_b32_e32 v3, 64, v3
	buffer_store_dword v3, off, s[0:3], s33 offset:156 ; 4-byte Folded Spill
.LBB12_3208:                            ;   in Loop: Header=BB12_3196 Depth=3
	s_or_b64 exec, exec, s[26:27]
.LBB12_3209:                            ;   in Loop: Header=BB12_3196 Depth=3
	s_or_b64 exec, exec, s[78:79]
	;;#ASMSTART
	s_wakeup
	;;#ASMEND
	buffer_load_dword v3, off, s[0:3], s33 offset:156 ; 4-byte Folded Reload
	s_waitcnt vmcnt(0)
	v_and_b32_e32 v3, 0x108, v3
	v_cmp_ne_u32_e32 vcc, s97, v3
                                        ; implicit-def: $vgpr3_vgpr4
	s_and_saveexec_b64 s[26:27], vcc
	s_xor_b64 s[26:27], exec, s[26:27]
	s_cbranch_execz .LBB12_3211
; %bb.3210:                             ;   in Loop: Header=BB12_3196 Depth=3
	buffer_load_dword v3, off, s[0:3], s33 offset:256 ; 4-byte Folded Reload
	buffer_load_dword v4, off, s[0:3], s33 offset:260 ; 4-byte Folded Reload
	;; [unrolled: 1-line block ×4, first 2 shown]
                                        ; implicit-def: $vgpr5_vgpr6
                                        ; kill: killed $vgpr5_vgpr6
	s_waitcnt vmcnt(0)
	v_and_b32_e32 v3, 7, v3
.LBB12_3211:                            ;   in Loop: Header=BB12_3196 Depth=3
	s_andn2_saveexec_b64 s[26:27], s[26:27]
	s_cbranch_execz .LBB12_3213
; %bb.3212:                             ;   in Loop: Header=BB12_3196 Depth=3
	buffer_load_dword v3, off, s[0:3], s33 offset:256 ; 4-byte Folded Reload
	buffer_load_dword v4, off, s[0:3], s33 offset:260 ; 4-byte Folded Reload
	;; [unrolled: 1-line block ×8, first 2 shown]
	v_ashrrev_i32_e32 v43, 31, v42
	s_waitcnt vmcnt(0)
	v_lshlrev_b64 v[7:8], 1, v[42:43]
	v_and_b32_e32 v3, 7, v3
	v_mad_u64_u32 v[5:6], s[78:79], v3, 24, v[4:5]
	v_mov_b32_e32 v4, v9
	flat_store_dwordx2 v[5:6], v[7:8] offset:8
.LBB12_3213:                            ;   in Loop: Header=BB12_3196 Depth=3
	s_or_b64 exec, exec, s[26:27]
	buffer_load_dword v5, off, s[0:3], s33 offset:156 ; 4-byte Folded Reload
	s_mov_b64 s[26:27], -1
	s_waitcnt vmcnt(0)
	v_and_b32_e32 v5, 0x100, v5
	v_cmp_ne_u32_e32 vcc, 0, v5
                                        ; implicit-def: $vgpr5_vgpr6
	s_and_saveexec_b64 s[78:79], vcc
	s_cbranch_execz .LBB12_3217
; %bb.3214:                             ;   in Loop: Header=BB12_3196 Depth=3
	buffer_load_dword v5, off, s[0:3], s33 offset:412 ; 4-byte Folded Reload
	buffer_load_dword v6, off, s[0:3], s33 offset:416 ; 4-byte Folded Reload
	;; [unrolled: 1-line block ×4, first 2 shown]
	s_waitcnt vmcnt(0)
	v_mad_u64_u32 v[7:8], s[26:27], v3, 24, v[5:6]
	v_mov_b32_e32 v5, v8
	v_mad_u64_u32 v[5:6], s[26:27], v4, 24, v[5:6]
	v_mov_b32_e32 v8, v5
	flat_load_dword v5, v[7:8]
	s_waitcnt vmcnt(0) lgkmcnt(0)
	v_cmp_ne_u32_e32 vcc, 1, v5
	v_cmp_eq_u32_e64 s[26:27], 1, v5
                                        ; implicit-def: $vgpr5_vgpr6
	s_and_saveexec_b64 s[88:89], s[26:27]
	s_cbranch_execz .LBB12_3216
; %bb.3215:                             ;   in Loop: Header=BB12_3196 Depth=3
	flat_load_dword v5, v[7:8] offset:4 glc
	s_waitcnt vmcnt(0) lgkmcnt(0)
	v_ashrrev_i32_e32 v6, 31, v5
	v_lshrrev_b64 v[5:6], 1, v[5:6]
.LBB12_3216:                            ;   in Loop: Header=BB12_3196 Depth=3
	s_or_b64 exec, exec, s[88:89]
	s_orn2_b64 s[26:27], vcc, exec
.LBB12_3217:                            ;   in Loop: Header=BB12_3196 Depth=3
	s_or_b64 exec, exec, s[78:79]
	s_and_saveexec_b64 s[78:79], s[26:27]
	s_cbranch_execz .LBB12_3219
; %bb.3218:                             ;   in Loop: Header=BB12_3196 Depth=3
	buffer_load_dword v5, off, s[0:3], s33 offset:436 ; 4-byte Folded Reload
	buffer_load_dword v6, off, s[0:3], s33 offset:440 ; 4-byte Folded Reload
	s_waitcnt vmcnt(0)
	v_mul_lo_u32 v4, v4, v5
	v_mul_lo_u32 v7, v3, v6
	v_mad_u64_u32 v[5:6], s[26:27], v3, v5, 0
	v_add3_u32 v6, v6, v7, v4
.LBB12_3219:                            ;   in Loop: Header=BB12_3196 Depth=3
	s_or_b64 exec, exec, s[78:79]
	v_cmp_eq_u32_e32 vcc, 0, v0
	v_mov_b32_e32 v0, 0xd0
	v_mov_b32_e32 v3, 0x88
	v_cndmask_b32_e32 v0, v0, v3, vcc
	v_lshlrev_b64 v[3:4], 1, v[5:6]
	buffer_load_dword v5, off, s[0:3], s33 offset:404 ; 4-byte Folded Reload
	buffer_load_dword v6, off, s[0:3], s33 offset:408 ; 4-byte Folded Reload
	v_add_u32_e32 v0, v0, v0
	s_waitcnt vmcnt(0)
	v_add_co_u32_e32 v3, vcc, v5, v3
	v_addc_co_u32_e32 v4, vcc, v6, v4, vcc
	ds_write_b64 v0, v[3:4] offset:584
	buffer_load_dword v0, off, s[0:3], s33 offset:156 ; 4-byte Folded Reload
	s_waitcnt vmcnt(0)
	v_and_b32_e32 v0, 0x2000, v0
	v_cmp_ne_u32_e32 vcc, 0, v0
	s_and_saveexec_b64 s[26:27], vcc
	s_cbranch_execz .LBB12_3221
; %bb.3220:                             ;   in Loop: Header=BB12_3196 Depth=3
	ds_read_b64 v[3:4], v0 offset:872
	s_waitcnt lgkmcnt(0)
	v_add_co_u32_e32 v3, vcc, 1, v3
	v_addc_co_u32_e32 v4, vcc, 0, v4, vcc
	ds_write_b64 v0, v[3:4] offset:872
.LBB12_3221:                            ;   in Loop: Header=BB12_3196 Depth=3
	s_or_b64 exec, exec, s[26:27]
	buffer_store_dword v1, off, s[0:3], s33 offset:256 ; 4-byte Folded Spill
	s_nop 0
	buffer_store_dword v2, off, s[0:3], s33 offset:260 ; 4-byte Folded Spill
.LBB12_3222:                            ;   in Loop: Header=BB12_3196 Depth=3
	s_or_b64 exec, exec, s[44:45]
	s_xor_b64 s[26:27], s[42:43], -1
	s_and_b64 s[26:27], exec, s[26:27]
	s_or_b64 s[40:41], s[26:27], s[40:41]
	s_and_saveexec_b64 s[26:27], s[10:11]
	s_cbranch_execz .LBB12_3241
; %bb.3223:                             ;   in Loop: Header=BB12_3196 Depth=3
	s_and_saveexec_b64 s[42:43], s[58:59]
	s_xor_b64 s[42:43], exec, s[42:43]
	s_cbranch_execz .LBB12_3238
; %bb.3224:                             ;   in Loop: Header=BB12_3196 Depth=3
	s_and_saveexec_b64 s[44:45], s[16:17]
	s_cbranch_execz .LBB12_3237
; %bb.3225:                             ;   in Loop: Header=BB12_3196 Depth=3
	s_mov_b64 s[88:89], exec
	v_mbcnt_lo_u32_b32 v0, s88, 0
	v_mbcnt_hi_u32_b32 v0, s89, v0
	v_cmp_eq_u32_e32 vcc, 0, v0
	s_waitcnt vmcnt(0) lgkmcnt(0)
	buffer_wbinvl1_vol
	s_and_saveexec_b64 s[78:79], vcc
	s_cbranch_execz .LBB12_3227
; %bb.3226:                             ;   in Loop: Header=BB12_3196 Depth=3
	buffer_load_dword v1, off, s[0:3], s33 offset:128 ; 4-byte Folded Reload
	buffer_load_dword v2, off, s[0:3], s33 offset:132 ; 4-byte Folded Reload
	s_bcnt1_i32_b64 s47, s[88:89]
	v_mov_b32_e32 v0, s47
	s_waitcnt vmcnt(1)
	ds_add_u64 v0, v[0:1]
	s_trap 2
.LBB12_3227:                            ;   in Loop: Header=BB12_3196 Depth=3
	s_or_b64 exec, exec, s[78:79]
	s_trap 2
	ds_read_b64 v[0:1], v0
	s_waitcnt lgkmcnt(0)
	buffer_load_dword v2, off, s[0:3], s33 offset:152 ; 4-byte Folded Reload
	buffer_load_dword v3, off, s[0:3], s33 offset:160 ; 4-byte Folded Reload
	;; [unrolled: 1-line block ×3, first 2 shown]
	s_waitcnt vmcnt(1)
	v_add_co_u32_e32 v3, vcc, v3, v2
	s_waitcnt vmcnt(0)
	v_addc_co_u32_e32 v4, vcc, 0, v4, vcc
	buffer_store_dword v3, off, s[0:3], s33 offset:160 ; 4-byte Folded Spill
	s_nop 0
	buffer_store_dword v4, off, s[0:3], s33 offset:164 ; 4-byte Folded Spill
	v_cmp_lt_u64_e32 vcc, v[0:1], v[3:4]
	s_and_saveexec_b64 s[78:79], vcc
	s_cbranch_execz .LBB12_3236
; %bb.3228:                             ;   in Loop: Header=BB12_3196 Depth=3
	s_mov_b32 s47, 0
	s_mov_b64 s[88:89], 0
                                        ; implicit-def: $sgpr90_sgpr91
                                        ; implicit-def: $sgpr92_sgpr93
	s_branch .LBB12_3230
.LBB12_3229:                            ;   in Loop: Header=BB12_3230 Depth=4
	s_or_b64 exec, exec, s[30:31]
	s_and_b64 s[94:95], exec, vcc
	s_or_b64 s[88:89], s[94:95], s[88:89]
	s_andn2_b64 s[90:91], s[90:91], exec
	s_and_b64 s[94:95], s[92:93], exec
	s_or_b64 s[90:91], s[90:91], s[94:95]
	s_andn2_b64 exec, exec, s[88:89]
	s_cbranch_execz .LBB12_3234
.LBB12_3230:                            ;   Parent Loop BB12_47 Depth=1
                                        ;     Parent Loop BB12_2951 Depth=2
                                        ;       Parent Loop BB12_3196 Depth=3
                                        ; =>      This Inner Loop Header: Depth=4
	s_add_i32 s47, s47, 1
	s_cmpk_lg_i32 s47, 0x2710
	s_cselect_b64 s[94:95], -1, 0
	s_and_b64 vcc, exec, s[94:95]
	s_cbranch_vccz .LBB12_3232
; %bb.3231:                             ;   in Loop: Header=BB12_3230 Depth=4
	s_mov_b64 vcc, -1
	s_or_b64 s[92:93], s[92:93], exec
	s_and_saveexec_b64 s[30:31], s[94:95]
	s_cbranch_execz .LBB12_3229
	s_branch .LBB12_3233
.LBB12_3232:                            ;   in Loop: Header=BB12_3230 Depth=4
	s_trap 2
	ds_read_b64 v[0:1], v0
	s_andn2_b64 s[94:95], s[94:95], exec
	s_mov_b32 s47, 0
	s_waitcnt vmcnt(0) lgkmcnt(0)
	flat_load_dword v0, v[0:1] glc
	s_waitcnt vmcnt(0) lgkmcnt(0)
	buffer_wbinvl1_vol
	v_cmp_eq_u32_e32 vcc, 0, v0
	s_and_b64 vcc, vcc, exec
	s_or_b64 s[94:95], s[94:95], vcc
	s_mov_b64 vcc, -1
	s_or_b64 s[92:93], s[92:93], exec
	s_and_saveexec_b64 s[30:31], s[94:95]
	s_cbranch_execz .LBB12_3229
.LBB12_3233:                            ;   in Loop: Header=BB12_3230 Depth=4
	s_sleep 1
	s_trap 2
	ds_read_b64 v[0:1], v0
	s_waitcnt lgkmcnt(0)
	buffer_load_dword v2, off, s[0:3], s33 offset:160 ; 4-byte Folded Reload
	buffer_load_dword v3, off, s[0:3], s33 offset:164 ; 4-byte Folded Reload
	s_andn2_b64 s[92:93], s[92:93], exec
	s_waitcnt vmcnt(0)
	v_cmp_ge_u64_e32 vcc, v[0:1], v[2:3]
	s_orn2_b64 vcc, vcc, exec
	s_branch .LBB12_3229
.LBB12_3234:                            ;   in Loop: Header=BB12_3196 Depth=3
	s_or_b64 exec, exec, s[88:89]
	s_and_saveexec_b64 s[88:89], s[90:91]
	s_xor_b64 s[88:89], exec, s[88:89]
	s_cbranch_execz .LBB12_3236
; %bb.3235:                             ;   in Loop: Header=BB12_3196 Depth=3
	v_mov_b32_e32 v0, 1
	ds_write_b32 v0, v0
	s_trap 2
.LBB12_3236:                            ;   in Loop: Header=BB12_3196 Depth=3
	s_or_b64 exec, exec, s[78:79]
	;;#ASMSTART
	s_wakeup
	;;#ASMEND
.LBB12_3237:                            ;   in Loop: Header=BB12_3196 Depth=3
	s_or_b64 exec, exec, s[44:45]
.LBB12_3238:                            ;   in Loop: Header=BB12_3196 Depth=3
	s_andn2_saveexec_b64 s[42:43], s[42:43]
	s_cbranch_execz .LBB12_3240
; %bb.3239:                             ;   in Loop: Header=BB12_3196 Depth=3
	s_waitcnt vmcnt(0) lgkmcnt(0)
	buffer_wbinvl1_vol
	s_barrier
.LBB12_3240:                            ;   in Loop: Header=BB12_3196 Depth=3
	s_or_b64 exec, exec, s[42:43]
.LBB12_3241:                            ;   in Loop: Header=BB12_3196 Depth=3
	s_or_b64 exec, exec, s[26:27]
                                        ; implicit-def: $vgpr0
	s_and_saveexec_b64 s[26:27], s[24:25]
	s_xor_b64 s[26:27], exec, s[26:27]
	s_cbranch_execz .LBB12_3245
; %bb.3242:                             ;   in Loop: Header=BB12_3196 Depth=3
	s_trap 2
	buffer_load_dword v1, off, s[0:3], s33 offset:156 ; 4-byte Folded Reload
	ds_read_b32 v0, v0
	v_cmp_lt_i32_e32 vcc, 0, v42
	s_waitcnt lgkmcnt(0)
	v_readfirstlane_b32 s42, v0
	s_cmp_eq_u32 s42, 0
	s_cselect_b64 s[42:43], -1, 0
	s_and_b64 s[42:43], vcc, s[42:43]
	s_waitcnt vmcnt(0)
	v_and_b32_e32 v0, 16, v1
	v_and_b32_e32 v1, 16, v1
	v_cmp_ne_u32_e32 vcc, 0, v1
	s_and_b64 s[44:45], vcc, s[42:43]
	s_and_saveexec_b64 s[42:43], s[44:45]
	s_cbranch_execz .LBB12_3244
; %bb.3243:                             ;   in Loop: Header=BB12_3196 Depth=3
	v_mov_b32_e32 v0, 1
	buffer_wbinvl1_vol
.LBB12_3244:                            ;   in Loop: Header=BB12_3196 Depth=3
	s_or_b64 exec, exec, s[42:43]
	s_andn2_saveexec_b64 s[26:27], s[26:27]
	s_cbranch_execz .LBB12_3264
	s_branch .LBB12_3246
.LBB12_3245:                            ;   in Loop: Header=BB12_3196 Depth=3
	s_andn2_saveexec_b64 s[26:27], s[26:27]
	s_cbranch_execz .LBB12_3264
.LBB12_3246:                            ;   in Loop: Header=BB12_3196 Depth=3
	s_and_saveexec_b64 s[42:43], s[58:59]
	s_xor_b64 s[42:43], exec, s[42:43]
	s_cbranch_execz .LBB12_3261
; %bb.3247:                             ;   in Loop: Header=BB12_3196 Depth=3
	s_and_saveexec_b64 s[44:45], s[16:17]
	s_cbranch_execz .LBB12_3260
; %bb.3248:                             ;   in Loop: Header=BB12_3196 Depth=3
	s_mov_b64 s[88:89], exec
	v_mbcnt_lo_u32_b32 v0, s88, 0
	v_mbcnt_hi_u32_b32 v0, s89, v0
	v_cmp_eq_u32_e32 vcc, 0, v0
	;;#ASMSTART
	s_waitcnt lgkmcnt(0) vmcnt(0)
	;;#ASMEND
	s_and_saveexec_b64 s[78:79], vcc
	s_cbranch_execz .LBB12_3250
; %bb.3249:                             ;   in Loop: Header=BB12_3196 Depth=3
	buffer_load_dword v1, off, s[0:3], s33 offset:128 ; 4-byte Folded Reload
	buffer_load_dword v2, off, s[0:3], s33 offset:132 ; 4-byte Folded Reload
	s_bcnt1_i32_b64 s47, s[88:89]
	v_mov_b32_e32 v0, s47
	s_waitcnt vmcnt(0) lgkmcnt(0)
	ds_add_u64 v0, v[0:1]
	s_trap 2
.LBB12_3250:                            ;   in Loop: Header=BB12_3196 Depth=3
	s_or_b64 exec, exec, s[78:79]
	s_trap 2
	ds_read_b64 v[0:1], v0
	s_waitcnt lgkmcnt(0)
	buffer_load_dword v2, off, s[0:3], s33 offset:152 ; 4-byte Folded Reload
	buffer_load_dword v3, off, s[0:3], s33 offset:160 ; 4-byte Folded Reload
	;; [unrolled: 1-line block ×3, first 2 shown]
	s_waitcnt vmcnt(1)
	v_add_co_u32_e32 v3, vcc, v3, v2
	s_waitcnt vmcnt(0)
	v_addc_co_u32_e32 v4, vcc, 0, v4, vcc
	buffer_store_dword v3, off, s[0:3], s33 offset:160 ; 4-byte Folded Spill
	s_nop 0
	buffer_store_dword v4, off, s[0:3], s33 offset:164 ; 4-byte Folded Spill
	v_cmp_lt_u64_e32 vcc, v[0:1], v[3:4]
	s_and_saveexec_b64 s[78:79], vcc
	s_cbranch_execz .LBB12_3259
; %bb.3251:                             ;   in Loop: Header=BB12_3196 Depth=3
	s_mov_b32 s47, 0
	s_mov_b64 s[88:89], 0
                                        ; implicit-def: $sgpr90_sgpr91
                                        ; implicit-def: $sgpr92_sgpr93
	s_branch .LBB12_3253
.LBB12_3252:                            ;   in Loop: Header=BB12_3253 Depth=4
	s_or_b64 exec, exec, s[30:31]
	s_and_b64 s[94:95], exec, vcc
	s_or_b64 s[88:89], s[94:95], s[88:89]
	s_andn2_b64 s[90:91], s[90:91], exec
	s_and_b64 s[94:95], s[92:93], exec
	s_or_b64 s[90:91], s[90:91], s[94:95]
	s_andn2_b64 exec, exec, s[88:89]
	s_cbranch_execz .LBB12_3257
.LBB12_3253:                            ;   Parent Loop BB12_47 Depth=1
                                        ;     Parent Loop BB12_2951 Depth=2
                                        ;       Parent Loop BB12_3196 Depth=3
                                        ; =>      This Inner Loop Header: Depth=4
	s_add_i32 s47, s47, 1
	s_cmpk_lg_i32 s47, 0x2710
	s_cselect_b64 s[94:95], -1, 0
	s_and_b64 vcc, exec, s[94:95]
	s_cbranch_vccz .LBB12_3255
; %bb.3254:                             ;   in Loop: Header=BB12_3253 Depth=4
	s_mov_b64 vcc, -1
	s_or_b64 s[92:93], s[92:93], exec
	s_and_saveexec_b64 s[30:31], s[94:95]
	s_cbranch_execz .LBB12_3252
	s_branch .LBB12_3256
.LBB12_3255:                            ;   in Loop: Header=BB12_3253 Depth=4
	s_trap 2
	ds_read_b64 v[0:1], v0
	s_andn2_b64 s[94:95], s[94:95], exec
	s_mov_b32 s47, 0
	s_waitcnt vmcnt(0) lgkmcnt(0)
	flat_load_dword v0, v[0:1] glc
	s_waitcnt vmcnt(0) lgkmcnt(0)
	buffer_wbinvl1_vol
	v_cmp_eq_u32_e32 vcc, 0, v0
	s_and_b64 vcc, vcc, exec
	s_or_b64 s[94:95], s[94:95], vcc
	s_mov_b64 vcc, -1
	s_or_b64 s[92:93], s[92:93], exec
	s_and_saveexec_b64 s[30:31], s[94:95]
	s_cbranch_execz .LBB12_3252
.LBB12_3256:                            ;   in Loop: Header=BB12_3253 Depth=4
	s_sleep 1
	s_trap 2
	ds_read_b64 v[0:1], v0
	s_waitcnt lgkmcnt(0)
	buffer_load_dword v2, off, s[0:3], s33 offset:160 ; 4-byte Folded Reload
	buffer_load_dword v3, off, s[0:3], s33 offset:164 ; 4-byte Folded Reload
	s_andn2_b64 s[92:93], s[92:93], exec
	s_waitcnt vmcnt(0)
	v_cmp_ge_u64_e32 vcc, v[0:1], v[2:3]
	s_orn2_b64 vcc, vcc, exec
	s_branch .LBB12_3252
.LBB12_3257:                            ;   in Loop: Header=BB12_3196 Depth=3
	s_or_b64 exec, exec, s[88:89]
	s_and_saveexec_b64 s[88:89], s[90:91]
	s_xor_b64 s[88:89], exec, s[88:89]
	s_cbranch_execz .LBB12_3259
; %bb.3258:                             ;   in Loop: Header=BB12_3196 Depth=3
	v_mov_b32_e32 v0, 1
	ds_write_b32 v0, v0
	s_trap 2
.LBB12_3259:                            ;   in Loop: Header=BB12_3196 Depth=3
	s_or_b64 exec, exec, s[78:79]
	;;#ASMSTART
	s_wakeup
	;;#ASMEND
.LBB12_3260:                            ;   in Loop: Header=BB12_3196 Depth=3
	s_or_b64 exec, exec, s[44:45]
.LBB12_3261:                            ;   in Loop: Header=BB12_3196 Depth=3
	s_andn2_saveexec_b64 s[42:43], s[42:43]
	s_cbranch_execz .LBB12_3263
; %bb.3262:                             ;   in Loop: Header=BB12_3196 Depth=3
	;;#ASMSTART
	s_waitcnt lgkmcnt(0) vmcnt(0)
	;;#ASMEND
	s_waitcnt vmcnt(0) lgkmcnt(0)
	s_barrier
.LBB12_3263:                            ;   in Loop: Header=BB12_3196 Depth=3
	s_or_b64 exec, exec, s[42:43]
	buffer_load_dword v0, off, s[0:3], s33 offset:156 ; 4-byte Folded Reload
	s_waitcnt vmcnt(0)
	v_and_b32_e32 v0, 16, v0
.LBB12_3264:                            ;   in Loop: Header=BB12_3196 Depth=3
	s_or_b64 exec, exec, s[26:27]
	v_cmp_ne_u32_e32 vcc, 0, v0
	s_xor_b64 s[26:27], s[12:13], -1
	s_and_b64 s[42:43], vcc, s[26:27]
	s_and_saveexec_b64 s[26:27], s[42:43]
	s_cbranch_execz .LBB12_3266
; %bb.3265:                             ;   in Loop: Header=BB12_3196 Depth=3
	buffer_load_dword v0, off, s[0:3], s33 offset:428 ; 4-byte Folded Reload
	buffer_load_dword v1, off, s[0:3], s33 offset:432 ; 4-byte Folded Reload
	v_mov_b32_e32 v2, 1
	s_waitcnt vmcnt(0)
	flat_store_dword v[0:1], v2
.LBB12_3266:                            ;   in Loop: Header=BB12_3196 Depth=3
	s_or_b64 exec, exec, s[26:27]
	buffer_load_dword v0, off, s[0:3], s33 offset:156 ; 4-byte Folded Reload
	s_waitcnt vmcnt(0)
	v_and_b32_e32 v0, 48, v0
	v_cmp_ne_u32_e32 vcc, 0, v0
	s_and_saveexec_b64 s[26:27], vcc
	s_cbranch_execz .LBB12_3195
; %bb.3267:                             ;   in Loop: Header=BB12_3196 Depth=3
	buffer_load_dword v2, off, s[0:3], s33 offset:256 ; 4-byte Folded Reload
	buffer_load_dword v3, off, s[0:3], s33 offset:260 ; 4-byte Folded Reload
	buffer_load_dword v0, off, s[0:3], s33 offset:144 ; 4-byte Folded Reload
	buffer_load_dword v1, off, s[0:3], s33 offset:148 ; 4-byte Folded Reload
	s_waitcnt vmcnt(0)
	v_add_co_u32_e32 v2, vcc, 2, v2
	v_addc_co_u32_e32 v3, vcc, 0, v3, vcc
	buffer_store_dword v2, off, s[0:3], s33 offset:256 ; 4-byte Folded Spill
	s_nop 0
	buffer_store_dword v3, off, s[0:3], s33 offset:260 ; 4-byte Folded Spill
	flat_store_dwordx2 v[0:1], v[2:3]
	s_branch .LBB12_3195
.LBB12_3268:                            ;   in Loop: Header=BB12_2951 Depth=2
	s_or_b64 exec, exec, s[44:45]
	s_or_b64 exec, exec, s[42:43]
	v_cmp_gt_i32_e32 vcc, 2, v2
	s_and_saveexec_b64 s[28:29], vcc
	s_cbranch_execnz .LBB12_3194
.LBB12_3269:                            ;   in Loop: Header=BB12_2951 Depth=2
	s_or_b64 exec, exec, s[28:29]
	s_add_i32 s26, s9, 1
	s_cmp_eq_u32 s9, s96
	s_cbranch_scc0 .LBB12_3271
	s_branch .LBB12_3272
.LBB12_3270:                            ;   in Loop: Header=BB12_2951 Depth=2
	s_or_b64 exec, exec, s[40:41]
	s_or_b64 exec, exec, s[28:29]
	s_add_i32 s26, s9, 1
	s_cmp_eq_u32 s9, s96
	s_cbranch_scc1 .LBB12_3272
.LBB12_3271:                            ;   in Loop: Header=BB12_2951 Depth=2
	s_mov_b32 s9, s26
	s_branch .LBB12_2951
.LBB12_3272:                            ;   in Loop: Header=BB12_47 Depth=1
	buffer_load_dword v4, off, s[0:3], s33 offset:564 ; 4-byte Folded Reload
	buffer_load_dword v5, off, s[0:3], s33 offset:568 ; 4-byte Folded Reload
	v_mov_b32_e32 v53, 0
	s_waitcnt vmcnt(0)
	v_mul_lo_u32 v3, v4, s87
	v_mul_lo_u32 v2, v5, s86
	v_mad_u64_u32 v[0:1], s[26:27], v4, s86, 0
	v_add3_u32 v1, v1, v3, v2
	buffer_load_dword v2, off, s[0:3], s33 offset:556 ; 4-byte Folded Reload
	buffer_load_dword v3, off, s[0:3], s33 offset:560 ; 4-byte Folded Reload
	s_waitcnt vmcnt(0)
	v_sub_co_u32_e32 v2, vcc, v2, v0
	v_subb_co_u32_e32 v3, vcc, v3, v1, vcc
	v_cmp_lt_i64_e32 vcc, v[4:5], v[2:3]
	v_cndmask_b32_e32 v3, v2, v4, vcc
	v_max_i32_e32 v51, 0, v3
	v_add_u32_e32 v4, 31, v51
	v_lshrrev_b32_e32 v4, 1, v4
	v_and_b32_e32 v4, 0x3ffffff0, v4
	v_cmp_lt_i32_e32 vcc, 0, v3
	v_mov_b32_e32 v2, 0
	v_max_i32_e32 v52, s70, v4
	s_and_b64 s[26:27], s[74:75], vcc
	s_and_saveexec_b64 s[28:29], s[26:27]
	s_cbranch_execz .LBB12_3441
; %bb.3273:                             ;   in Loop: Header=BB12_47 Depth=1
	buffer_load_dword v2, off, s[0:3], s33 offset:472 ; 4-byte Folded Reload
	buffer_load_dword v3, off, s[0:3], s33 offset:476 ; 4-byte Folded Reload
	s_mov_b32 s9, 1
	s_mov_b64 s[42:43], -1
	v_mov_b32_e32 v53, 0
	s_mov_b64 s[40:41], 0
	s_waitcnt vmcnt(0)
	v_add_co_u32_e32 v0, vcc, v0, v2
	v_addc_co_u32_e32 v1, vcc, v1, v3, vcc
	v_lshlrev_b64 v[42:43], 1, v[0:1]
	buffer_store_dword v51, off, s[0:3], s33 offset:360 ; 4-byte Folded Spill
	buffer_store_dword v42, off, s[0:3], s33 offset:368 ; 4-byte Folded Spill
	s_nop 0
	buffer_store_dword v43, off, s[0:3], s33 offset:372 ; 4-byte Folded Spill
	s_branch .LBB12_3275
.LBB12_3274:                            ;   in Loop: Header=BB12_3275 Depth=2
	s_or_b64 exec, exec, s[26:27]
	v_add_u32_e32 v53, v52, v53
	v_cmp_ge_i32_e32 vcc, v53, v51
	s_xor_b64 s[26:27], s[42:43], -1
	s_or_b64 s[26:27], s[26:27], vcc
	s_and_b64 s[26:27], exec, s[26:27]
	s_or_b64 s[40:41], s[26:27], s[40:41]
	s_mov_b64 s[42:43], 0
	v_mov_b32_e32 v2, s9
	s_mov_b32 s9, 2
	s_andn2_b64 exec, exec, s[40:41]
	s_cbranch_execz .LBB12_3440
.LBB12_3275:                            ;   Parent Loop BB12_47 Depth=1
                                        ; =>  This Loop Header: Depth=2
                                        ;       Child Loop BB12_3283 Depth 3
                                        ;       Child Loop BB12_3307 Depth 3
	;; [unrolled: 1-line block ×9, first 2 shown]
	s_and_saveexec_b64 s[26:27], s[4:5]
	s_cbranch_execz .LBB12_3277
; %bb.3276:                             ;   in Loop: Header=BB12_3275 Depth=2
	s_trap 2
	ds_read_b128 v[0:3], v0
	v_ashrrev_i32_e32 v54, 31, v53
	s_waitcnt lgkmcnt(0)
	v_add_co_u32_e32 v4, vcc, v0, v42
	v_addc_co_u32_e32 v5, vcc, v1, v43, vcc
	v_lshlrev_b64 v[0:1], 1, v[53:54]
	v_add_co_u32_e32 v4, vcc, v4, v0
	v_addc_co_u32_e32 v5, vcc, v5, v1, vcc
	ds_write_b64 v0, v[4:5]
	v_add_co_u32_e32 v4, vcc, v2, v42
	v_addc_co_u32_e32 v5, vcc, v3, v43, vcc
	v_add_co_u32_e32 v0, vcc, v4, v0
	v_addc_co_u32_e32 v1, vcc, v5, v1, vcc
	v_cmp_ne_u64_e32 vcc, 0, v[2:3]
	v_cndmask_b32_e32 v1, 0, v1, vcc
	v_cndmask_b32_e32 v0, 0, v0, vcc
	ds_write_b64 v0, v[0:1]
.LBB12_3277:                            ;   in Loop: Header=BB12_3275 Depth=2
	s_or_b64 exec, exec, s[26:27]
	buffer_load_dword v0, off, s[0:3], s33 offset:156 ; 4-byte Folded Reload
	s_waitcnt vmcnt(0)
	v_and_b32_e32 v0, 4, v0
	v_cmp_ne_u32_e32 vcc, 0, v0
	s_and_saveexec_b64 s[44:45], vcc
	s_cbranch_execz .LBB12_3299
; %bb.3278:                             ;   in Loop: Header=BB12_3275 Depth=2
	buffer_load_dword v1, off, s[0:3], s33 offset:256 ; 4-byte Folded Reload
	buffer_load_dword v2, off, s[0:3], s33 offset:260 ; 4-byte Folded Reload
	;; [unrolled: 1-line block ×4, first 2 shown]
	s_waitcnt vmcnt(0)
	v_add_co_u32_e32 v1, vcc, 2, v1
	v_addc_co_u32_e32 v2, vcc, 0, v2, vcc
	v_cmp_lt_u64_e32 vcc, v[3:4], v[1:2]
	s_and_saveexec_b64 s[78:79], vcc
	s_cbranch_execz .LBB12_3290
; %bb.3279:                             ;   in Loop: Header=BB12_3275 Depth=2
	buffer_load_dword v0, off, s[0:3], s33 offset:156 ; 4-byte Folded Reload
	s_mov_b32 s47, 0
	s_mov_b64 s[88:89], 0
                                        ; implicit-def: $sgpr90_sgpr91
                                        ; implicit-def: $sgpr92_sgpr93
                                        ; implicit-def: $sgpr94_sgpr95
	s_waitcnt vmcnt(0)
	v_and_b32_e32 v0, 64, v0
	v_cmp_eq_u32_e32 vcc, 0, v0
	s_branch .LBB12_3283
.LBB12_3280:                            ;   in Loop: Header=BB12_3283 Depth=3
	buffer_load_dword v3, off, s[0:3], s33 offset:136 ; 4-byte Folded Reload
	buffer_load_dword v4, off, s[0:3], s33 offset:140 ; 4-byte Folded Reload
	s_or_b64 s[36:37], s[36:37], exec
	s_waitcnt vmcnt(0)
	v_cmp_ge_u64_e64 s[26:27], v[3:4], v[1:2]
	s_orn2_b64 s[34:35], s[26:27], exec
.LBB12_3281:                            ;   in Loop: Header=BB12_3283 Depth=3
	s_or_b64 exec, exec, s[48:49]
	s_andn2_b64 s[26:27], s[94:95], exec
	s_and_b64 s[94:95], s[36:37], exec
	s_or_b64 s[94:95], s[26:27], s[94:95]
	s_andn2_b64 s[26:27], s[92:93], exec
	s_and_b64 s[92:93], s[34:35], exec
	s_or_b64 s[92:93], s[26:27], s[92:93]
.LBB12_3282:                            ;   in Loop: Header=BB12_3283 Depth=3
	s_or_b64 exec, exec, s[30:31]
	s_and_b64 s[26:27], exec, s[92:93]
	s_or_b64 s[88:89], s[26:27], s[88:89]
	s_andn2_b64 s[26:27], s[90:91], exec
	s_and_b64 s[90:91], s[94:95], exec
	s_or_b64 s[90:91], s[26:27], s[90:91]
	s_andn2_b64 exec, exec, s[88:89]
	s_cbranch_execz .LBB12_3287
.LBB12_3283:                            ;   Parent Loop BB12_47 Depth=1
                                        ;     Parent Loop BB12_3275 Depth=2
                                        ; =>    This Inner Loop Header: Depth=3
	s_sleep 1
	buffer_load_dword v3, off, s[0:3], s33 offset:144 ; 4-byte Folded Reload
	buffer_load_dword v4, off, s[0:3], s33 offset:148 ; 4-byte Folded Reload
	s_or_b64 s[94:95], s[94:95], exec
	s_or_b64 s[92:93], s[92:93], exec
                                        ; implicit-def: $vgpr0
	s_waitcnt vmcnt(0)
	flat_load_dwordx2 v[3:4], v[3:4] glc
	s_waitcnt vmcnt(0) lgkmcnt(0)
	buffer_store_dword v3, off, s[0:3], s33 offset:136 ; 4-byte Folded Spill
	s_nop 0
	buffer_store_dword v4, off, s[0:3], s33 offset:140 ; 4-byte Folded Spill
	s_and_saveexec_b64 s[30:31], vcc
	s_cbranch_execz .LBB12_3282
; %bb.3284:                             ;   in Loop: Header=BB12_3283 Depth=3
	s_cmpk_lt_i32 s47, 0x270f
	s_cselect_b64 s[38:39], -1, 0
	s_cmpk_gt_i32 s47, 0x270e
	s_mov_b64 s[34:35], -1
	s_cbranch_scc0 .LBB12_3286
; %bb.3285:                             ;   in Loop: Header=BB12_3283 Depth=3
	s_trap 2
	ds_read_b64 v[3:4], v0
	s_andn2_b64 s[38:39], s[38:39], exec
	s_mov_b32 s47, 0
	s_mov_b64 s[36:37], 0
	s_waitcnt vmcnt(0) lgkmcnt(0)
	flat_load_dword v0, v[3:4] glc
	s_waitcnt vmcnt(0) lgkmcnt(0)
	buffer_wbinvl1_vol
	v_cmp_eq_u32_e64 s[26:27], 0, v0
	s_and_b64 s[26:27], s[26:27], exec
	s_or_b64 s[38:39], s[38:39], s[26:27]
	s_and_saveexec_b64 s[48:49], s[38:39]
	s_cbranch_execz .LBB12_3281
	s_branch .LBB12_3280
.LBB12_3286:                            ;   in Loop: Header=BB12_3283 Depth=3
	s_add_i32 s47, s47, 1
	s_mov_b64 s[36:37], -1
                                        ; implicit-def: $vgpr0
	s_and_saveexec_b64 s[48:49], s[38:39]
	s_cbranch_execz .LBB12_3281
	s_branch .LBB12_3280
.LBB12_3287:                            ;   in Loop: Header=BB12_3275 Depth=2
	s_or_b64 exec, exec, s[88:89]
	s_xor_b64 s[26:27], s[90:91], -1
	s_and_saveexec_b64 s[88:89], s[26:27]
	s_xor_b64 s[26:27], exec, s[88:89]
	s_cbranch_execz .LBB12_3289
; %bb.3288:                             ;   in Loop: Header=BB12_3275 Depth=2
	ds_write_b32 v0, v0
	s_trap 2
	buffer_load_dword v0, off, s[0:3], s33 offset:156 ; 4-byte Folded Reload
	s_waitcnt vmcnt(0)
	v_or_b32_e32 v0, 64, v0
	buffer_store_dword v0, off, s[0:3], s33 offset:156 ; 4-byte Folded Spill
.LBB12_3289:                            ;   in Loop: Header=BB12_3275 Depth=2
	s_or_b64 exec, exec, s[26:27]
.LBB12_3290:                            ;   in Loop: Header=BB12_3275 Depth=2
	s_or_b64 exec, exec, s[78:79]
	;;#ASMSTART
	s_wakeup
	;;#ASMEND
	buffer_load_dword v0, off, s[0:3], s33 offset:156 ; 4-byte Folded Reload
	buffer_load_dword v3, off, s[0:3], s33 offset:256 ; 4-byte Folded Reload
	;; [unrolled: 1-line block ×3, first 2 shown]
	s_mov_b64 s[26:27], -1
	s_waitcnt vmcnt(0)
	v_and_b32_e32 v0, 0x100, v0
	v_cmp_ne_u32_e32 vcc, 0, v0
	v_and_b32_e32 v0, 7, v3
                                        ; implicit-def: $vgpr3_vgpr4
	s_and_saveexec_b64 s[78:79], vcc
	s_cbranch_execz .LBB12_3294
; %bb.3291:                             ;   in Loop: Header=BB12_3275 Depth=2
	buffer_load_dword v3, off, s[0:3], s33 offset:412 ; 4-byte Folded Reload
	buffer_load_dword v4, off, s[0:3], s33 offset:416 ; 4-byte Folded Reload
	;; [unrolled: 1-line block ×4, first 2 shown]
	s_waitcnt vmcnt(0)
	v_mad_u64_u32 v[5:6], s[26:27], v0, 24, v[3:4]
	flat_load_dword v3, v[5:6]
	s_waitcnt vmcnt(0) lgkmcnt(0)
	v_cmp_ne_u32_e32 vcc, 1, v3
	v_cmp_eq_u32_e64 s[26:27], 1, v3
                                        ; implicit-def: $vgpr3_vgpr4
	s_and_saveexec_b64 s[88:89], s[26:27]
	s_cbranch_execz .LBB12_3293
; %bb.3292:                             ;   in Loop: Header=BB12_3275 Depth=2
	flat_load_dword v3, v[5:6] offset:4 glc
	s_waitcnt vmcnt(0) lgkmcnt(0)
	v_ashrrev_i32_e32 v4, 31, v3
	v_lshrrev_b64 v[3:4], 1, v[3:4]
.LBB12_3293:                            ;   in Loop: Header=BB12_3275 Depth=2
	s_or_b64 exec, exec, s[88:89]
	s_orn2_b64 s[26:27], vcc, exec
.LBB12_3294:                            ;   in Loop: Header=BB12_3275 Depth=2
	s_or_b64 exec, exec, s[78:79]
	s_and_saveexec_b64 s[78:79], s[26:27]
	s_cbranch_execz .LBB12_3296
; %bb.3295:                             ;   in Loop: Header=BB12_3275 Depth=2
	buffer_load_dword v3, off, s[0:3], s33 offset:436 ; 4-byte Folded Reload
	s_waitcnt vmcnt(0)
	v_mad_i64_i32 v[3:4], s[26:27], v0, v3, 0
.LBB12_3296:                            ;   in Loop: Header=BB12_3275 Depth=2
	s_or_b64 exec, exec, s[78:79]
	buffer_load_dword v5, off, s[0:3], s33 offset:404 ; 4-byte Folded Reload
	buffer_load_dword v6, off, s[0:3], s33 offset:408 ; 4-byte Folded Reload
	v_lshlrev_b64 v[3:4], 1, v[3:4]
	s_waitcnt vmcnt(0)
	v_add_co_u32_e32 v3, vcc, v5, v3
	v_addc_co_u32_e32 v4, vcc, v6, v4, vcc
	ds_write_b64 v0, v[3:4] offset:720
	buffer_load_dword v0, off, s[0:3], s33 offset:156 ; 4-byte Folded Reload
	s_waitcnt vmcnt(0)
	v_and_b32_e32 v0, 0x2000, v0
	v_cmp_ne_u32_e32 vcc, 0, v0
	s_and_saveexec_b64 s[26:27], vcc
	s_cbranch_execz .LBB12_3298
; %bb.3297:                             ;   in Loop: Header=BB12_3275 Depth=2
	ds_read_b64 v[3:4], v0 offset:872
	s_waitcnt lgkmcnt(0)
	v_add_co_u32_e32 v3, vcc, 1, v3
	v_addc_co_u32_e32 v4, vcc, 0, v4, vcc
	ds_write_b64 v0, v[3:4] offset:872
.LBB12_3298:                            ;   in Loop: Header=BB12_3275 Depth=2
	s_or_b64 exec, exec, s[26:27]
	buffer_store_dword v1, off, s[0:3], s33 offset:256 ; 4-byte Folded Spill
	s_nop 0
	buffer_store_dword v2, off, s[0:3], s33 offset:260 ; 4-byte Folded Spill
.LBB12_3299:                            ;   in Loop: Header=BB12_3275 Depth=2
	s_or_b64 exec, exec, s[44:45]
	s_and_saveexec_b64 s[26:27], s[10:11]
	s_cbranch_execz .LBB12_3318
; %bb.3300:                             ;   in Loop: Header=BB12_3275 Depth=2
	s_and_saveexec_b64 s[44:45], s[58:59]
	s_xor_b64 s[44:45], exec, s[44:45]
	s_cbranch_execz .LBB12_3315
; %bb.3301:                             ;   in Loop: Header=BB12_3275 Depth=2
	s_and_saveexec_b64 s[78:79], s[16:17]
	s_cbranch_execz .LBB12_3314
; %bb.3302:                             ;   in Loop: Header=BB12_3275 Depth=2
	s_mov_b64 s[90:91], exec
	v_mbcnt_lo_u32_b32 v0, s90, 0
	v_mbcnt_hi_u32_b32 v0, s91, v0
	v_cmp_eq_u32_e32 vcc, 0, v0
	s_waitcnt vmcnt(0) lgkmcnt(0)
	buffer_wbinvl1_vol
	s_and_saveexec_b64 s[88:89], vcc
	s_cbranch_execz .LBB12_3304
; %bb.3303:                             ;   in Loop: Header=BB12_3275 Depth=2
	buffer_load_dword v1, off, s[0:3], s33 offset:128 ; 4-byte Folded Reload
	buffer_load_dword v2, off, s[0:3], s33 offset:132 ; 4-byte Folded Reload
	s_bcnt1_i32_b64 s47, s[90:91]
	v_mov_b32_e32 v0, s47
	s_waitcnt vmcnt(1)
	ds_add_u64 v0, v[0:1]
	s_trap 2
.LBB12_3304:                            ;   in Loop: Header=BB12_3275 Depth=2
	s_or_b64 exec, exec, s[88:89]
	s_trap 2
	ds_read_b64 v[0:1], v0
	s_waitcnt lgkmcnt(0)
	buffer_load_dword v2, off, s[0:3], s33 offset:152 ; 4-byte Folded Reload
	buffer_load_dword v3, off, s[0:3], s33 offset:160 ; 4-byte Folded Reload
	buffer_load_dword v4, off, s[0:3], s33 offset:164 ; 4-byte Folded Reload
	s_waitcnt vmcnt(1)
	v_add_co_u32_e32 v3, vcc, v3, v2
	s_waitcnt vmcnt(0)
	v_addc_co_u32_e32 v4, vcc, 0, v4, vcc
	buffer_store_dword v3, off, s[0:3], s33 offset:160 ; 4-byte Folded Spill
	s_nop 0
	buffer_store_dword v4, off, s[0:3], s33 offset:164 ; 4-byte Folded Spill
	v_cmp_lt_u64_e32 vcc, v[0:1], v[3:4]
	s_and_saveexec_b64 s[88:89], vcc
	s_cbranch_execz .LBB12_3313
; %bb.3305:                             ;   in Loop: Header=BB12_3275 Depth=2
	s_mov_b32 s47, 0
	s_mov_b64 s[90:91], 0
                                        ; implicit-def: $sgpr92_sgpr93
                                        ; implicit-def: $sgpr94_sgpr95
	s_branch .LBB12_3307
.LBB12_3306:                            ;   in Loop: Header=BB12_3307 Depth=3
	s_or_b64 exec, exec, s[34:35]
	s_and_b64 vcc, exec, vcc
	s_or_b64 s[90:91], vcc, s[90:91]
	s_andn2_b64 s[92:93], s[92:93], exec
	s_and_b64 vcc, s[94:95], exec
	s_or_b64 s[92:93], s[92:93], vcc
	s_andn2_b64 exec, exec, s[90:91]
	s_cbranch_execz .LBB12_3311
.LBB12_3307:                            ;   Parent Loop BB12_47 Depth=1
                                        ;     Parent Loop BB12_3275 Depth=2
                                        ; =>    This Inner Loop Header: Depth=3
	s_add_i32 s47, s47, 1
	s_cmpk_lg_i32 s47, 0x2710
	s_cselect_b64 s[30:31], -1, 0
	s_and_b64 vcc, exec, s[30:31]
	s_cbranch_vccz .LBB12_3309
; %bb.3308:                             ;   in Loop: Header=BB12_3307 Depth=3
	s_mov_b64 vcc, -1
	s_or_b64 s[94:95], s[94:95], exec
	s_and_saveexec_b64 s[34:35], s[30:31]
	s_cbranch_execz .LBB12_3306
	s_branch .LBB12_3310
.LBB12_3309:                            ;   in Loop: Header=BB12_3307 Depth=3
	s_trap 2
	ds_read_b64 v[0:1], v0
	s_andn2_b64 s[30:31], s[30:31], exec
	s_mov_b32 s47, 0
	s_waitcnt vmcnt(0) lgkmcnt(0)
	flat_load_dword v0, v[0:1] glc
	s_waitcnt vmcnt(0) lgkmcnt(0)
	buffer_wbinvl1_vol
	v_cmp_eq_u32_e32 vcc, 0, v0
	s_and_b64 vcc, vcc, exec
	s_or_b64 s[30:31], s[30:31], vcc
	s_mov_b64 vcc, -1
	s_or_b64 s[94:95], s[94:95], exec
	s_and_saveexec_b64 s[34:35], s[30:31]
	s_cbranch_execz .LBB12_3306
.LBB12_3310:                            ;   in Loop: Header=BB12_3307 Depth=3
	s_sleep 1
	s_trap 2
	ds_read_b64 v[0:1], v0
	s_waitcnt lgkmcnt(0)
	buffer_load_dword v2, off, s[0:3], s33 offset:160 ; 4-byte Folded Reload
	buffer_load_dword v3, off, s[0:3], s33 offset:164 ; 4-byte Folded Reload
	s_andn2_b64 s[94:95], s[94:95], exec
	s_waitcnt vmcnt(0)
	v_cmp_ge_u64_e32 vcc, v[0:1], v[2:3]
	s_orn2_b64 vcc, vcc, exec
	s_branch .LBB12_3306
.LBB12_3311:                            ;   in Loop: Header=BB12_3275 Depth=2
	s_or_b64 exec, exec, s[90:91]
	s_and_saveexec_b64 s[90:91], s[92:93]
	s_xor_b64 s[90:91], exec, s[90:91]
	s_cbranch_execz .LBB12_3313
; %bb.3312:                             ;   in Loop: Header=BB12_3275 Depth=2
	v_mov_b32_e32 v0, 1
	ds_write_b32 v0, v0
	s_trap 2
.LBB12_3313:                            ;   in Loop: Header=BB12_3275 Depth=2
	s_or_b64 exec, exec, s[88:89]
	;;#ASMSTART
	s_wakeup
	;;#ASMEND
.LBB12_3314:                            ;   in Loop: Header=BB12_3275 Depth=2
	s_or_b64 exec, exec, s[78:79]
.LBB12_3315:                            ;   in Loop: Header=BB12_3275 Depth=2
	s_andn2_saveexec_b64 s[44:45], s[44:45]
	s_cbranch_execz .LBB12_3317
; %bb.3316:                             ;   in Loop: Header=BB12_3275 Depth=2
	s_waitcnt vmcnt(0) lgkmcnt(0)
	buffer_wbinvl1_vol
	s_barrier
.LBB12_3317:                            ;   in Loop: Header=BB12_3275 Depth=2
	s_or_b64 exec, exec, s[44:45]
.LBB12_3318:                            ;   in Loop: Header=BB12_3275 Depth=2
	s_or_b64 exec, exec, s[26:27]
	s_trap 2
	buffer_load_dword v1, off, s[0:3], s33 offset:156 ; 4-byte Folded Reload
	ds_read_b32 v0, v0
	s_xor_b64 s[26:27], s[6:7], -1
	s_waitcnt vmcnt(0)
	v_and_b32_e32 v1, 0x4000, v1
	v_cmp_ne_u32_e32 vcc, 0, v1
	s_and_b64 s[44:45], s[26:27], vcc
	s_and_saveexec_b64 s[26:27], s[44:45]
	s_cbranch_execz .LBB12_3337
; %bb.3319:                             ;   in Loop: Header=BB12_3275 Depth=2
	s_and_saveexec_b64 s[44:45], s[58:59]
	s_xor_b64 s[44:45], exec, s[44:45]
	s_cbranch_execz .LBB12_3334
; %bb.3320:                             ;   in Loop: Header=BB12_3275 Depth=2
	s_and_saveexec_b64 s[78:79], s[16:17]
	s_cbranch_execz .LBB12_3333
; %bb.3321:                             ;   in Loop: Header=BB12_3275 Depth=2
	s_mov_b64 s[90:91], exec
	v_mbcnt_lo_u32_b32 v1, s90, 0
	v_mbcnt_hi_u32_b32 v1, s91, v1
	v_cmp_eq_u32_e32 vcc, 0, v1
	s_waitcnt lgkmcnt(0)
	buffer_wbinvl1_vol
	s_and_saveexec_b64 s[88:89], vcc
	s_cbranch_execz .LBB12_3323
; %bb.3322:                             ;   in Loop: Header=BB12_3275 Depth=2
	buffer_load_dword v2, off, s[0:3], s33 offset:128 ; 4-byte Folded Reload
	buffer_load_dword v3, off, s[0:3], s33 offset:132 ; 4-byte Folded Reload
	s_bcnt1_i32_b64 s47, s[90:91]
	v_mov_b32_e32 v1, s47
	s_waitcnt vmcnt(1)
	ds_add_u64 v0, v[1:2]
	s_trap 2
.LBB12_3323:                            ;   in Loop: Header=BB12_3275 Depth=2
	s_or_b64 exec, exec, s[88:89]
	s_trap 2
	ds_read_b64 v[1:2], v0
	s_waitcnt lgkmcnt(0)
	buffer_load_dword v3, off, s[0:3], s33 offset:152 ; 4-byte Folded Reload
	buffer_load_dword v4, off, s[0:3], s33 offset:160 ; 4-byte Folded Reload
	;; [unrolled: 1-line block ×3, first 2 shown]
	s_waitcnt vmcnt(1)
	v_add_co_u32_e32 v4, vcc, v4, v3
	s_waitcnt vmcnt(0)
	v_addc_co_u32_e32 v5, vcc, 0, v5, vcc
	buffer_store_dword v4, off, s[0:3], s33 offset:160 ; 4-byte Folded Spill
	s_nop 0
	buffer_store_dword v5, off, s[0:3], s33 offset:164 ; 4-byte Folded Spill
	v_cmp_lt_u64_e32 vcc, v[1:2], v[4:5]
	s_and_saveexec_b64 s[88:89], vcc
	s_cbranch_execz .LBB12_3332
; %bb.3324:                             ;   in Loop: Header=BB12_3275 Depth=2
	s_mov_b32 s47, 0
	s_mov_b64 s[90:91], 0
                                        ; implicit-def: $sgpr92_sgpr93
                                        ; implicit-def: $sgpr94_sgpr95
	s_branch .LBB12_3326
.LBB12_3325:                            ;   in Loop: Header=BB12_3326 Depth=3
	s_or_b64 exec, exec, s[34:35]
	s_and_b64 vcc, exec, vcc
	s_or_b64 s[90:91], vcc, s[90:91]
	s_andn2_b64 s[92:93], s[92:93], exec
	s_and_b64 vcc, s[94:95], exec
	s_or_b64 s[92:93], s[92:93], vcc
	s_andn2_b64 exec, exec, s[90:91]
	s_cbranch_execz .LBB12_3330
.LBB12_3326:                            ;   Parent Loop BB12_47 Depth=1
                                        ;     Parent Loop BB12_3275 Depth=2
                                        ; =>    This Inner Loop Header: Depth=3
	s_add_i32 s47, s47, 1
	s_cmpk_lg_i32 s47, 0x2710
	s_cselect_b64 s[30:31], -1, 0
	s_and_b64 vcc, exec, s[30:31]
	s_cbranch_vccz .LBB12_3328
; %bb.3327:                             ;   in Loop: Header=BB12_3326 Depth=3
	s_mov_b64 vcc, -1
	s_or_b64 s[94:95], s[94:95], exec
	s_and_saveexec_b64 s[34:35], s[30:31]
	s_cbranch_execz .LBB12_3325
	s_branch .LBB12_3329
.LBB12_3328:                            ;   in Loop: Header=BB12_3326 Depth=3
	s_trap 2
	ds_read_b64 v[1:2], v0
	s_andn2_b64 s[30:31], s[30:31], exec
	s_mov_b32 s47, 0
	s_waitcnt vmcnt(0) lgkmcnt(0)
	flat_load_dword v1, v[1:2] glc
	s_waitcnt vmcnt(0) lgkmcnt(0)
	buffer_wbinvl1_vol
	v_cmp_eq_u32_e32 vcc, 0, v1
	s_and_b64 vcc, vcc, exec
	s_or_b64 s[30:31], s[30:31], vcc
	s_mov_b64 vcc, -1
	s_or_b64 s[94:95], s[94:95], exec
	s_and_saveexec_b64 s[34:35], s[30:31]
	s_cbranch_execz .LBB12_3325
.LBB12_3329:                            ;   in Loop: Header=BB12_3326 Depth=3
	s_sleep 1
	s_trap 2
	ds_read_b64 v[1:2], v0
	s_waitcnt lgkmcnt(0)
	buffer_load_dword v3, off, s[0:3], s33 offset:160 ; 4-byte Folded Reload
	buffer_load_dword v4, off, s[0:3], s33 offset:164 ; 4-byte Folded Reload
	s_andn2_b64 s[94:95], s[94:95], exec
	s_waitcnt vmcnt(0)
	v_cmp_ge_u64_e32 vcc, v[1:2], v[3:4]
	s_orn2_b64 vcc, vcc, exec
	s_branch .LBB12_3325
.LBB12_3330:                            ;   in Loop: Header=BB12_3275 Depth=2
	s_or_b64 exec, exec, s[90:91]
	s_and_saveexec_b64 s[90:91], s[92:93]
	s_xor_b64 s[90:91], exec, s[90:91]
	s_cbranch_execz .LBB12_3332
; %bb.3331:                             ;   in Loop: Header=BB12_3275 Depth=2
	v_mov_b32_e32 v1, 1
	ds_write_b32 v0, v1
	s_trap 2
.LBB12_3332:                            ;   in Loop: Header=BB12_3275 Depth=2
	s_or_b64 exec, exec, s[88:89]
	;;#ASMSTART
	s_wakeup
	;;#ASMEND
.LBB12_3333:                            ;   in Loop: Header=BB12_3275 Depth=2
	s_or_b64 exec, exec, s[78:79]
.LBB12_3334:                            ;   in Loop: Header=BB12_3275 Depth=2
	s_andn2_saveexec_b64 s[44:45], s[44:45]
	s_cbranch_execz .LBB12_3336
; %bb.3335:                             ;   in Loop: Header=BB12_3275 Depth=2
	s_waitcnt vmcnt(0) lgkmcnt(0)
	buffer_wbinvl1_vol
	s_barrier
.LBB12_3336:                            ;   in Loop: Header=BB12_3275 Depth=2
	s_or_b64 exec, exec, s[44:45]
.LBB12_3337:                            ;   in Loop: Header=BB12_3275 Depth=2
	s_or_b64 exec, exec, s[26:27]
	s_trap 2
	s_waitcnt lgkmcnt(0)
	ds_read_b64 v[55:56], v0
	v_sub_u32_e32 v1, v51, v53
	v_min_i32_e32 v52, v52, v1
	s_waitcnt lgkmcnt(0)
	v_cmp_eq_u64_e32 vcc, 0, v[55:56]
	s_cbranch_vccnz .LBB12_3345
; %bb.3338:                             ;   in Loop: Header=BB12_3275 Depth=2
	s_trap 2
	ds_read_b64 v[57:58], v0
	s_waitcnt lgkmcnt(0)
	v_cmp_eq_u64_e32 vcc, 0, v[57:58]
	s_cbranch_vccnz .LBB12_3345
; %bb.3339:                             ;   in Loop: Header=BB12_3275 Depth=2
	s_mov_b64 s[44:45], -1
	s_and_saveexec_b64 s[26:27], s[20:21]
	s_cbranch_execz .LBB12_3341
; %bb.3340:                             ;   in Loop: Header=BB12_3275 Depth=2
	ds_read_b32 v1, v0 offset:720
	s_waitcnt lgkmcnt(0)
	v_and_b32_e32 v1, 15, v1
	v_cmp_eq_u32_e32 vcc, 0, v1
	s_orn2_b64 s[44:45], vcc, exec
.LBB12_3341:                            ;   in Loop: Header=BB12_3275 Depth=2
	s_or_b64 exec, exec, s[26:27]
	s_and_saveexec_b64 s[26:27], s[18:19]
	s_cbranch_execz .LBB12_3343
; %bb.3342:                             ;   in Loop: Header=BB12_3275 Depth=2
	ds_read_b32 v1, v0 offset:784
	s_waitcnt lgkmcnt(0)
	v_and_b32_e32 v1, 15, v1
	v_cmp_eq_u32_e32 vcc, 0, v1
	s_and_b64 s[78:79], s[44:45], vcc
	s_andn2_b64 s[44:45], s[44:45], exec
	s_and_b64 s[78:79], s[78:79], exec
	s_or_b64 s[44:45], s[44:45], s[78:79]
.LBB12_3343:                            ;   in Loop: Header=BB12_3275 Depth=2
	s_or_b64 exec, exec, s[26:27]
	s_xor_b64 s[44:45], s[44:45], -1
	v_cmp_eq_u32_e64 s[26:27], 0, v0
	v_cndmask_b32_e64 v0, 0, 1, s[44:45]
	s_mov_b64 s[78:79], -1
	v_cmp_ne_u32_e32 vcc, 0, v0
	s_cbranch_vccz .LBB12_3350
; %bb.3344:                             ;   in Loop: Header=BB12_3275 Depth=2
	s_mov_b64 s[78:79], 0
	s_mov_b64 s[44:45], -1
	s_branch .LBB12_3351
.LBB12_3345:                            ;   in Loop: Header=BB12_3275 Depth=2
	s_mov_b64 s[26:27], 0
	s_and_saveexec_b64 s[44:45], s[10:11]
	s_cbranch_execnz .LBB12_3401
.LBB12_3346:                            ;   in Loop: Header=BB12_3275 Depth=2
	s_or_b64 exec, exec, s[44:45]
	s_and_saveexec_b64 s[44:45], s[24:25]
	s_xor_b64 s[44:45], exec, s[44:45]
	s_cbranch_execz .LBB12_3419
.LBB12_3347:                            ;   in Loop: Header=BB12_3275 Depth=2
	buffer_load_dword v0, off, s[0:3], s33 offset:156 ; 4-byte Folded Reload
	s_waitcnt vmcnt(0)
	v_and_b32_e32 v0, 16, v0
	v_cmp_ne_u32_e32 vcc, 0, v0
	s_and_b64 s[78:79], vcc, s[26:27]
	s_and_saveexec_b64 s[26:27], s[78:79]
	s_cbranch_execz .LBB12_3349
; %bb.3348:                             ;   in Loop: Header=BB12_3275 Depth=2
	s_waitcnt lgkmcnt(0)
	buffer_wbinvl1_vol
.LBB12_3349:                            ;   in Loop: Header=BB12_3275 Depth=2
	s_or_b64 exec, exec, s[26:27]
	s_andn2_saveexec_b64 s[26:27], s[44:45]
	s_cbranch_execz .LBB12_3438
	s_branch .LBB12_3420
.LBB12_3350:                            ;   in Loop: Header=BB12_3275 Depth=2
	s_mov_b64 s[44:45], 0
.LBB12_3351:                            ;   in Loop: Header=BB12_3275 Depth=2
	v_cndmask_b32_e64 v54, 0, v52, s[26:27]
	v_lshlrev_b32_e32 v40, 1, v54
	s_andn2_b64 vcc, exec, s[78:79]
	v_mov_b32_e32 v0, 0
	s_cbranch_vccnz .LBB12_3359
; %bb.3352:                             ;   in Loop: Header=BB12_3275 Depth=2
	v_ashrrev_i32_e32 v0, 31, v40
	v_lshrrev_b32_e32 v0, 19, v0
	v_add_u32_e32 v0, v40, v0
	v_ashrrev_i32_e32 v4, 13, v0
	buffer_load_dword v0, off, s[0:3], s33 offset:488 ; 4-byte Folded Reload
	s_mov_b64 s[78:79], 0
                                        ; implicit-def: $vgpr2_vgpr3
                                        ; implicit-def: $vgpr14_vgpr15
                                        ; implicit-def: $vgpr18_vgpr19
                                        ; implicit-def: $vgpr22_vgpr23
                                        ; implicit-def: $vgpr26_vgpr27
                                        ; implicit-def: $vgpr30_vgpr31
	s_waitcnt vmcnt(0)
	v_sub_u32_e32 v1, v4, v0
	buffer_load_dword v0, off, s[0:3], s33 offset:552 ; 4-byte Folded Reload
	s_nop 0
	buffer_store_dword v2, off, s[0:3], s33 offset:168 ; 4-byte Folded Spill
	s_nop 0
	buffer_store_dword v3, off, s[0:3], s33 offset:172 ; 4-byte Folded Spill
	buffer_store_dword v4, off, s[0:3], s33 offset:176 ; 4-byte Folded Spill
	;; [unrolled: 1-line block ×3, first 2 shown]
                                        ; implicit-def: $vgpr2_vgpr3
	buffer_store_dword v2, off, s[0:3], s33 offset:184 ; 4-byte Folded Spill
	s_nop 0
	buffer_store_dword v3, off, s[0:3], s33 offset:188 ; 4-byte Folded Spill
	buffer_store_dword v4, off, s[0:3], s33 offset:192 ; 4-byte Folded Spill
	;; [unrolled: 1-line block ×3, first 2 shown]
                                        ; implicit-def: $vgpr2_vgpr3
	buffer_store_dword v2, off, s[0:3], s33 offset:200 ; 4-byte Folded Spill
	s_nop 0
	buffer_store_dword v3, off, s[0:3], s33 offset:204 ; 4-byte Folded Spill
	buffer_store_dword v4, off, s[0:3], s33 offset:208 ; 4-byte Folded Spill
	;; [unrolled: 1-line block ×3, first 2 shown]
	s_waitcnt vmcnt(12)
	v_add_co_u32_e32 v46, vcc, v57, v0
	v_addc_co_u32_e32 v47, vcc, 0, v58, vcc
	v_cmp_lt_i32_e32 vcc, 0, v1
	s_and_saveexec_b64 s[26:27], vcc
	s_cbranch_execz .LBB12_3361
; %bb.3353:                             ;   in Loop: Header=BB12_3275 Depth=2
	buffer_store_dword v4, off, s[0:3], s33 offset:352 ; 4-byte Folded Spill
	buffer_store_dword v40, off, s[0:3], s33 offset:308 ; 4-byte Folded Spill
	;; [unrolled: 1-line block ×3, first 2 shown]
	s_nop 0
	buffer_store_dword v58, off, s[0:3], s33 offset:304 ; 4-byte Folded Spill
	buffer_store_dword v54, off, s[0:3], s33 offset:284 ; 4-byte Folded Spill
	buffer_store_dword v53, off, s[0:3], s33 offset:240 ; 4-byte Folded Spill
	s_nop 0
	buffer_store_dword v54, off, s[0:3], s33 offset:244 ; 4-byte Folded Spill
	buffer_store_dword v52, off, s[0:3], s33 offset:216 ; 4-byte Folded Spill
	buffer_load_dword v0, off, s[0:3], s33 offset:552 ; 4-byte Folded Reload
	s_mov_b64 s[90:91], 0
                                        ; implicit-def: $vgpr2_vgpr3
                                        ; implicit-def: $sgpr88_sgpr89
                                        ; implicit-def: $vgpr14_vgpr15
                                        ; implicit-def: $vgpr18_vgpr19
                                        ; implicit-def: $vgpr22_vgpr23
                                        ; implicit-def: $vgpr26_vgpr27
                                        ; implicit-def: $vgpr30_vgpr31
	s_waitcnt vmcnt(0)
	v_add_co_u32_e32 v60, vcc, v55, v0
	buffer_store_dword v55, off, s[0:3], s33 offset:292 ; 4-byte Folded Spill
	s_nop 0
	buffer_store_dword v56, off, s[0:3], s33 offset:296 ; 4-byte Folded Spill
	buffer_store_dword v2, off, s[0:3], s33 offset:168 ; 4-byte Folded Spill
	s_nop 0
	buffer_store_dword v3, off, s[0:3], s33 offset:172 ; 4-byte Folded Spill
	buffer_store_dword v4, off, s[0:3], s33 offset:176 ; 4-byte Folded Spill
	;; [unrolled: 1-line block ×3, first 2 shown]
                                        ; implicit-def: $vgpr2_vgpr3
	buffer_store_dword v2, off, s[0:3], s33 offset:184 ; 4-byte Folded Spill
	s_nop 0
	buffer_store_dword v3, off, s[0:3], s33 offset:188 ; 4-byte Folded Spill
	buffer_store_dword v4, off, s[0:3], s33 offset:192 ; 4-byte Folded Spill
	;; [unrolled: 1-line block ×3, first 2 shown]
                                        ; implicit-def: $vgpr2_vgpr3
	buffer_store_dword v2, off, s[0:3], s33 offset:200 ; 4-byte Folded Spill
	s_nop 0
	buffer_store_dword v3, off, s[0:3], s33 offset:204 ; 4-byte Folded Spill
	buffer_store_dword v4, off, s[0:3], s33 offset:208 ; 4-byte Folded Spill
	;; [unrolled: 1-line block ×3, first 2 shown]
	v_addc_co_u32_e32 v61, vcc, 0, v56, vcc
	s_branch .LBB12_3355
.LBB12_3354:                            ;   in Loop: Header=BB12_3355 Depth=3
	s_or_b64 exec, exec, s[92:93]
	v_add_co_u32_e32 v12, vcc, s81, v46
	v_addc_co_u32_e32 v13, vcc, 0, v47, vcc
	global_store_dwordx4 v[46:47], v[34:37], off glc slc
	global_store_dwordx4 v[46:47], v[48:51], off offset:1024 glc slc
	global_store_dwordx4 v[46:47], v[52:55], off offset:2048 glc slc
	;; [unrolled: 1-line block ×3, first 2 shown]
	global_store_dwordx4 v[12:13], v[42:45], off glc slc
	global_store_dwordx4 v[12:13], v[56:59], off offset:1024 glc slc
	global_store_dwordx4 v[12:13], v[2:5], off offset:2048 glc slc
	;; [unrolled: 1-line block ×3, first 2 shown]
	s_waitcnt vmcnt(9)
	v_add_co_u32_e32 v2, vcc, v46, v0
	s_waitcnt vmcnt(8)
	v_addc_co_u32_e32 v3, vcc, v47, v1, vcc
	v_add_co_u32_e32 v46, vcc, s54, v2
	v_addc_co_u32_e32 v47, vcc, 0, v3, vcc
	v_add_co_u32_e32 v60, vcc, v60, v0
	v_addc_co_u32_e32 v61, vcc, v61, v1, vcc
	v_sub_u32_e32 v1, v10, v11
	v_cmp_gt_i32_e32 vcc, 1, v1
	s_or_b64 s[78:79], vcc, s[78:79]
	s_andn2_b64 s[88:89], s[88:89], exec
	s_and_b64 s[92:93], s[90:91], exec
	s_or_b64 s[88:89], s[88:89], s[92:93]
	s_andn2_b64 exec, exec, s[78:79]
	s_cbranch_execz .LBB12_3360
.LBB12_3355:                            ;   Parent Loop BB12_47 Depth=1
                                        ;     Parent Loop BB12_3275 Depth=2
                                        ; =>    This Inner Loop Header: Depth=3
	v_add_co_u32_e32 v6, vcc, 0x1000, v60
	v_addc_co_u32_e32 v7, vcc, 0, v61, vcc
	global_load_dwordx4 v[34:37], v[60:61], off glc slc
	global_load_dwordx4 v[48:51], v[60:61], off offset:1024 glc slc
	global_load_dwordx4 v[52:55], v[60:61], off offset:2048 glc slc
	;; [unrolled: 1-line block ×3, first 2 shown]
	global_load_dwordx4 v[42:45], v[6:7], off glc slc
	global_load_dwordx4 v[56:59], v[6:7], off offset:1024 glc slc
	global_load_dwordx4 v[2:5], v[6:7], off offset:2048 glc slc
	s_nop 0
	global_load_dwordx4 v[6:9], v[6:7], off offset:3072 glc slc
	s_and_saveexec_b64 s[92:93], s[90:91]
	s_cbranch_execz .LBB12_3357
; %bb.3356:                             ;   in Loop: Header=BB12_3355 Depth=3
	buffer_load_dword v10, off, s[0:3], s33 offset:168 ; 4-byte Folded Reload
	buffer_load_dword v11, off, s[0:3], s33 offset:172 ; 4-byte Folded Reload
	;; [unrolled: 1-line block ×4, first 2 shown]
	s_waitcnt vmcnt(0)
	global_store_dwordx4 v[46:47], v[10:13], off glc slc
	buffer_load_dword v10, off, s[0:3], s33 offset:184 ; 4-byte Folded Reload
	s_nop 0
	buffer_load_dword v11, off, s[0:3], s33 offset:188 ; 4-byte Folded Reload
	buffer_load_dword v12, off, s[0:3], s33 offset:192 ; 4-byte Folded Reload
	;; [unrolled: 1-line block ×3, first 2 shown]
	s_waitcnt vmcnt(0)
	global_store_dwordx4 v[46:47], v[10:13], off offset:1024 glc slc
	buffer_load_dword v10, off, s[0:3], s33 offset:200 ; 4-byte Folded Reload
	s_nop 0
	buffer_load_dword v11, off, s[0:3], s33 offset:204 ; 4-byte Folded Reload
	buffer_load_dword v12, off, s[0:3], s33 offset:208 ; 4-byte Folded Reload
	;; [unrolled: 1-line block ×3, first 2 shown]
	s_waitcnt vmcnt(0)
	global_store_dwordx4 v[46:47], v[10:13], off offset:2048 glc slc
	global_store_dwordx4 v[46:47], v[14:17], off offset:3072 glc slc
	v_add_co_u32_e32 v10, vcc, 0x1000, v46
	v_addc_co_u32_e32 v11, vcc, 0, v47, vcc
	global_store_dwordx4 v[10:11], v[18:21], off glc slc
	global_store_dwordx4 v[10:11], v[22:25], off offset:1024 glc slc
	global_store_dwordx4 v[10:11], v[26:29], off offset:2048 glc slc
	;; [unrolled: 1-line block ×3, first 2 shown]
	buffer_load_dword v0, off, s[0:3], s33 offset:396 ; 4-byte Folded Reload
	s_waitcnt vmcnt(0)
	v_add_co_u32_e32 v46, vcc, v46, v0
	buffer_load_dword v0, off, s[0:3], s33 offset:400 ; 4-byte Folded Reload
	s_waitcnt vmcnt(0)
	v_addc_co_u32_e32 v47, vcc, v47, v0, vcc
.LBB12_3357:                            ;   in Loop: Header=BB12_3355 Depth=3
	s_or_b64 exec, exec, s[92:93]
	buffer_load_dword v0, off, s[0:3], s33 offset:396 ; 4-byte Folded Reload
	v_mov_b32_e32 v11, 0
	s_waitcnt vmcnt(0)
	v_add_co_u32_e32 v60, vcc, v60, v0
	buffer_load_dword v0, off, s[0:3], s33 offset:400 ; 4-byte Folded Reload
	s_waitcnt vmcnt(0)
	v_addc_co_u32_e32 v61, vcc, v61, v0, vcc
	buffer_load_dword v0, off, s[0:3], s33 offset:152 ; 4-byte Folded Reload
	s_waitcnt vmcnt(0)
	v_sub_u32_e32 v10, v1, v0
	v_mov_b32_e32 v0, 0
	v_mov_b32_e32 v1, 0
	v_cmp_lt_i32_e64 s[90:91], 0, v10
	s_and_saveexec_b64 s[92:93], s[90:91]
	s_cbranch_execz .LBB12_3354
; %bb.3358:                             ;   in Loop: Header=BB12_3355 Depth=3
	global_load_dwordx4 v[11:14], v[60:61], off glc slc
	v_add_co_u32_e32 v0, vcc, s81, v60
	v_addc_co_u32_e32 v1, vcc, 0, v61, vcc
	s_waitcnt vmcnt(0)
	buffer_store_dword v11, off, s[0:3], s33 offset:168 ; 4-byte Folded Spill
	s_nop 0
	buffer_store_dword v12, off, s[0:3], s33 offset:172 ; 4-byte Folded Spill
	buffer_store_dword v13, off, s[0:3], s33 offset:176 ; 4-byte Folded Spill
	buffer_store_dword v14, off, s[0:3], s33 offset:180 ; 4-byte Folded Spill
	global_load_dwordx4 v[11:14], v[60:61], off offset:1024 glc slc
	s_waitcnt vmcnt(0)
	buffer_store_dword v11, off, s[0:3], s33 offset:184 ; 4-byte Folded Spill
	s_nop 0
	buffer_store_dword v12, off, s[0:3], s33 offset:188 ; 4-byte Folded Spill
	buffer_store_dword v13, off, s[0:3], s33 offset:192 ; 4-byte Folded Spill
	buffer_store_dword v14, off, s[0:3], s33 offset:196 ; 4-byte Folded Spill
	global_load_dwordx4 v[11:14], v[60:61], off offset:2048 glc slc
	;; [unrolled: 7-line block ×3, first 2 shown]
	s_nop 0
	global_load_dwordx4 v[18:21], v[0:1], off glc slc
	global_load_dwordx4 v[22:25], v[0:1], off offset:1024 glc slc
	global_load_dwordx4 v[26:29], v[0:1], off offset:2048 glc slc
	;; [unrolled: 1-line block ×3, first 2 shown]
	buffer_load_dword v11, off, s[0:3], s33 offset:152 ; 4-byte Folded Reload
	s_nop 0
	buffer_load_dword v0, off, s[0:3], s33 offset:444 ; 4-byte Folded Reload
	buffer_load_dword v1, off, s[0:3], s33 offset:448 ; 4-byte Folded Reload
	v_add_co_u32_e32 v60, vcc, 0x2000, v60
	v_addc_co_u32_e32 v61, vcc, 0, v61, vcc
	s_branch .LBB12_3354
.LBB12_3359:                            ;   in Loop: Header=BB12_3275 Depth=2
	buffer_load_dword v2, off, s[0:3], s33 offset:484 ; 4-byte Folded Reload
	v_mov_b32_e32 v7, v41
	s_and_saveexec_b64 s[26:27], s[44:45]
	s_cbranch_execnz .LBB12_3380
	s_branch .LBB12_3400
.LBB12_3360:                            ;   in Loop: Header=BB12_3275 Depth=2
	s_or_b64 exec, exec, s[78:79]
	buffer_load_dword v51, off, s[0:3], s33 offset:360 ; 4-byte Folded Reload
	buffer_load_dword v52, off, s[0:3], s33 offset:216 ; 4-byte Folded Reload
	;; [unrolled: 1-line block ×13, first 2 shown]
	s_and_b64 s[78:79], s[88:89], exec
.LBB12_3361:                            ;   in Loop: Header=BB12_3275 Depth=2
	s_or_b64 exec, exec, s[26:27]
	s_and_saveexec_b64 s[26:27], s[78:79]
	s_cbranch_execz .LBB12_3363
; %bb.3362:                             ;   in Loop: Header=BB12_3275 Depth=2
	buffer_load_dword v5, off, s[0:3], s33 offset:168 ; 4-byte Folded Reload
	buffer_load_dword v6, off, s[0:3], s33 offset:172 ; 4-byte Folded Reload
	;; [unrolled: 1-line block ×4, first 2 shown]
	v_add_co_u32_e32 v2, vcc, 0x1000, v46
	v_addc_co_u32_e32 v3, vcc, 0, v47, vcc
	s_waitcnt vmcnt(0)
	global_store_dwordx4 v[46:47], v[5:8], off glc slc
	buffer_load_dword v5, off, s[0:3], s33 offset:184 ; 4-byte Folded Reload
	s_nop 0
	buffer_load_dword v6, off, s[0:3], s33 offset:188 ; 4-byte Folded Reload
	buffer_load_dword v7, off, s[0:3], s33 offset:192 ; 4-byte Folded Reload
	;; [unrolled: 1-line block ×3, first 2 shown]
	s_waitcnt vmcnt(0)
	global_store_dwordx4 v[46:47], v[5:8], off offset:1024 glc slc
	buffer_load_dword v5, off, s[0:3], s33 offset:200 ; 4-byte Folded Reload
	s_nop 0
	buffer_load_dword v6, off, s[0:3], s33 offset:204 ; 4-byte Folded Reload
	buffer_load_dword v7, off, s[0:3], s33 offset:208 ; 4-byte Folded Reload
	;; [unrolled: 1-line block ×3, first 2 shown]
	s_waitcnt vmcnt(0)
	global_store_dwordx4 v[46:47], v[5:8], off offset:2048 glc slc
	global_store_dwordx4 v[46:47], v[14:17], off offset:3072 glc slc
	global_store_dwordx4 v[2:3], v[18:21], off glc slc
	global_store_dwordx4 v[2:3], v[22:25], off offset:1024 glc slc
	global_store_dwordx4 v[2:3], v[26:29], off offset:2048 glc slc
	;; [unrolled: 1-line block ×3, first 2 shown]
.LBB12_3363:                            ;   in Loop: Header=BB12_3275 Depth=2
	s_or_b64 exec, exec, s[26:27]
	s_waitcnt vmcnt(0)
	v_lshlrev_b32_e32 v14, 13, v4
	v_cmp_ne_u32_e32 vcc, v40, v14
                                        ; implicit-def: $vgpr0
                                        ; implicit-def: $vgpr2
                                        ; implicit-def: $vgpr7
	s_mov_b64 s[78:79], exec
	buffer_load_dword v41, off, s[0:3], s33 offset:524 ; 4-byte Folded Reload
	buffer_load_dword v44, off, s[0:3], s33 offset:528 ; 4-byte Folded Reload
	;; [unrolled: 1-line block ×3, first 2 shown]
	s_and_b64 s[26:27], s[78:79], vcc
	s_mov_b64 exec, s[26:27]
	s_cbranch_execz .LBB12_3379
; %bb.3364:                             ;   in Loop: Header=BB12_3275 Depth=2
	v_lshlrev_b32_e32 v0, 6, v1
	s_waitcnt vmcnt(2)
	v_sub_u32_e32 v0, v41, v0
	v_sub_u32_e32 v2, v40, v14
	v_ashrrev_i32_e32 v1, 31, v0
	v_lshrrev_b32_e32 v1, 26, v1
	v_ashrrev_i32_e32 v5, 31, v2
	v_add_u32_e32 v1, v0, v1
	v_lshrrev_b32_e32 v5, 22, v5
	v_ashrrev_i32_e32 v3, 6, v1
	v_and_b32_e32 v1, 0xffffffc0, v1
	v_add_u32_e32 v5, v2, v5
	v_sub_u32_e32 v1, v0, v1
	v_and_b32_e32 v15, 0xfffffc00, v5
	v_lshlrev_b32_e32 v0, 4, v1
	v_sub_u32_e32 v17, v2, v15
	v_lshl_add_u32 v0, v3, 10, v0
	v_ashrrev_i32_e32 v6, 10, v5
	v_cmp_lt_i32_e64 s[26:27], 15, v17
	v_add_u32_e32 v4, v0, v14
	v_sub_u32_e32 v0, v2, v0
	v_addc_co_u32_e64 v2, vcc, 0, v6, s[26:27]
	v_ashrrev_i32_e32 v5, 31, v4
	v_add_co_u32_e32 v10, vcc, v4, v57
	v_addc_co_u32_e32 v11, vcc, v5, v58, vcc
	v_sub_u32_e32 v16, v2, v3
	v_cmp_lt_i32_e32 vcc, 15, v0
	s_mov_b64 s[90:91], 0
                                        ; implicit-def: $vgpr2_vgpr3
	s_and_saveexec_b64 s[88:89], vcc
	s_cbranch_execz .LBB12_3374
; %bb.3365:                             ;   in Loop: Header=BB12_3275 Depth=2
	v_add_co_u32_e32 v12, vcc, v4, v55
	v_addc_co_u32_e32 v13, vcc, v5, v56, vcc
	s_mov_b64 s[94:95], 0
                                        ; implicit-def: $sgpr92_sgpr93
                                        ; implicit-def: $vgpr2_vgpr3
	s_branch .LBB12_3367
.LBB12_3366:                            ;   in Loop: Header=BB12_3367 Depth=3
	s_or_b64 exec, exec, s[30:31]
	v_cmp_gt_i32_e32 vcc, 16, v0
	s_or_b64 s[90:91], vcc, s[90:91]
	s_andn2_b64 s[92:93], s[92:93], exec
	s_and_b64 vcc, s[94:95], exec
	s_or_b64 s[92:93], s[92:93], vcc
	s_andn2_b64 exec, exec, s[90:91]
	s_cbranch_execz .LBB12_3373
.LBB12_3367:                            ;   Parent Loop BB12_47 Depth=1
                                        ;     Parent Loop BB12_3275 Depth=2
                                        ; =>    This Inner Loop Header: Depth=3
	global_load_dwordx4 v[6:9], v[12:13], off glc slc
	s_and_saveexec_b64 s[30:31], s[94:95]
	s_cbranch_execz .LBB12_3369
; %bb.3368:                             ;   in Loop: Header=BB12_3367 Depth=3
	buffer_load_dword v18, off, s[0:3], s33 offset:344 ; 4-byte Folded Reload
	buffer_load_dword v19, off, s[0:3], s33 offset:348 ; 4-byte Folded Reload
	s_waitcnt vmcnt(1)
	v_add_co_u32_e32 v18, vcc, v10, v18
	s_waitcnt vmcnt(0)
	v_addc_co_u32_e32 v19, vcc, v11, v19, vcc
	global_store_dwordx4 v[10:11], v[2:5], off glc slc
	v_mov_b32_e32 v10, v18
	v_mov_b32_e32 v11, v19
.LBB12_3369:                            ;   in Loop: Header=BB12_3367 Depth=3
	s_or_b64 exec, exec, s[30:31]
	buffer_load_dword v18, off, s[0:3], s33 offset:344 ; 4-byte Folded Reload
	s_waitcnt vmcnt(3)
	v_sub_u32_e32 v0, v0, v44
	v_cmp_lt_i32_e64 s[94:95], 15, v0
	s_waitcnt vmcnt(0)
	v_add_co_u32_e32 v12, vcc, v12, v18
	buffer_load_dword v18, off, s[0:3], s33 offset:348 ; 4-byte Folded Reload
	s_waitcnt vmcnt(0)
	v_addc_co_u32_e32 v13, vcc, v13, v18, vcc
	s_and_saveexec_b64 s[30:31], s[94:95]
	s_cbranch_execz .LBB12_3371
; %bb.3370:                             ;   in Loop: Header=BB12_3367 Depth=3
	global_load_dwordx4 v[2:5], v[12:13], off glc slc
	v_add_co_u32_e32 v12, vcc, 0x400, v12
	v_addc_co_u32_e32 v13, vcc, 0, v13, vcc
.LBB12_3371:                            ;   in Loop: Header=BB12_3367 Depth=3
	s_or_b64 exec, exec, s[30:31]
	buffer_load_dword v18, off, s[0:3], s33 offset:152 ; 4-byte Folded Reload
	s_waitcnt vmcnt(0)
	v_sub_u32_e32 v16, v16, v18
	global_store_dwordx4 v[10:11], v[6:9], off glc slc
	v_add_co_u32_e32 v10, vcc, 0x400, v10
	v_addc_co_u32_e32 v11, vcc, 0, v11, vcc
	s_and_saveexec_b64 s[30:31], s[94:95]
	s_cbranch_execz .LBB12_3366
; %bb.3372:                             ;   in Loop: Header=BB12_3367 Depth=3
	buffer_load_dword v6, off, s[0:3], s33 offset:152 ; 4-byte Folded Reload
	v_add_co_u32_e32 v12, vcc, v12, v46
	v_sub_u32_e32 v0, v0, v44
	s_waitcnt vmcnt(0)
	v_sub_u32_e32 v16, v16, v6
	buffer_load_dword v6, off, s[0:3], s33 offset:340 ; 4-byte Folded Reload
	s_waitcnt vmcnt(0)
	v_addc_co_u32_e32 v13, vcc, v13, v6, vcc
	v_add_co_u32_e32 v10, vcc, v10, v46
	v_addc_co_u32_e32 v11, vcc, v11, v6, vcc
	s_branch .LBB12_3366
.LBB12_3373:                            ;   in Loop: Header=BB12_3275 Depth=2
	s_or_b64 exec, exec, s[90:91]
	s_and_b64 s[90:91], s[92:93], exec
.LBB12_3374:                            ;   in Loop: Header=BB12_3275 Depth=2
	s_or_b64 exec, exec, s[88:89]
	s_and_saveexec_b64 s[88:89], s[90:91]
	s_cbranch_execz .LBB12_3376
; %bb.3375:                             ;   in Loop: Header=BB12_3275 Depth=2
	global_store_dwordx4 v[10:11], v[2:5], off glc slc
.LBB12_3376:                            ;   in Loop: Header=BB12_3275 Depth=2
	s_or_b64 exec, exec, s[88:89]
	v_and_b32_e32 v3, 14, v40
	v_cndmask_b32_e64 v40, v17, v3, s[26:27]
	v_cmp_ne_u32_e32 vcc, 0, v40
	s_mov_b64 s[90:91], s[44:45]
                                        ; implicit-def: $vgpr0
                                        ; implicit-def: $vgpr2
                                        ; implicit-def: $vgpr7
	s_and_saveexec_b64 s[88:89], vcc
	s_cbranch_execz .LBB12_3378
; %bb.3377:                             ;   in Loop: Header=BB12_3275 Depth=2
	buffer_load_dword v2, off, s[0:3], s33 offset:152 ; 4-byte Folded Reload
	v_cmp_lt_i32_e32 vcc, 0, v16
	v_sub_u32_e32 v0, v17, v3
	v_cndmask_b32_e64 v0, 0, v0, s[26:27]
	v_add3_u32 v0, v15, v14, v0
	s_or_b64 s[90:91], s[44:45], exec
	s_waitcnt vmcnt(0)
	v_cndmask_b32_e32 v2, 0, v2, vcc
	v_sub_u32_e32 v2, v2, v16
	v_lshl_add_u32 v2, v2, 6, v1
	v_ashrrev_i32_e32 v1, 31, v2
	v_lshrrev_b32_e32 v1, 26, v1
	v_add_u32_e32 v1, v2, v1
	v_and_b32_e32 v1, 0xffffffc0, v1
	v_sub_u32_e32 v7, v2, v1
.LBB12_3378:                            ;   in Loop: Header=BB12_3275 Depth=2
	s_or_b64 exec, exec, s[88:89]
	s_andn2_b64 s[26:27], s[44:45], exec
	s_and_b64 s[44:45], s[90:91], exec
	s_or_b64 s[44:45], s[26:27], s[44:45]
.LBB12_3379:                            ;   in Loop: Header=BB12_3275 Depth=2
	s_or_b64 exec, exec, s[78:79]
	s_and_saveexec_b64 s[26:27], s[44:45]
	s_cbranch_execz .LBB12_3400
.LBB12_3380:                            ;   in Loop: Header=BB12_3275 Depth=2
	s_waitcnt vmcnt(0)
	v_ashrrev_i32_e32 v1, 31, v2
	v_lshrrev_b32_e32 v1, 26, v1
	v_add_u32_e32 v1, v2, v1
	v_ashrrev_i32_e32 v1, 6, v1
	v_lshlrev_b32_e32 v2, 11, v1
	v_lshlrev_b32_e32 v3, 1, v7
	v_add3_u32 v3, v0, v3, v2
	v_ashrrev_i32_e32 v2, 31, v40
	v_lshrrev_b32_e32 v2, 21, v2
	v_add_u32_e32 v2, v40, v2
	v_ashrrev_i32_e32 v8, 11, v2
	v_sub_u32_e32 v5, v8, v1
	v_ashrrev_i32_e32 v4, 31, v3
	v_add_co_u32_e32 v1, vcc, v57, v3
	v_addc_co_u32_e32 v2, vcc, v58, v4, vcc
	v_cmp_lt_i32_e32 vcc, 0, v5
	s_mov_b64 s[78:79], 0
                                        ; implicit-def: $vgpr9
                                        ; implicit-def: $vgpr10
                                        ; implicit-def: $vgpr11
                                        ; implicit-def: $vgpr12
                                        ; implicit-def: $vgpr13
                                        ; implicit-def: $vgpr14
                                        ; implicit-def: $vgpr15
                                        ; implicit-def: $vgpr16
                                        ; implicit-def: $vgpr17
                                        ; implicit-def: $vgpr18
                                        ; implicit-def: $vgpr19
                                        ; implicit-def: $vgpr20
                                        ; implicit-def: $vgpr21
                                        ; implicit-def: $vgpr22
                                        ; implicit-def: $vgpr23
                                        ; implicit-def: $vgpr24
	s_and_saveexec_b64 s[44:45], vcc
	s_cbranch_execz .LBB12_3388
; %bb.3381:                             ;   in Loop: Header=BB12_3275 Depth=2
	v_add_co_u32_e32 v3, vcc, v3, v55
	v_addc_co_u32_e32 v4, vcc, v4, v56, vcc
	s_mov_b64 s[90:91], 0
                                        ; implicit-def: $sgpr88_sgpr89
                                        ; implicit-def: $vgpr9
                                        ; implicit-def: $vgpr10
                                        ; implicit-def: $vgpr11
                                        ; implicit-def: $vgpr12
                                        ; implicit-def: $vgpr13
                                        ; implicit-def: $vgpr14
                                        ; implicit-def: $vgpr15
                                        ; implicit-def: $vgpr16
                                        ; implicit-def: $vgpr17
                                        ; implicit-def: $vgpr18
                                        ; implicit-def: $vgpr19
                                        ; implicit-def: $vgpr20
                                        ; implicit-def: $vgpr21
                                        ; implicit-def: $vgpr22
                                        ; implicit-def: $vgpr23
                                        ; implicit-def: $vgpr24
	s_branch .LBB12_3383
.LBB12_3382:                            ;   in Loop: Header=BB12_3383 Depth=3
	s_or_b64 exec, exec, s[92:93]
	s_waitcnt lgkmcnt(0)
	flat_store_short v[1:2], v25 glc slc
	flat_store_short v[1:2], v26 offset:128 glc slc
	flat_store_short v[1:2], v27 offset:256 glc slc
	;; [unrolled: 1-line block ×15, first 2 shown]
	s_waitcnt vmcnt(0)
	v_add_co_u32_e32 v1, vcc, v1, v5
	v_addc_co_u32_e32 v2, vcc, v2, v6, vcc
	v_add_co_u32_e32 v1, vcc, s64, v1
	v_addc_co_u32_e32 v2, vcc, 0, v2, vcc
	;; [unrolled: 2-line block ×3, first 2 shown]
	v_sub_u32_e32 v5, v49, v50
	v_cmp_gt_i32_e32 vcc, 1, v5
	s_or_b64 s[78:79], vcc, s[78:79]
	s_andn2_b64 s[88:89], s[88:89], exec
	s_and_b64 s[92:93], s[90:91], exec
	s_or_b64 s[88:89], s[88:89], s[92:93]
	s_andn2_b64 exec, exec, s[78:79]
	s_cbranch_execz .LBB12_3387
.LBB12_3383:                            ;   Parent Loop BB12_47 Depth=1
                                        ;     Parent Loop BB12_3275 Depth=2
                                        ; =>    This Inner Loop Header: Depth=3
	flat_load_ushort v25, v[3:4] glc slc
	flat_load_ushort v26, v[3:4] offset:128 glc slc
	flat_load_ushort v27, v[3:4] offset:256 glc slc
	;; [unrolled: 1-line block ×15, first 2 shown]
	s_and_saveexec_b64 s[92:93], s[90:91]
	s_cbranch_execz .LBB12_3385
; %bb.3384:                             ;   in Loop: Header=BB12_3383 Depth=3
	flat_store_short v[1:2], v9 glc slc
	flat_store_short v[1:2], v10 offset:128 glc slc
	flat_store_short v[1:2], v11 offset:256 glc slc
	;; [unrolled: 1-line block ×15, first 2 shown]
	buffer_load_dword v6, off, s[0:3], s33 offset:232 ; 4-byte Folded Reload
	s_waitcnt vmcnt(0)
	v_add_co_u32_e32 v1, vcc, v1, v6
	buffer_load_dword v6, off, s[0:3], s33 offset:236 ; 4-byte Folded Reload
	s_waitcnt vmcnt(0)
	v_addc_co_u32_e32 v2, vcc, v2, v6, vcc
.LBB12_3385:                            ;   in Loop: Header=BB12_3383 Depth=3
	s_or_b64 exec, exec, s[92:93]
	buffer_load_dword v6, off, s[0:3], s33 offset:232 ; 4-byte Folded Reload
	v_mov_b32_e32 v50, 0
	s_waitcnt vmcnt(0)
	v_add_co_u32_e32 v3, vcc, v3, v6
	buffer_load_dword v6, off, s[0:3], s33 offset:236 ; 4-byte Folded Reload
	s_waitcnt vmcnt(0)
	v_addc_co_u32_e32 v4, vcc, v4, v6, vcc
	buffer_load_dword v6, off, s[0:3], s33 offset:152 ; 4-byte Folded Reload
	s_waitcnt vmcnt(0)
	v_sub_u32_e32 v49, v5, v6
	v_mov_b32_e32 v5, 0
	v_mov_b32_e32 v6, 0
	v_cmp_lt_i32_e64 s[90:91], 0, v49
	s_and_saveexec_b64 s[92:93], s[90:91]
	s_cbranch_execz .LBB12_3382
; %bb.3386:                             ;   in Loop: Header=BB12_3383 Depth=3
	flat_load_ushort v9, v[3:4] glc slc
	flat_load_ushort v10, v[3:4] offset:128 glc slc
	flat_load_ushort v11, v[3:4] offset:256 glc slc
	;; [unrolled: 1-line block ×15, first 2 shown]
	buffer_load_dword v50, off, s[0:3], s33 offset:152 ; 4-byte Folded Reload
	buffer_load_dword v5, off, s[0:3], s33 offset:272 ; 4-byte Folded Reload
	;; [unrolled: 1-line block ×3, first 2 shown]
	v_add_co_u32_e32 v3, vcc, 0x800, v3
	v_addc_co_u32_e32 v4, vcc, 0, v4, vcc
	s_branch .LBB12_3382
.LBB12_3387:                            ;   in Loop: Header=BB12_3275 Depth=2
	s_or_b64 exec, exec, s[78:79]
	s_and_b64 s[78:79], s[88:89], exec
.LBB12_3388:                            ;   in Loop: Header=BB12_3275 Depth=2
	s_or_b64 exec, exec, s[44:45]
	s_and_saveexec_b64 s[44:45], s[78:79]
	s_cbranch_execz .LBB12_3390
; %bb.3389:                             ;   in Loop: Header=BB12_3275 Depth=2
	flat_store_short v[1:2], v9 glc slc
	flat_store_short v[1:2], v10 offset:128 glc slc
	flat_store_short v[1:2], v11 offset:256 glc slc
	;; [unrolled: 1-line block ×15, first 2 shown]
.LBB12_3390:                            ;   in Loop: Header=BB12_3275 Depth=2
	s_or_b64 exec, exec, s[44:45]
	v_lshlrev_b32_e32 v1, 11, v8
	v_cmp_ne_u32_e32 vcc, v40, v1
	s_and_b64 exec, exec, vcc
	s_cbranch_execz .LBB12_3400
; %bb.3391:                             ;   in Loop: Header=BB12_3275 Depth=2
	v_lshlrev_b32_e32 v2, 6, v5
	v_sub_u32_e32 v2, v7, v2
	v_ashrrev_i32_e32 v3, 31, v2
	v_lshrrev_b32_e32 v3, 26, v3
	v_add_u32_e32 v3, v2, v3
	v_and_b32_e32 v4, 0x7fffffc0, v3
	v_sub_u32_e32 v2, v2, v4
	v_lshlrev_b32_e32 v3, 1, v3
	v_and_b32_e32 v3, 0xffffff80, v3
	v_lshlrev_b32_e32 v2, 1, v2
	v_add3_u32 v1, v3, v2, v1
	v_sub_u32_e32 v5, v40, v1
	v_cmp_lt_i32_e32 vcc, 1, v5
	s_and_b64 exec, exec, vcc
	s_cbranch_execz .LBB12_3400
; %bb.3392:                             ;   in Loop: Header=BB12_3275 Depth=2
	v_add_u32_e32 v0, v1, v0
	v_ashrrev_i32_e32 v4, 31, v0
	v_add_co_u32_e32 v1, vcc, v57, v0
	v_addc_co_u32_e32 v2, vcc, v58, v4, vcc
	v_add_co_u32_e32 v3, vcc, v0, v55
	v_addc_co_u32_e32 v4, vcc, v4, v56, vcc
	s_mov_b64 s[88:89], 0
	s_mov_b64 s[44:45], 0
                                        ; implicit-def: $sgpr78_sgpr79
                                        ; implicit-def: $vgpr0
	s_branch .LBB12_3394
.LBB12_3393:                            ;   in Loop: Header=BB12_3394 Depth=3
	s_or_b64 exec, exec, s[90:91]
	s_waitcnt lgkmcnt(0)
	flat_store_short v[1:2], v7 glc slc
	s_waitcnt vmcnt(0)
	v_add_co_u32_e32 v1, vcc, v1, v5
	v_addc_co_u32_e32 v2, vcc, v2, v6, vcc
	v_add_co_u32_e32 v3, vcc, v3, v5
	v_addc_co_u32_e32 v4, vcc, v4, v6, vcc
	;; [unrolled: 2-line block ×3, first 2 shown]
	v_sub_u32_e32 v5, v8, v9
	v_cmp_gt_i32_e32 vcc, 2, v5
	s_or_b64 s[44:45], vcc, s[44:45]
	s_andn2_b64 s[78:79], s[78:79], exec
	s_and_b64 s[90:91], s[88:89], exec
	s_or_b64 s[78:79], s[78:79], s[90:91]
	s_andn2_b64 exec, exec, s[44:45]
	s_cbranch_execz .LBB12_3398
.LBB12_3394:                            ;   Parent Loop BB12_47 Depth=1
                                        ;     Parent Loop BB12_3275 Depth=2
                                        ; =>    This Inner Loop Header: Depth=3
	flat_load_ushort v7, v[3:4] glc slc
	s_and_saveexec_b64 s[90:91], s[88:89]
	s_cbranch_execz .LBB12_3396
; %bb.3395:                             ;   in Loop: Header=BB12_3394 Depth=3
	buffer_load_dword v6, off, s[0:3], s33 offset:324 ; 4-byte Folded Reload
	s_waitcnt vmcnt(0)
	v_add_co_u32_e32 v8, vcc, v1, v6
	buffer_load_dword v6, off, s[0:3], s33 offset:328 ; 4-byte Folded Reload
	s_waitcnt vmcnt(0)
	v_addc_co_u32_e32 v9, vcc, v2, v6, vcc
	flat_store_short v[1:2], v0 glc slc
	v_mov_b32_e32 v1, v8
	v_mov_b32_e32 v2, v9
.LBB12_3396:                            ;   in Loop: Header=BB12_3394 Depth=3
	s_or_b64 exec, exec, s[90:91]
	buffer_load_dword v6, off, s[0:3], s33 offset:324 ; 4-byte Folded Reload
	v_mov_b32_e32 v9, 0
	s_waitcnt vmcnt(0)
	v_add_co_u32_e32 v3, vcc, v3, v6
	buffer_load_dword v6, off, s[0:3], s33 offset:328 ; 4-byte Folded Reload
	s_waitcnt vmcnt(0)
	v_addc_co_u32_e32 v4, vcc, v4, v6, vcc
	buffer_load_dword v6, off, s[0:3], s33 offset:280 ; 4-byte Folded Reload
	s_waitcnt vmcnt(0)
	v_sub_u32_e32 v8, v5, v6
	v_mov_b32_e32 v5, 0
	v_cmp_lt_i32_e64 s[88:89], 1, v8
	v_mov_b32_e32 v6, 0
	s_and_saveexec_b64 s[90:91], s[88:89]
	s_cbranch_execz .LBB12_3393
; %bb.3397:                             ;   in Loop: Header=BB12_3394 Depth=3
	flat_load_ushort v0, v[3:4] glc slc
	buffer_load_dword v9, off, s[0:3], s33 offset:280 ; 4-byte Folded Reload
	buffer_load_dword v5, off, s[0:3], s33 offset:316 ; 4-byte Folded Reload
	;; [unrolled: 1-line block ×3, first 2 shown]
	v_add_co_u32_e32 v3, vcc, 0x80, v3
	v_addc_co_u32_e32 v4, vcc, 0, v4, vcc
	s_branch .LBB12_3393
.LBB12_3398:                            ;   in Loop: Header=BB12_3275 Depth=2
	s_or_b64 exec, exec, s[44:45]
	s_and_b64 exec, exec, s[78:79]
	s_cbranch_execz .LBB12_3400
; %bb.3399:                             ;   in Loop: Header=BB12_3275 Depth=2
	flat_store_short v[1:2], v0 glc slc
.LBB12_3400:                            ;   in Loop: Header=BB12_3275 Depth=2
	s_or_b64 exec, exec, s[26:27]
	v_cmp_lt_i32_e64 s[26:27], 0, v54
	s_and_saveexec_b64 s[44:45], s[10:11]
	s_cbranch_execz .LBB12_3346
.LBB12_3401:                            ;   in Loop: Header=BB12_3275 Depth=2
	s_and_saveexec_b64 s[78:79], s[58:59]
	s_xor_b64 s[78:79], exec, s[78:79]
	s_cbranch_execz .LBB12_3416
; %bb.3402:                             ;   in Loop: Header=BB12_3275 Depth=2
	s_and_saveexec_b64 s[88:89], s[16:17]
	s_cbranch_execz .LBB12_3415
; %bb.3403:                             ;   in Loop: Header=BB12_3275 Depth=2
	s_mov_b64 s[92:93], exec
	v_mbcnt_lo_u32_b32 v0, s92, 0
	v_mbcnt_hi_u32_b32 v0, s93, v0
	v_cmp_eq_u32_e32 vcc, 0, v0
	s_waitcnt vmcnt(0) lgkmcnt(0)
	buffer_wbinvl1_vol
	s_and_saveexec_b64 s[90:91], vcc
	s_cbranch_execz .LBB12_3405
; %bb.3404:                             ;   in Loop: Header=BB12_3275 Depth=2
	buffer_load_dword v1, off, s[0:3], s33 offset:128 ; 4-byte Folded Reload
	buffer_load_dword v2, off, s[0:3], s33 offset:132 ; 4-byte Folded Reload
	s_bcnt1_i32_b64 s47, s[92:93]
	v_mov_b32_e32 v0, s47
	s_waitcnt vmcnt(1)
	ds_add_u64 v0, v[0:1]
	s_trap 2
.LBB12_3405:                            ;   in Loop: Header=BB12_3275 Depth=2
	s_or_b64 exec, exec, s[90:91]
	s_trap 2
	ds_read_b64 v[0:1], v0
	s_waitcnt lgkmcnt(0)
	buffer_load_dword v2, off, s[0:3], s33 offset:152 ; 4-byte Folded Reload
	buffer_load_dword v3, off, s[0:3], s33 offset:160 ; 4-byte Folded Reload
	;; [unrolled: 1-line block ×3, first 2 shown]
	s_waitcnt vmcnt(1)
	v_add_co_u32_e32 v3, vcc, v3, v2
	s_waitcnt vmcnt(0)
	v_addc_co_u32_e32 v4, vcc, 0, v4, vcc
	buffer_store_dword v3, off, s[0:3], s33 offset:160 ; 4-byte Folded Spill
	s_nop 0
	buffer_store_dword v4, off, s[0:3], s33 offset:164 ; 4-byte Folded Spill
	v_cmp_lt_u64_e32 vcc, v[0:1], v[3:4]
	s_and_saveexec_b64 s[90:91], vcc
	s_cbranch_execz .LBB12_3414
; %bb.3406:                             ;   in Loop: Header=BB12_3275 Depth=2
	s_mov_b32 s47, 0
	s_mov_b64 s[92:93], 0
                                        ; implicit-def: $sgpr94_sgpr95
                                        ; implicit-def: $sgpr30_sgpr31
	s_branch .LBB12_3408
.LBB12_3407:                            ;   in Loop: Header=BB12_3408 Depth=3
	s_or_b64 exec, exec, s[36:37]
	s_and_b64 vcc, exec, vcc
	s_or_b64 s[92:93], vcc, s[92:93]
	s_andn2_b64 s[94:95], s[94:95], exec
	s_and_b64 vcc, s[30:31], exec
	s_or_b64 s[94:95], s[94:95], vcc
	s_andn2_b64 exec, exec, s[92:93]
	s_cbranch_execz .LBB12_3412
.LBB12_3408:                            ;   Parent Loop BB12_47 Depth=1
                                        ;     Parent Loop BB12_3275 Depth=2
                                        ; =>    This Inner Loop Header: Depth=3
	s_add_i32 s47, s47, 1
	s_cmpk_lg_i32 s47, 0x2710
	s_cselect_b64 s[34:35], -1, 0
	s_and_b64 vcc, exec, s[34:35]
	s_cbranch_vccz .LBB12_3410
; %bb.3409:                             ;   in Loop: Header=BB12_3408 Depth=3
	s_mov_b64 vcc, -1
	s_or_b64 s[30:31], s[30:31], exec
	s_and_saveexec_b64 s[36:37], s[34:35]
	s_cbranch_execz .LBB12_3407
	s_branch .LBB12_3411
.LBB12_3410:                            ;   in Loop: Header=BB12_3408 Depth=3
	s_trap 2
	ds_read_b64 v[0:1], v0
	s_andn2_b64 s[34:35], s[34:35], exec
	s_mov_b32 s47, 0
	s_waitcnt vmcnt(0) lgkmcnt(0)
	flat_load_dword v0, v[0:1] glc
	s_waitcnt vmcnt(0) lgkmcnt(0)
	buffer_wbinvl1_vol
	v_cmp_eq_u32_e32 vcc, 0, v0
	s_and_b64 vcc, vcc, exec
	s_or_b64 s[34:35], s[34:35], vcc
	s_mov_b64 vcc, -1
	s_or_b64 s[30:31], s[30:31], exec
	s_and_saveexec_b64 s[36:37], s[34:35]
	s_cbranch_execz .LBB12_3407
.LBB12_3411:                            ;   in Loop: Header=BB12_3408 Depth=3
	s_sleep 1
	s_trap 2
	ds_read_b64 v[0:1], v0
	s_waitcnt lgkmcnt(0)
	buffer_load_dword v2, off, s[0:3], s33 offset:160 ; 4-byte Folded Reload
	buffer_load_dword v3, off, s[0:3], s33 offset:164 ; 4-byte Folded Reload
	s_andn2_b64 s[30:31], s[30:31], exec
	s_waitcnt vmcnt(0)
	v_cmp_ge_u64_e32 vcc, v[0:1], v[2:3]
	s_orn2_b64 vcc, vcc, exec
	s_branch .LBB12_3407
.LBB12_3412:                            ;   in Loop: Header=BB12_3275 Depth=2
	s_or_b64 exec, exec, s[92:93]
	s_and_saveexec_b64 s[92:93], s[94:95]
	s_xor_b64 s[92:93], exec, s[92:93]
	s_cbranch_execz .LBB12_3414
; %bb.3413:                             ;   in Loop: Header=BB12_3275 Depth=2
	v_mov_b32_e32 v0, 1
	ds_write_b32 v0, v0
	s_trap 2
.LBB12_3414:                            ;   in Loop: Header=BB12_3275 Depth=2
	s_or_b64 exec, exec, s[90:91]
	;;#ASMSTART
	s_wakeup
	;;#ASMEND
.LBB12_3415:                            ;   in Loop: Header=BB12_3275 Depth=2
	s_or_b64 exec, exec, s[88:89]
.LBB12_3416:                            ;   in Loop: Header=BB12_3275 Depth=2
	s_andn2_saveexec_b64 s[78:79], s[78:79]
	s_cbranch_execz .LBB12_3418
; %bb.3417:                             ;   in Loop: Header=BB12_3275 Depth=2
	s_waitcnt vmcnt(0) lgkmcnt(0)
	buffer_wbinvl1_vol
	s_barrier
.LBB12_3418:                            ;   in Loop: Header=BB12_3275 Depth=2
	s_or_b64 exec, exec, s[78:79]
	s_or_b64 exec, exec, s[44:45]
	s_and_saveexec_b64 s[44:45], s[24:25]
	s_xor_b64 s[44:45], exec, s[44:45]
	s_cbranch_execnz .LBB12_3347
.LBB12_3419:                            ;   in Loop: Header=BB12_3275 Depth=2
	s_andn2_saveexec_b64 s[26:27], s[44:45]
	s_cbranch_execz .LBB12_3438
.LBB12_3420:                            ;   in Loop: Header=BB12_3275 Depth=2
	s_and_saveexec_b64 s[44:45], s[58:59]
	s_xor_b64 s[44:45], exec, s[44:45]
	s_cbranch_execz .LBB12_3435
; %bb.3421:                             ;   in Loop: Header=BB12_3275 Depth=2
	s_and_saveexec_b64 s[78:79], s[16:17]
	s_cbranch_execz .LBB12_3434
; %bb.3422:                             ;   in Loop: Header=BB12_3275 Depth=2
	s_mov_b64 s[90:91], exec
	v_mbcnt_lo_u32_b32 v0, s90, 0
	v_mbcnt_hi_u32_b32 v0, s91, v0
	v_cmp_eq_u32_e32 vcc, 0, v0
	;;#ASMSTART
	s_waitcnt lgkmcnt(0) vmcnt(0)
	;;#ASMEND
	s_and_saveexec_b64 s[88:89], vcc
	s_cbranch_execz .LBB12_3424
; %bb.3423:                             ;   in Loop: Header=BB12_3275 Depth=2
	buffer_load_dword v1, off, s[0:3], s33 offset:128 ; 4-byte Folded Reload
	buffer_load_dword v2, off, s[0:3], s33 offset:132 ; 4-byte Folded Reload
	s_bcnt1_i32_b64 s47, s[90:91]
	v_mov_b32_e32 v0, s47
	s_waitcnt vmcnt(0) lgkmcnt(0)
	ds_add_u64 v0, v[0:1]
	s_trap 2
.LBB12_3424:                            ;   in Loop: Header=BB12_3275 Depth=2
	s_or_b64 exec, exec, s[88:89]
	s_trap 2
	ds_read_b64 v[0:1], v0
	s_waitcnt lgkmcnt(0)
	buffer_load_dword v2, off, s[0:3], s33 offset:152 ; 4-byte Folded Reload
	buffer_load_dword v3, off, s[0:3], s33 offset:160 ; 4-byte Folded Reload
	;; [unrolled: 1-line block ×3, first 2 shown]
	s_waitcnt vmcnt(0)
	v_add_co_u32_e32 v3, vcc, v3, v2
	v_addc_co_u32_e32 v4, vcc, 0, v4, vcc
	buffer_store_dword v3, off, s[0:3], s33 offset:160 ; 4-byte Folded Spill
	s_nop 0
	buffer_store_dword v4, off, s[0:3], s33 offset:164 ; 4-byte Folded Spill
	v_cmp_lt_u64_e32 vcc, v[0:1], v[3:4]
	s_and_saveexec_b64 s[88:89], vcc
	s_cbranch_execz .LBB12_3433
; %bb.3425:                             ;   in Loop: Header=BB12_3275 Depth=2
	s_mov_b32 s47, 0
	s_mov_b64 s[90:91], 0
                                        ; implicit-def: $sgpr92_sgpr93
                                        ; implicit-def: $sgpr94_sgpr95
	s_branch .LBB12_3427
.LBB12_3426:                            ;   in Loop: Header=BB12_3427 Depth=3
	s_or_b64 exec, exec, s[34:35]
	s_and_b64 vcc, exec, vcc
	s_or_b64 s[90:91], vcc, s[90:91]
	s_andn2_b64 s[92:93], s[92:93], exec
	s_and_b64 vcc, s[94:95], exec
	s_or_b64 s[92:93], s[92:93], vcc
	s_andn2_b64 exec, exec, s[90:91]
	s_cbranch_execz .LBB12_3431
.LBB12_3427:                            ;   Parent Loop BB12_47 Depth=1
                                        ;     Parent Loop BB12_3275 Depth=2
                                        ; =>    This Inner Loop Header: Depth=3
	s_add_i32 s47, s47, 1
	s_cmpk_lg_i32 s47, 0x2710
	s_cselect_b64 s[30:31], -1, 0
	s_and_b64 vcc, exec, s[30:31]
	s_cbranch_vccz .LBB12_3429
; %bb.3428:                             ;   in Loop: Header=BB12_3427 Depth=3
	s_mov_b64 vcc, -1
	s_or_b64 s[94:95], s[94:95], exec
	s_and_saveexec_b64 s[34:35], s[30:31]
	s_cbranch_execz .LBB12_3426
	s_branch .LBB12_3430
.LBB12_3429:                            ;   in Loop: Header=BB12_3427 Depth=3
	s_trap 2
	ds_read_b64 v[0:1], v0
	s_andn2_b64 s[30:31], s[30:31], exec
	s_mov_b32 s47, 0
	s_waitcnt vmcnt(0) lgkmcnt(0)
	flat_load_dword v0, v[0:1] glc
	s_waitcnt vmcnt(0) lgkmcnt(0)
	buffer_wbinvl1_vol
	v_cmp_eq_u32_e32 vcc, 0, v0
	s_and_b64 vcc, vcc, exec
	s_or_b64 s[30:31], s[30:31], vcc
	s_mov_b64 vcc, -1
	s_or_b64 s[94:95], s[94:95], exec
	s_and_saveexec_b64 s[34:35], s[30:31]
	s_cbranch_execz .LBB12_3426
.LBB12_3430:                            ;   in Loop: Header=BB12_3427 Depth=3
	s_sleep 1
	s_trap 2
	ds_read_b64 v[0:1], v0
	s_waitcnt lgkmcnt(0)
	buffer_load_dword v2, off, s[0:3], s33 offset:160 ; 4-byte Folded Reload
	buffer_load_dword v3, off, s[0:3], s33 offset:164 ; 4-byte Folded Reload
	s_andn2_b64 s[94:95], s[94:95], exec
	s_waitcnt vmcnt(0)
	v_cmp_ge_u64_e32 vcc, v[0:1], v[2:3]
	s_orn2_b64 vcc, vcc, exec
	s_branch .LBB12_3426
.LBB12_3431:                            ;   in Loop: Header=BB12_3275 Depth=2
	s_or_b64 exec, exec, s[90:91]
	s_and_saveexec_b64 s[90:91], s[92:93]
	s_xor_b64 s[90:91], exec, s[90:91]
	s_cbranch_execz .LBB12_3433
; %bb.3432:                             ;   in Loop: Header=BB12_3275 Depth=2
	v_mov_b32_e32 v0, 1
	ds_write_b32 v0, v0
	s_trap 2
.LBB12_3433:                            ;   in Loop: Header=BB12_3275 Depth=2
	s_or_b64 exec, exec, s[88:89]
	;;#ASMSTART
	s_wakeup
	;;#ASMEND
.LBB12_3434:                            ;   in Loop: Header=BB12_3275 Depth=2
	s_or_b64 exec, exec, s[78:79]
.LBB12_3435:                            ;   in Loop: Header=BB12_3275 Depth=2
	s_andn2_saveexec_b64 s[44:45], s[44:45]
	s_cbranch_execz .LBB12_3437
; %bb.3436:                             ;   in Loop: Header=BB12_3275 Depth=2
	;;#ASMSTART
	s_waitcnt lgkmcnt(0) vmcnt(0)
	;;#ASMEND
	s_waitcnt vmcnt(0) lgkmcnt(0)
	s_barrier
.LBB12_3437:                            ;   in Loop: Header=BB12_3275 Depth=2
	s_or_b64 exec, exec, s[44:45]
.LBB12_3438:                            ;   in Loop: Header=BB12_3275 Depth=2
	s_or_b64 exec, exec, s[26:27]
	buffer_load_dword v0, off, s[0:3], s33 offset:156 ; 4-byte Folded Reload
	s_waitcnt vmcnt(0)
	v_and_b32_e32 v0, 32, v0
	v_cmp_ne_u32_e32 vcc, 0, v0
	s_and_saveexec_b64 s[26:27], vcc
	s_cbranch_execz .LBB12_3274
; %bb.3439:                             ;   in Loop: Header=BB12_3275 Depth=2
	buffer_load_dword v2, off, s[0:3], s33 offset:256 ; 4-byte Folded Reload
	buffer_load_dword v3, off, s[0:3], s33 offset:260 ; 4-byte Folded Reload
	;; [unrolled: 1-line block ×4, first 2 shown]
	s_waitcnt vmcnt(0)
	v_add_co_u32_e32 v2, vcc, 2, v2
	v_addc_co_u32_e32 v3, vcc, 0, v3, vcc
	buffer_store_dword v2, off, s[0:3], s33 offset:256 ; 4-byte Folded Spill
	s_nop 0
	buffer_store_dword v3, off, s[0:3], s33 offset:260 ; 4-byte Folded Spill
	flat_store_dwordx2 v[0:1], v[2:3]
	s_branch .LBB12_3274
.LBB12_3440:                            ;   in Loop: Header=BB12_47 Depth=1
	s_or_b64 exec, exec, s[40:41]
.LBB12_3441:                            ;   in Loop: Header=BB12_47 Depth=1
	s_or_b64 exec, exec, s[28:29]
	v_cmp_gt_i32_e32 vcc, 2, v2
	s_and_saveexec_b64 s[28:29], vcc
	s_cbranch_execnz .LBB12_3442
; %bb.3554:                             ;   in Loop: Header=BB12_47 Depth=1
	s_getpc_b64 s[98:99]
.Lpost_getpc3:
	s_add_u32 s98, s98, (.LBB12_46-.Lpost_getpc3)&4294967295
	s_addc_u32 s99, s99, (.LBB12_46-.Lpost_getpc3)>>32
	s_setpc_b64 s[98:99]
.LBB12_3442:                            ;   in Loop: Header=BB12_47 Depth=1
	v_cmp_eq_u32_e64 s[42:43], 0, v2
	s_mov_b64 s[40:41], 0
	s_branch .LBB12_3444
.LBB12_3443:                            ;   in Loop: Header=BB12_3444 Depth=2
	s_or_b64 exec, exec, s[26:27]
	v_add_u32_e32 v53, v52, v53
	s_mov_b64 s[42:43], 0
	s_andn2_b64 exec, exec, s[40:41]
	s_cbranch_execnz .LBB12_3444
; %bb.3556:                             ;   in Loop: Header=BB12_47 Depth=1
	s_getpc_b64 s[98:99]
.Lpost_getpc4:
	s_add_u32 s98, s98, (.LBB12_45-.Lpost_getpc4)&4294967295
	s_addc_u32 s99, s99, (.LBB12_45-.Lpost_getpc4)>>32
	s_setpc_b64 s[98:99]
.LBB12_3444:                            ;   Parent Loop BB12_47 Depth=1
                                        ; =>  This Loop Header: Depth=2
                                        ;       Child Loop BB12_3450 Depth 3
                                        ;       Child Loop BB12_3474 Depth 3
	;; [unrolled: 1-line block ×3, first 2 shown]
	buffer_load_dword v0, off, s[0:3], s33 offset:156 ; 4-byte Folded Reload
	s_waitcnt vmcnt(0)
	v_and_b32_e32 v0, 4, v0
	v_cmp_ne_u32_e32 vcc, 0, v0
	s_and_saveexec_b64 s[44:45], vcc
	s_cbranch_execz .LBB12_3466
; %bb.3445:                             ;   in Loop: Header=BB12_3444 Depth=2
	buffer_load_dword v1, off, s[0:3], s33 offset:256 ; 4-byte Folded Reload
	buffer_load_dword v2, off, s[0:3], s33 offset:260 ; 4-byte Folded Reload
	;; [unrolled: 1-line block ×4, first 2 shown]
	s_waitcnt vmcnt(0)
	v_add_co_u32_e32 v1, vcc, 2, v1
	v_addc_co_u32_e32 v2, vcc, 0, v2, vcc
	v_cmp_lt_u64_e32 vcc, v[3:4], v[1:2]
	s_and_saveexec_b64 s[78:79], vcc
	s_cbranch_execz .LBB12_3457
; %bb.3446:                             ;   in Loop: Header=BB12_3444 Depth=2
	buffer_load_dword v0, off, s[0:3], s33 offset:156 ; 4-byte Folded Reload
	s_mov_b32 s9, 0
	s_mov_b64 s[88:89], 0
                                        ; implicit-def: $sgpr90_sgpr91
                                        ; implicit-def: $sgpr92_sgpr93
                                        ; implicit-def: $sgpr94_sgpr95
	s_waitcnt vmcnt(0)
	v_and_b32_e32 v0, 64, v0
	v_cmp_eq_u32_e32 vcc, 0, v0
	s_branch .LBB12_3450
.LBB12_3447:                            ;   in Loop: Header=BB12_3450 Depth=3
	buffer_load_dword v3, off, s[0:3], s33 offset:136 ; 4-byte Folded Reload
	buffer_load_dword v4, off, s[0:3], s33 offset:140 ; 4-byte Folded Reload
	s_or_b64 s[36:37], s[36:37], exec
	s_waitcnt vmcnt(0)
	v_cmp_ge_u64_e64 s[26:27], v[3:4], v[1:2]
	s_orn2_b64 s[34:35], s[26:27], exec
.LBB12_3448:                            ;   in Loop: Header=BB12_3450 Depth=3
	s_or_b64 exec, exec, s[48:49]
	s_andn2_b64 s[26:27], s[94:95], exec
	s_and_b64 s[94:95], s[36:37], exec
	s_or_b64 s[94:95], s[26:27], s[94:95]
	s_andn2_b64 s[26:27], s[92:93], exec
	s_and_b64 s[92:93], s[34:35], exec
	s_or_b64 s[92:93], s[26:27], s[92:93]
.LBB12_3449:                            ;   in Loop: Header=BB12_3450 Depth=3
	s_or_b64 exec, exec, s[30:31]
	s_and_b64 s[26:27], exec, s[92:93]
	s_or_b64 s[88:89], s[26:27], s[88:89]
	s_andn2_b64 s[26:27], s[90:91], exec
	s_and_b64 s[90:91], s[94:95], exec
	s_or_b64 s[90:91], s[26:27], s[90:91]
	s_andn2_b64 exec, exec, s[88:89]
	s_cbranch_execz .LBB12_3454
.LBB12_3450:                            ;   Parent Loop BB12_47 Depth=1
                                        ;     Parent Loop BB12_3444 Depth=2
                                        ; =>    This Inner Loop Header: Depth=3
	s_sleep 1
	buffer_load_dword v3, off, s[0:3], s33 offset:144 ; 4-byte Folded Reload
	buffer_load_dword v4, off, s[0:3], s33 offset:148 ; 4-byte Folded Reload
	s_or_b64 s[94:95], s[94:95], exec
	s_or_b64 s[92:93], s[92:93], exec
                                        ; implicit-def: $vgpr0
	s_waitcnt vmcnt(0)
	flat_load_dwordx2 v[3:4], v[3:4] glc
	s_waitcnt vmcnt(0) lgkmcnt(0)
	buffer_store_dword v3, off, s[0:3], s33 offset:136 ; 4-byte Folded Spill
	s_nop 0
	buffer_store_dword v4, off, s[0:3], s33 offset:140 ; 4-byte Folded Spill
	s_and_saveexec_b64 s[30:31], vcc
	s_cbranch_execz .LBB12_3449
; %bb.3451:                             ;   in Loop: Header=BB12_3450 Depth=3
	s_cmpk_lt_i32 s9, 0x270f
	s_cselect_b64 s[38:39], -1, 0
	s_cmpk_gt_i32 s9, 0x270e
	s_mov_b64 s[34:35], -1
	s_cbranch_scc0 .LBB12_3453
; %bb.3452:                             ;   in Loop: Header=BB12_3450 Depth=3
	s_trap 2
	ds_read_b64 v[3:4], v0
	s_andn2_b64 s[38:39], s[38:39], exec
	s_mov_b32 s9, 0
	s_mov_b64 s[36:37], 0
	s_waitcnt vmcnt(0) lgkmcnt(0)
	flat_load_dword v0, v[3:4] glc
	s_waitcnt vmcnt(0) lgkmcnt(0)
	buffer_wbinvl1_vol
	v_cmp_eq_u32_e64 s[26:27], 0, v0
	s_and_b64 s[26:27], s[26:27], exec
	s_or_b64 s[38:39], s[38:39], s[26:27]
	s_and_saveexec_b64 s[48:49], s[38:39]
	s_cbranch_execz .LBB12_3448
	s_branch .LBB12_3447
.LBB12_3453:                            ;   in Loop: Header=BB12_3450 Depth=3
	s_add_i32 s9, s9, 1
	s_mov_b64 s[36:37], -1
                                        ; implicit-def: $vgpr0
	s_and_saveexec_b64 s[48:49], s[38:39]
	s_cbranch_execz .LBB12_3448
	s_branch .LBB12_3447
.LBB12_3454:                            ;   in Loop: Header=BB12_3444 Depth=2
	s_or_b64 exec, exec, s[88:89]
	s_xor_b64 s[26:27], s[90:91], -1
	s_and_saveexec_b64 s[88:89], s[26:27]
	s_xor_b64 s[26:27], exec, s[88:89]
	s_cbranch_execz .LBB12_3456
; %bb.3455:                             ;   in Loop: Header=BB12_3444 Depth=2
	ds_write_b32 v0, v0
	s_trap 2
	buffer_load_dword v0, off, s[0:3], s33 offset:156 ; 4-byte Folded Reload
	s_waitcnt vmcnt(0)
	v_or_b32_e32 v0, 64, v0
	buffer_store_dword v0, off, s[0:3], s33 offset:156 ; 4-byte Folded Spill
.LBB12_3456:                            ;   in Loop: Header=BB12_3444 Depth=2
	s_or_b64 exec, exec, s[26:27]
.LBB12_3457:                            ;   in Loop: Header=BB12_3444 Depth=2
	s_or_b64 exec, exec, s[78:79]
	;;#ASMSTART
	s_wakeup
	;;#ASMEND
	buffer_load_dword v0, off, s[0:3], s33 offset:156 ; 4-byte Folded Reload
	buffer_load_dword v3, off, s[0:3], s33 offset:256 ; 4-byte Folded Reload
	;; [unrolled: 1-line block ×3, first 2 shown]
	s_mov_b64 s[26:27], -1
	s_waitcnt vmcnt(0)
	v_and_b32_e32 v0, 0x100, v0
	v_cmp_ne_u32_e32 vcc, 0, v0
	v_and_b32_e32 v0, 7, v3
                                        ; implicit-def: $vgpr3_vgpr4
	s_and_saveexec_b64 s[78:79], vcc
	s_cbranch_execz .LBB12_3461
; %bb.3458:                             ;   in Loop: Header=BB12_3444 Depth=2
	buffer_load_dword v3, off, s[0:3], s33 offset:412 ; 4-byte Folded Reload
	buffer_load_dword v4, off, s[0:3], s33 offset:416 ; 4-byte Folded Reload
	;; [unrolled: 1-line block ×4, first 2 shown]
	s_waitcnt vmcnt(0)
	v_mad_u64_u32 v[5:6], s[26:27], v0, 24, v[3:4]
	flat_load_dword v3, v[5:6]
	s_waitcnt vmcnt(0) lgkmcnt(0)
	v_cmp_ne_u32_e32 vcc, 1, v3
	v_cmp_eq_u32_e64 s[26:27], 1, v3
                                        ; implicit-def: $vgpr3_vgpr4
	s_and_saveexec_b64 s[88:89], s[26:27]
	s_cbranch_execz .LBB12_3460
; %bb.3459:                             ;   in Loop: Header=BB12_3444 Depth=2
	flat_load_dword v3, v[5:6] offset:4 glc
	s_waitcnt vmcnt(0) lgkmcnt(0)
	v_ashrrev_i32_e32 v4, 31, v3
	v_lshrrev_b64 v[3:4], 1, v[3:4]
.LBB12_3460:                            ;   in Loop: Header=BB12_3444 Depth=2
	s_or_b64 exec, exec, s[88:89]
	s_orn2_b64 s[26:27], vcc, exec
.LBB12_3461:                            ;   in Loop: Header=BB12_3444 Depth=2
	s_or_b64 exec, exec, s[78:79]
	s_and_saveexec_b64 s[78:79], s[26:27]
	s_cbranch_execz .LBB12_3463
; %bb.3462:                             ;   in Loop: Header=BB12_3444 Depth=2
	buffer_load_dword v3, off, s[0:3], s33 offset:436 ; 4-byte Folded Reload
	s_waitcnt vmcnt(0)
	v_mad_i64_i32 v[3:4], s[26:27], v0, v3, 0
.LBB12_3463:                            ;   in Loop: Header=BB12_3444 Depth=2
	s_or_b64 exec, exec, s[78:79]
	buffer_load_dword v5, off, s[0:3], s33 offset:404 ; 4-byte Folded Reload
	buffer_load_dword v6, off, s[0:3], s33 offset:408 ; 4-byte Folded Reload
	v_lshlrev_b64 v[3:4], 1, v[3:4]
	s_waitcnt vmcnt(0)
	v_add_co_u32_e32 v3, vcc, v5, v3
	v_addc_co_u32_e32 v4, vcc, v6, v4, vcc
	ds_write_b64 v0, v[3:4] offset:720
	buffer_load_dword v0, off, s[0:3], s33 offset:156 ; 4-byte Folded Reload
	s_waitcnt vmcnt(0)
	v_and_b32_e32 v0, 0x2000, v0
	v_cmp_ne_u32_e32 vcc, 0, v0
	s_and_saveexec_b64 s[26:27], vcc
	s_cbranch_execz .LBB12_3465
; %bb.3464:                             ;   in Loop: Header=BB12_3444 Depth=2
	ds_read_b64 v[3:4], v0 offset:872
	s_waitcnt lgkmcnt(0)
	v_add_co_u32_e32 v3, vcc, 1, v3
	v_addc_co_u32_e32 v4, vcc, 0, v4, vcc
	ds_write_b64 v0, v[3:4] offset:872
.LBB12_3465:                            ;   in Loop: Header=BB12_3444 Depth=2
	s_or_b64 exec, exec, s[26:27]
	buffer_store_dword v1, off, s[0:3], s33 offset:256 ; 4-byte Folded Spill
	s_nop 0
	buffer_store_dword v2, off, s[0:3], s33 offset:260 ; 4-byte Folded Spill
.LBB12_3466:                            ;   in Loop: Header=BB12_3444 Depth=2
	s_or_b64 exec, exec, s[44:45]
	s_xor_b64 s[26:27], s[42:43], -1
	s_and_b64 s[26:27], exec, s[26:27]
	s_or_b64 s[40:41], s[26:27], s[40:41]
	s_and_saveexec_b64 s[26:27], s[10:11]
	s_cbranch_execz .LBB12_3485
; %bb.3467:                             ;   in Loop: Header=BB12_3444 Depth=2
	s_and_saveexec_b64 s[42:43], s[58:59]
	s_xor_b64 s[42:43], exec, s[42:43]
	s_cbranch_execz .LBB12_3482
; %bb.3468:                             ;   in Loop: Header=BB12_3444 Depth=2
	s_and_saveexec_b64 s[44:45], s[16:17]
	s_cbranch_execz .LBB12_3481
; %bb.3469:                             ;   in Loop: Header=BB12_3444 Depth=2
	s_mov_b64 s[88:89], exec
	v_mbcnt_lo_u32_b32 v0, s88, 0
	v_mbcnt_hi_u32_b32 v0, s89, v0
	v_cmp_eq_u32_e32 vcc, 0, v0
	s_waitcnt vmcnt(0) lgkmcnt(0)
	buffer_wbinvl1_vol
	s_and_saveexec_b64 s[78:79], vcc
	s_cbranch_execz .LBB12_3471
; %bb.3470:                             ;   in Loop: Header=BB12_3444 Depth=2
	buffer_load_dword v1, off, s[0:3], s33 offset:128 ; 4-byte Folded Reload
	buffer_load_dword v2, off, s[0:3], s33 offset:132 ; 4-byte Folded Reload
	s_bcnt1_i32_b64 s9, s[88:89]
	v_mov_b32_e32 v0, s9
	s_waitcnt vmcnt(1)
	ds_add_u64 v0, v[0:1]
	s_trap 2
.LBB12_3471:                            ;   in Loop: Header=BB12_3444 Depth=2
	s_or_b64 exec, exec, s[78:79]
	s_trap 2
	ds_read_b64 v[0:1], v0
	s_waitcnt lgkmcnt(0)
	buffer_load_dword v2, off, s[0:3], s33 offset:152 ; 4-byte Folded Reload
	buffer_load_dword v3, off, s[0:3], s33 offset:160 ; 4-byte Folded Reload
	;; [unrolled: 1-line block ×3, first 2 shown]
	s_waitcnt vmcnt(1)
	v_add_co_u32_e32 v3, vcc, v3, v2
	s_waitcnt vmcnt(0)
	v_addc_co_u32_e32 v4, vcc, 0, v4, vcc
	buffer_store_dword v3, off, s[0:3], s33 offset:160 ; 4-byte Folded Spill
	s_nop 0
	buffer_store_dword v4, off, s[0:3], s33 offset:164 ; 4-byte Folded Spill
	v_cmp_lt_u64_e32 vcc, v[0:1], v[3:4]
	s_and_saveexec_b64 s[78:79], vcc
	s_cbranch_execz .LBB12_3480
; %bb.3472:                             ;   in Loop: Header=BB12_3444 Depth=2
	s_mov_b32 s9, 0
	s_mov_b64 s[88:89], 0
                                        ; implicit-def: $sgpr90_sgpr91
                                        ; implicit-def: $sgpr92_sgpr93
	s_branch .LBB12_3474
.LBB12_3473:                            ;   in Loop: Header=BB12_3474 Depth=3
	s_or_b64 exec, exec, s[30:31]
	s_and_b64 s[94:95], exec, vcc
	s_or_b64 s[88:89], s[94:95], s[88:89]
	s_andn2_b64 s[90:91], s[90:91], exec
	s_and_b64 s[94:95], s[92:93], exec
	s_or_b64 s[90:91], s[90:91], s[94:95]
	s_andn2_b64 exec, exec, s[88:89]
	s_cbranch_execz .LBB12_3478
.LBB12_3474:                            ;   Parent Loop BB12_47 Depth=1
                                        ;     Parent Loop BB12_3444 Depth=2
                                        ; =>    This Inner Loop Header: Depth=3
	s_add_i32 s9, s9, 1
	s_cmpk_lg_i32 s9, 0x2710
	s_cselect_b64 s[94:95], -1, 0
	s_and_b64 vcc, exec, s[94:95]
	s_cbranch_vccz .LBB12_3476
; %bb.3475:                             ;   in Loop: Header=BB12_3474 Depth=3
	s_mov_b64 vcc, -1
	s_or_b64 s[92:93], s[92:93], exec
	s_and_saveexec_b64 s[30:31], s[94:95]
	s_cbranch_execz .LBB12_3473
	s_branch .LBB12_3477
.LBB12_3476:                            ;   in Loop: Header=BB12_3474 Depth=3
	s_trap 2
	ds_read_b64 v[0:1], v0
	s_andn2_b64 s[94:95], s[94:95], exec
	s_mov_b32 s9, 0
	s_waitcnt vmcnt(0) lgkmcnt(0)
	flat_load_dword v0, v[0:1] glc
	s_waitcnt vmcnt(0) lgkmcnt(0)
	buffer_wbinvl1_vol
	v_cmp_eq_u32_e32 vcc, 0, v0
	s_and_b64 vcc, vcc, exec
	s_or_b64 s[94:95], s[94:95], vcc
	s_mov_b64 vcc, -1
	s_or_b64 s[92:93], s[92:93], exec
	s_and_saveexec_b64 s[30:31], s[94:95]
	s_cbranch_execz .LBB12_3473
.LBB12_3477:                            ;   in Loop: Header=BB12_3474 Depth=3
	s_sleep 1
	s_trap 2
	ds_read_b64 v[0:1], v0
	s_waitcnt lgkmcnt(0)
	buffer_load_dword v2, off, s[0:3], s33 offset:160 ; 4-byte Folded Reload
	buffer_load_dword v3, off, s[0:3], s33 offset:164 ; 4-byte Folded Reload
	s_andn2_b64 s[92:93], s[92:93], exec
	s_waitcnt vmcnt(0)
	v_cmp_ge_u64_e32 vcc, v[0:1], v[2:3]
	s_orn2_b64 vcc, vcc, exec
	s_branch .LBB12_3473
.LBB12_3478:                            ;   in Loop: Header=BB12_3444 Depth=2
	s_or_b64 exec, exec, s[88:89]
	s_and_saveexec_b64 s[88:89], s[90:91]
	s_xor_b64 s[88:89], exec, s[88:89]
	s_cbranch_execz .LBB12_3480
; %bb.3479:                             ;   in Loop: Header=BB12_3444 Depth=2
	v_mov_b32_e32 v0, 1
	ds_write_b32 v0, v0
	s_trap 2
.LBB12_3480:                            ;   in Loop: Header=BB12_3444 Depth=2
	s_or_b64 exec, exec, s[78:79]
	;;#ASMSTART
	s_wakeup
	;;#ASMEND
.LBB12_3481:                            ;   in Loop: Header=BB12_3444 Depth=2
	s_or_b64 exec, exec, s[44:45]
.LBB12_3482:                            ;   in Loop: Header=BB12_3444 Depth=2
	s_andn2_saveexec_b64 s[42:43], s[42:43]
	s_cbranch_execz .LBB12_3484
; %bb.3483:                             ;   in Loop: Header=BB12_3444 Depth=2
	s_waitcnt vmcnt(0) lgkmcnt(0)
	buffer_wbinvl1_vol
	s_barrier
.LBB12_3484:                            ;   in Loop: Header=BB12_3444 Depth=2
	s_or_b64 exec, exec, s[42:43]
.LBB12_3485:                            ;   in Loop: Header=BB12_3444 Depth=2
	s_or_b64 exec, exec, s[26:27]
	v_sub_u32_e32 v0, v51, v53
	v_min_i32_e32 v52, v52, v0
	s_and_saveexec_b64 s[26:27], s[24:25]
	s_xor_b64 s[26:27], exec, s[26:27]
	s_cbranch_execz .LBB12_3489
; %bb.3486:                             ;   in Loop: Header=BB12_3444 Depth=2
	s_trap 2
	ds_read_b32 v0, v0
	v_cmp_lt_i32_e32 vcc, 0, v52
	s_waitcnt lgkmcnt(0)
	v_readfirstlane_b32 s9, v0
	buffer_load_dword v0, off, s[0:3], s33 offset:156 ; 4-byte Folded Reload
	s_cmp_eq_u32 s9, 0
	s_cselect_b64 s[42:43], -1, 0
	s_and_b64 s[42:43], vcc, s[42:43]
	s_waitcnt vmcnt(0)
	v_and_b32_e32 v0, 16, v0
	v_cmp_ne_u32_e32 vcc, 0, v0
	s_and_b64 s[44:45], vcc, s[42:43]
	s_and_saveexec_b64 s[42:43], s[44:45]
	s_cbranch_execz .LBB12_3488
; %bb.3487:                             ;   in Loop: Header=BB12_3444 Depth=2
	buffer_wbinvl1_vol
.LBB12_3488:                            ;   in Loop: Header=BB12_3444 Depth=2
	s_or_b64 exec, exec, s[42:43]
.LBB12_3489:                            ;   in Loop: Header=BB12_3444 Depth=2
	s_andn2_saveexec_b64 s[26:27], s[26:27]
	s_cbranch_execz .LBB12_3508
; %bb.3490:                             ;   in Loop: Header=BB12_3444 Depth=2
	s_and_saveexec_b64 s[42:43], s[58:59]
	s_xor_b64 s[42:43], exec, s[42:43]
	s_cbranch_execz .LBB12_3505
; %bb.3491:                             ;   in Loop: Header=BB12_3444 Depth=2
	s_and_saveexec_b64 s[44:45], s[16:17]
	s_cbranch_execz .LBB12_3504
; %bb.3492:                             ;   in Loop: Header=BB12_3444 Depth=2
	s_mov_b64 s[88:89], exec
	v_mbcnt_lo_u32_b32 v0, s88, 0
	v_mbcnt_hi_u32_b32 v0, s89, v0
	v_cmp_eq_u32_e32 vcc, 0, v0
	;;#ASMSTART
	s_waitcnt lgkmcnt(0) vmcnt(0)
	;;#ASMEND
	s_and_saveexec_b64 s[78:79], vcc
	s_cbranch_execz .LBB12_3494
; %bb.3493:                             ;   in Loop: Header=BB12_3444 Depth=2
	buffer_load_dword v1, off, s[0:3], s33 offset:128 ; 4-byte Folded Reload
	buffer_load_dword v2, off, s[0:3], s33 offset:132 ; 4-byte Folded Reload
	s_bcnt1_i32_b64 s9, s[88:89]
	v_mov_b32_e32 v0, s9
	s_waitcnt vmcnt(0) lgkmcnt(0)
	ds_add_u64 v0, v[0:1]
	s_trap 2
.LBB12_3494:                            ;   in Loop: Header=BB12_3444 Depth=2
	s_or_b64 exec, exec, s[78:79]
	s_trap 2
	ds_read_b64 v[0:1], v0
	s_waitcnt lgkmcnt(0)
	buffer_load_dword v2, off, s[0:3], s33 offset:152 ; 4-byte Folded Reload
	buffer_load_dword v3, off, s[0:3], s33 offset:160 ; 4-byte Folded Reload
	;; [unrolled: 1-line block ×3, first 2 shown]
	s_waitcnt vmcnt(1)
	v_add_co_u32_e32 v3, vcc, v3, v2
	s_waitcnt vmcnt(0)
	v_addc_co_u32_e32 v4, vcc, 0, v4, vcc
	buffer_store_dword v3, off, s[0:3], s33 offset:160 ; 4-byte Folded Spill
	s_nop 0
	buffer_store_dword v4, off, s[0:3], s33 offset:164 ; 4-byte Folded Spill
	v_cmp_lt_u64_e32 vcc, v[0:1], v[3:4]
	s_and_saveexec_b64 s[78:79], vcc
	s_cbranch_execz .LBB12_3503
; %bb.3495:                             ;   in Loop: Header=BB12_3444 Depth=2
	s_mov_b32 s9, 0
	s_mov_b64 s[88:89], 0
                                        ; implicit-def: $sgpr90_sgpr91
                                        ; implicit-def: $sgpr92_sgpr93
	s_branch .LBB12_3497
.LBB12_3496:                            ;   in Loop: Header=BB12_3497 Depth=3
	s_or_b64 exec, exec, s[30:31]
	s_and_b64 s[94:95], exec, vcc
	s_or_b64 s[88:89], s[94:95], s[88:89]
	s_andn2_b64 s[90:91], s[90:91], exec
	s_and_b64 s[94:95], s[92:93], exec
	s_or_b64 s[90:91], s[90:91], s[94:95]
	s_andn2_b64 exec, exec, s[88:89]
	s_cbranch_execz .LBB12_3501
.LBB12_3497:                            ;   Parent Loop BB12_47 Depth=1
                                        ;     Parent Loop BB12_3444 Depth=2
                                        ; =>    This Inner Loop Header: Depth=3
	s_add_i32 s9, s9, 1
	s_cmpk_lg_i32 s9, 0x2710
	s_cselect_b64 s[94:95], -1, 0
	s_and_b64 vcc, exec, s[94:95]
	s_cbranch_vccz .LBB12_3499
; %bb.3498:                             ;   in Loop: Header=BB12_3497 Depth=3
	s_mov_b64 vcc, -1
	s_or_b64 s[92:93], s[92:93], exec
	s_and_saveexec_b64 s[30:31], s[94:95]
	s_cbranch_execz .LBB12_3496
	s_branch .LBB12_3500
.LBB12_3499:                            ;   in Loop: Header=BB12_3497 Depth=3
	s_trap 2
	ds_read_b64 v[0:1], v0
	s_andn2_b64 s[94:95], s[94:95], exec
	s_mov_b32 s9, 0
	s_waitcnt vmcnt(0) lgkmcnt(0)
	flat_load_dword v0, v[0:1] glc
	s_waitcnt vmcnt(0) lgkmcnt(0)
	buffer_wbinvl1_vol
	v_cmp_eq_u32_e32 vcc, 0, v0
	s_and_b64 vcc, vcc, exec
	s_or_b64 s[94:95], s[94:95], vcc
	s_mov_b64 vcc, -1
	s_or_b64 s[92:93], s[92:93], exec
	s_and_saveexec_b64 s[30:31], s[94:95]
	s_cbranch_execz .LBB12_3496
.LBB12_3500:                            ;   in Loop: Header=BB12_3497 Depth=3
	s_sleep 1
	s_trap 2
	ds_read_b64 v[0:1], v0
	s_waitcnt lgkmcnt(0)
	buffer_load_dword v2, off, s[0:3], s33 offset:160 ; 4-byte Folded Reload
	buffer_load_dword v3, off, s[0:3], s33 offset:164 ; 4-byte Folded Reload
	s_andn2_b64 s[92:93], s[92:93], exec
	s_waitcnt vmcnt(0)
	v_cmp_ge_u64_e32 vcc, v[0:1], v[2:3]
	s_orn2_b64 vcc, vcc, exec
	s_branch .LBB12_3496
.LBB12_3501:                            ;   in Loop: Header=BB12_3444 Depth=2
	s_or_b64 exec, exec, s[88:89]
	s_and_saveexec_b64 s[88:89], s[90:91]
	s_xor_b64 s[88:89], exec, s[88:89]
	s_cbranch_execz .LBB12_3503
; %bb.3502:                             ;   in Loop: Header=BB12_3444 Depth=2
	v_mov_b32_e32 v0, 1
	ds_write_b32 v0, v0
	s_trap 2
.LBB12_3503:                            ;   in Loop: Header=BB12_3444 Depth=2
	s_or_b64 exec, exec, s[78:79]
	;;#ASMSTART
	s_wakeup
	;;#ASMEND
.LBB12_3504:                            ;   in Loop: Header=BB12_3444 Depth=2
	s_or_b64 exec, exec, s[44:45]
.LBB12_3505:                            ;   in Loop: Header=BB12_3444 Depth=2
	s_andn2_saveexec_b64 s[42:43], s[42:43]
	s_cbranch_execz .LBB12_3507
; %bb.3506:                             ;   in Loop: Header=BB12_3444 Depth=2
	;;#ASMSTART
	s_waitcnt lgkmcnt(0) vmcnt(0)
	;;#ASMEND
	s_waitcnt vmcnt(0) lgkmcnt(0)
	s_barrier
.LBB12_3507:                            ;   in Loop: Header=BB12_3444 Depth=2
	s_or_b64 exec, exec, s[42:43]
.LBB12_3508:                            ;   in Loop: Header=BB12_3444 Depth=2
	s_or_b64 exec, exec, s[26:27]
	buffer_load_dword v0, off, s[0:3], s33 offset:156 ; 4-byte Folded Reload
	s_waitcnt vmcnt(0)
	v_and_b32_e32 v0, 32, v0
	v_cmp_ne_u32_e32 vcc, 0, v0
	s_and_saveexec_b64 s[26:27], vcc
	s_cbranch_execz .LBB12_3443
; %bb.3509:                             ;   in Loop: Header=BB12_3444 Depth=2
	buffer_load_dword v2, off, s[0:3], s33 offset:256 ; 4-byte Folded Reload
	buffer_load_dword v3, off, s[0:3], s33 offset:260 ; 4-byte Folded Reload
	;; [unrolled: 1-line block ×4, first 2 shown]
	s_waitcnt vmcnt(0)
	v_add_co_u32_e32 v2, vcc, 2, v2
	v_addc_co_u32_e32 v3, vcc, 0, v3, vcc
	buffer_store_dword v2, off, s[0:3], s33 offset:256 ; 4-byte Folded Spill
	s_nop 0
	buffer_store_dword v3, off, s[0:3], s33 offset:260 ; 4-byte Folded Spill
	flat_store_dwordx2 v[0:1], v[2:3]
	s_branch .LBB12_3443
.LBB12_3510:
	s_or_b64 exec, exec, s[60:61]
	v_readlane_b32 s28, v62, 4
	v_readlane_b32 s29, v62, 5
.LBB12_3511:
	v_readlane_b32 s4, v62, 2
	v_readlane_b32 s5, v62, 3
	s_or_b64 exec, exec, s[4:5]
	buffer_load_dword v1, off, s[0:3], s33 offset:156 ; 4-byte Folded Reload
	s_waitcnt vmcnt(0)
	v_and_b32_e32 v0, 0x800, v1
	v_cmp_eq_u32_e32 vcc, 0, v0
	s_and_saveexec_b64 s[6:7], vcc
	s_cbranch_execz .LBB12_3544
; %bb.3512:
	v_and_b32_e32 v0, 48, v1
	v_cmp_ne_u32_e32 vcc, 0, v0
	s_and_saveexec_b64 s[4:5], vcc
	s_cbranch_execz .LBB12_3514
; %bb.3513:
	buffer_load_dword v0, off, s[0:3], s33 offset:644 ; 4-byte Folded Reload
	buffer_load_dword v1, off, s[0:3], s33 offset:648 ; 4-byte Folded Reload
	buffer_load_dword v2, off, s[0:3], s33 offset:256 ; 4-byte Folded Reload
	buffer_load_dword v3, off, s[0:3], s33 offset:260 ; 4-byte Folded Reload
	s_waitcnt vmcnt(0)
	flat_store_dwordx2 v[0:1], v[2:3] offset:104
.LBB12_3514:
	s_or_b64 exec, exec, s[4:5]
	buffer_load_dword v5, off, s[0:3], s33 offset:156 ; 4-byte Folded Reload
	s_movk_i32 s4, 0x88
	s_waitcnt vmcnt(0)
	v_and_b32_e32 v0, 0x88, v5
	v_cmp_eq_u32_e32 vcc, s4, v0
	s_and_saveexec_b64 s[10:11], vcc
	s_cbranch_execz .LBB12_3524
; %bb.3515:
	buffer_load_dword v0, off, s[0:3], s33 offset:256 ; 4-byte Folded Reload
	buffer_load_dword v1, off, s[0:3], s33 offset:260 ; 4-byte Folded Reload
	;; [unrolled: 1-line block ×6, first 2 shown]
	s_waitcnt vmcnt(0)
	v_and_b32_e32 v4, 64, v5
	s_mov_b32 s8, 0
	v_add_u32_e32 v0, 6, v0
	v_and_b32_e32 v0, 7, v0
	v_mad_u64_u32 v[0:1], s[4:5], v0, 24, v[1:2]
	v_cmp_eq_u32_e64 s[4:5], 0, v4
	flat_load_dwordx2 v[2:3], v[0:1] offset:8 glc
	s_waitcnt vmcnt(0) lgkmcnt(0)
	v_cmp_ne_u64_e32 vcc, -1, v[2:3]
	s_and_b64 s[4:5], vcc, s[4:5]
	s_and_b64 exec, exec, s[4:5]
	s_cbranch_execz .LBB12_3524
; %bb.3516:
	s_mov_b64 s[4:5], 0
                                        ; implicit-def: $sgpr12_sgpr13
                                        ; implicit-def: $sgpr14_sgpr15
	s_branch .LBB12_3519
.LBB12_3517:                            ;   in Loop: Header=BB12_3519 Depth=1
	flat_load_dwordx2 v[3:4], v[0:1] offset:8 glc
	s_waitcnt vmcnt(0)
	s_andn2_b64 s[14:15], s[14:15], exec
	s_waitcnt lgkmcnt(0)
	v_cmp_eq_u64_e32 vcc, -1, v[3:4]
	s_orn2_b64 s[18:19], vcc, exec
.LBB12_3518:                            ;   in Loop: Header=BB12_3519 Depth=1
	s_or_b64 exec, exec, s[20:21]
	s_and_b64 s[16:17], exec, s[18:19]
	s_or_b64 s[4:5], s[16:17], s[4:5]
	s_andn2_b64 s[12:13], s[12:13], exec
	s_and_b64 s[16:17], s[14:15], exec
	s_or_b64 s[12:13], s[12:13], s[16:17]
	s_andn2_b64 exec, exec, s[4:5]
	s_cbranch_execz .LBB12_3522
.LBB12_3519:                            ; =>This Inner Loop Header: Depth=1
	s_cmpk_lt_i32 s8, 0x270f
	s_cselect_b64 s[16:17], -1, 0
	s_and_b64 vcc, exec, s[16:17]
	s_cbranch_vccnz .LBB12_3521
; %bb.3520:                             ;   in Loop: Header=BB12_3519 Depth=1
	s_trap 2
	ds_read_b64 v[2:3], v0
	s_andn2_b64 s[16:17], s[16:17], exec
	s_mov_b32 s8, 0
	s_waitcnt lgkmcnt(0)
	flat_load_dword v2, v[2:3] glc
	s_waitcnt vmcnt(0) lgkmcnt(0)
	buffer_wbinvl1_vol
	v_cmp_eq_u32_e32 vcc, 0, v2
	s_and_b64 s[18:19], vcc, exec
	s_or_b64 s[16:17], s[16:17], s[18:19]
	s_mov_b64 s[18:19], -1
	s_or_b64 s[14:15], s[14:15], exec
	s_and_saveexec_b64 s[20:21], s[16:17]
	s_cbranch_execz .LBB12_3518
	s_branch .LBB12_3517
.LBB12_3521:                            ;   in Loop: Header=BB12_3519 Depth=1
	s_add_i32 s8, s8, 1
                                        ; implicit-def: $vgpr2
	s_mov_b64 s[18:19], -1
	s_or_b64 s[14:15], s[14:15], exec
	s_and_saveexec_b64 s[20:21], s[16:17]
	s_cbranch_execz .LBB12_3518
	s_branch .LBB12_3517
.LBB12_3522:
	s_or_b64 exec, exec, s[4:5]
	s_mov_b64 s[4:5], exec
	buffer_load_dword v5, off, s[0:3], s33 offset:156 ; 4-byte Folded Reload
	s_and_b64 s[8:9], s[4:5], s[12:13]
	s_xor_b64 s[4:5], s[8:9], s[4:5]
	s_mov_b64 exec, s[8:9]
	s_cbranch_execz .LBB12_3524
; %bb.3523:
	ds_write_b32 v0, v2
	s_trap 2
.LBB12_3524:
	s_or_b64 exec, exec, s[10:11]
	s_waitcnt vmcnt(0)
	v_and_b32_e32 v0, 0x2000, v5
	v_cmp_ne_u32_e32 vcc, 0, v0
	s_and_saveexec_b64 s[4:5], vcc
	s_cbranch_execz .LBB12_3526
; %bb.3525:
	s_trap 2
	ds_read_b64 v[0:1], v0
	buffer_load_dword v2, off, s[0:3], s33 offset:660 ; 4-byte Folded Reload
	buffer_load_dword v3, off, s[0:3], s33 offset:664 ; 4-byte Folded Reload
	s_waitcnt vmcnt(0) lgkmcnt(0)
	flat_store_dwordx2 v[2:3], v[0:1] offset:16
.LBB12_3526:
	s_or_b64 exec, exec, s[4:5]
	buffer_load_dword v0, off, s[0:3], s33 offset:640 ; 4-byte Folded Reload
	s_waitcnt vmcnt(0)
	v_cmp_ne_u32_e32 vcc, 64, v0
	s_and_b64 exec, exec, vcc
	s_cbranch_execz .LBB12_3544
; %bb.3527:
	buffer_load_dword v0, off, s[0:3], s33 offset:640 ; 4-byte Folded Reload
	buffer_load_dword v1, off, s[0:3], s33 offset:656 ; 4-byte Folded Reload
	s_waitcnt vmcnt(0)
	v_cmp_ne_u32_sdwa s[4:5], v0, v1 src0_sel:DWORD src1_sel:WORD_0
	s_and_saveexec_b64 s[8:9], s[4:5]
	s_xor_b64 s[4:5], exec, s[8:9]
	s_cbranch_execz .LBB12_3542
; %bb.3528:
	buffer_load_dword v0, off, s[0:3], s33 offset:652 ; 4-byte Folded Reload
	s_waitcnt vmcnt(0)
	v_and_b32_e32 v0, 63, v0
	v_cmp_eq_u32_e32 vcc, 0, v0
	s_and_saveexec_b64 s[10:11], vcc
	s_cbranch_execz .LBB12_3541
; %bb.3529:
	s_mov_b64 s[14:15], exec
	v_mbcnt_lo_u32_b32 v0, s14, 0
	v_mbcnt_hi_u32_b32 v0, s15, v0
	v_cmp_eq_u32_e32 vcc, 0, v0
	s_waitcnt lgkmcnt(0)
	buffer_wbinvl1_vol
	s_and_saveexec_b64 s[12:13], vcc
	s_cbranch_execz .LBB12_3531
; %bb.3530:
	s_bcnt1_i32_b64 s8, s[14:15]
	v_mov_b32_e32 v0, s8
	v_mov_b32_e32 v1, 0
	ds_add_u64 v0, v[0:1]
	s_trap 2
.LBB12_3531:
	s_or_b64 exec, exec, s[12:13]
	buffer_load_dword v0, off, s[0:3], s33 offset:640 ; 4-byte Folded Reload
	s_trap 2
	s_waitcnt vmcnt(0)
	v_lshrrev_b32_e32 v0, 6, v0
	ds_read_b64 v[2:3], v0
	s_waitcnt lgkmcnt(0)
	buffer_load_dword v4, off, s[0:3], s33 offset:160 ; 4-byte Folded Reload
	buffer_load_dword v5, off, s[0:3], s33 offset:164 ; 4-byte Folded Reload
	s_waitcnt vmcnt(1)
	v_add_co_u32_e32 v0, vcc, v4, v0
	s_waitcnt vmcnt(0)
	v_addc_co_u32_e32 v1, vcc, 0, v5, vcc
	v_cmp_lt_u64_e32 vcc, v[2:3], v[0:1]
	s_and_saveexec_b64 s[12:13], vcc
	s_cbranch_execz .LBB12_3540
; %bb.3532:
	s_mov_b32 s8, 0
	s_mov_b64 s[14:15], 0
                                        ; implicit-def: $sgpr16_sgpr17
                                        ; implicit-def: $sgpr18_sgpr19
	s_branch .LBB12_3534
.LBB12_3533:                            ;   in Loop: Header=BB12_3534 Depth=1
	s_or_b64 exec, exec, s[22:23]
	s_and_b64 s[20:21], exec, s[24:25]
	s_or_b64 s[14:15], s[20:21], s[14:15]
	s_andn2_b64 s[16:17], s[16:17], exec
	s_and_b64 s[20:21], s[18:19], exec
	s_or_b64 s[16:17], s[16:17], s[20:21]
	s_andn2_b64 exec, exec, s[14:15]
	s_cbranch_execz .LBB12_3538
.LBB12_3534:                            ; =>This Inner Loop Header: Depth=1
	s_add_i32 s8, s8, 1
	s_cmpk_lg_i32 s8, 0x2710
	s_cselect_b64 s[20:21], -1, 0
	s_and_b64 vcc, exec, s[20:21]
	s_cbranch_vccz .LBB12_3536
; %bb.3535:                             ;   in Loop: Header=BB12_3534 Depth=1
	s_mov_b64 s[24:25], -1
	s_or_b64 s[18:19], s[18:19], exec
	s_and_saveexec_b64 s[22:23], s[20:21]
	s_cbranch_execz .LBB12_3533
	s_branch .LBB12_3537
.LBB12_3536:                            ;   in Loop: Header=BB12_3534 Depth=1
	s_trap 2
	ds_read_b64 v[2:3], v0
	s_andn2_b64 s[20:21], s[20:21], exec
	s_mov_b32 s8, 0
	s_waitcnt lgkmcnt(0)
	flat_load_dword v2, v[2:3] glc
	s_waitcnt vmcnt(0) lgkmcnt(0)
	buffer_wbinvl1_vol
	v_cmp_eq_u32_e32 vcc, 0, v2
	s_and_b64 s[22:23], vcc, exec
	s_or_b64 s[20:21], s[20:21], s[22:23]
	s_mov_b64 s[24:25], -1
	s_or_b64 s[18:19], s[18:19], exec
	s_and_saveexec_b64 s[22:23], s[20:21]
	s_cbranch_execz .LBB12_3533
.LBB12_3537:                            ;   in Loop: Header=BB12_3534 Depth=1
	s_sleep 1
	s_trap 2
	ds_read_b64 v[2:3], v0
	s_waitcnt lgkmcnt(0)
	s_andn2_b64 s[18:19], s[18:19], exec
	v_cmp_ge_u64_e32 vcc, v[2:3], v[0:1]
	s_orn2_b64 s[24:25], vcc, exec
	s_branch .LBB12_3533
.LBB12_3538:
	s_or_b64 exec, exec, s[14:15]
	s_and_saveexec_b64 s[8:9], s[16:17]
	s_xor_b64 s[8:9], exec, s[8:9]
	s_cbranch_execz .LBB12_3540
; %bb.3539:
	v_mov_b32_e32 v0, 1
	ds_write_b32 v0, v0
	s_trap 2
.LBB12_3540:
	s_or_b64 exec, exec, s[12:13]
	;;#ASMSTART
	s_wakeup
	;;#ASMEND
.LBB12_3541:
	s_or_b64 exec, exec, s[10:11]
.LBB12_3542:
	s_andn2_saveexec_b64 s[4:5], s[4:5]
	s_cbranch_execz .LBB12_3544
; %bb.3543:
	s_waitcnt lgkmcnt(0)
	buffer_wbinvl1_vol
	s_barrier
.LBB12_3544:
	s_or_b64 exec, exec, s[6:7]
.LBB12_3545:
	v_readlane_b32 s4, v62, 0
	v_readlane_b32 s5, v62, 1
	s_andn2_saveexec_b64 s[26:27], s[4:5]
	s_cbranch_execz .LBB12_3547
; %bb.3546:
	s_getpc_b64 s[4:5]
	s_add_u32 s4, s4, __PRETTY_FUNCTION__._ZN10PrimitivesI12hip_bfloat1610FuncMinMaxIS0_E12FanSymmetricILi1EELi0E11ProtoSimpleILi2ELi2ELi0ELi4ELi0ELi0EELi0ELb0ELi0ELi1ELi0EEC2EiiPKiS9_PKvPvmhhhP15ncclDevWorkCollP14ncclDevWorkP2pii@rel32@lo+4
	s_addc_u32 s5, s5, __PRETTY_FUNCTION__._ZN10PrimitivesI12hip_bfloat1610FuncMinMaxIS0_E12FanSymmetricILi1EELi0E11ProtoSimpleILi2ELi2ELi0ELi4ELi0ELi0EELi0ELb0ELi0ELi1ELi0EEC2EiiPKiS9_PKvPvmhhhP15ncclDevWorkCollP14ncclDevWorkP2pii@rel32@hi+12
	s_getpc_b64 s[6:7]
	s_add_u32 s6, s6, __assert_fail@rel32@lo+4
	s_addc_u32 s7, s7, __assert_fail@rel32@hi+12
	s_mov_b64 s[8:9], s[28:29]
	v_mov_b32_e32 v0, s4
	v_mov_b32_e32 v1, s5
	s_swappc_b64 s[30:31], s[6:7]
	; divergent unreachable
.LBB12_3547:
	s_or_b64 exec, exec, s[26:27]
	buffer_load_dword v61, off, s[0:3], s33 ; 4-byte Folded Reload
	buffer_load_dword v60, off, s[0:3], s33 offset:4 ; 4-byte Folded Reload
	buffer_load_dword v59, off, s[0:3], s33 offset:8 ; 4-byte Folded Reload
	;; [unrolled: 1-line block ×13, first 2 shown]
	v_readlane_b32 s30, v63, 32
	v_readlane_b32 s31, v63, 33
	;; [unrolled: 1-line block ×34, first 2 shown]
	s_mov_b32 s32, s33
	v_readlane_b32 s4, v63, 34
	s_or_saveexec_b64 s[6:7], -1
	buffer_load_dword v63, off, s[0:3], s33 offset:668 ; 4-byte Folded Reload
	buffer_load_dword v62, off, s[0:3], s33 offset:672 ; 4-byte Folded Reload
	s_mov_b64 exec, s[6:7]
	s_mov_b32 s33, s4
	s_waitcnt vmcnt(0) lgkmcnt(0)
	s_setpc_b64 s[30:31]
.Lfunc_end12:
	.size	_ZN12_GLOBAL__N_17runRingI12hip_bfloat1610FuncMinMaxIS1_E11ProtoSimpleILi2ELi2ELi0ELi4ELi0ELi0EELi0ELi0ELi4ELi1EEEviiP15ncclDevWorkColl, .Lfunc_end12-_ZN12_GLOBAL__N_17runRingI12hip_bfloat1610FuncMinMaxIS1_E11ProtoSimpleILi2ELi2ELi0ELi4ELi0ELi0EELi0ELi0ELi4ELi1EEEviiP15ncclDevWorkColl
                                        ; -- End function
	.set .L_ZN12_GLOBAL__N_17runRingI12hip_bfloat1610FuncMinMaxIS1_E11ProtoSimpleILi2ELi2ELi0ELi4ELi0ELi0EELi0ELi0ELi4ELi1EEEviiP15ncclDevWorkColl.num_vgpr, max(64, .L__assert_fail.num_vgpr)
	.set .L_ZN12_GLOBAL__N_17runRingI12hip_bfloat1610FuncMinMaxIS1_E11ProtoSimpleILi2ELi2ELi0ELi4ELi0ELi0EELi0ELi0ELi4ELi1EEEviiP15ncclDevWorkColl.num_agpr, max(0, .L__assert_fail.num_agpr)
	.set .L_ZN12_GLOBAL__N_17runRingI12hip_bfloat1610FuncMinMaxIS1_E11ProtoSimpleILi2ELi2ELi0ELi4ELi0ELi0EELi0ELi0ELi4ELi1EEEviiP15ncclDevWorkColl.numbered_sgpr, max(100, .L__assert_fail.numbered_sgpr)
	.set .L_ZN12_GLOBAL__N_17runRingI12hip_bfloat1610FuncMinMaxIS1_E11ProtoSimpleILi2ELi2ELi0ELi4ELi0ELi0EELi0ELi0ELi4ELi1EEEviiP15ncclDevWorkColl.num_named_barrier, max(0, .L__assert_fail.num_named_barrier)
	.set .L_ZN12_GLOBAL__N_17runRingI12hip_bfloat1610FuncMinMaxIS1_E11ProtoSimpleILi2ELi2ELi0ELi4ELi0ELi0EELi0ELi0ELi4ELi1EEEviiP15ncclDevWorkColl.private_seg_size, 688+max(.L__assert_fail.private_seg_size)
	.set .L_ZN12_GLOBAL__N_17runRingI12hip_bfloat1610FuncMinMaxIS1_E11ProtoSimpleILi2ELi2ELi0ELi4ELi0ELi0EELi0ELi0ELi4ELi1EEEviiP15ncclDevWorkColl.uses_vcc, or(1, .L__assert_fail.uses_vcc)
	.set .L_ZN12_GLOBAL__N_17runRingI12hip_bfloat1610FuncMinMaxIS1_E11ProtoSimpleILi2ELi2ELi0ELi4ELi0ELi0EELi0ELi0ELi4ELi1EEEviiP15ncclDevWorkColl.uses_flat_scratch, or(0, .L__assert_fail.uses_flat_scratch)
	.set .L_ZN12_GLOBAL__N_17runRingI12hip_bfloat1610FuncMinMaxIS1_E11ProtoSimpleILi2ELi2ELi0ELi4ELi0ELi0EELi0ELi0ELi4ELi1EEEviiP15ncclDevWorkColl.has_dyn_sized_stack, or(0, .L__assert_fail.has_dyn_sized_stack)
	.set .L_ZN12_GLOBAL__N_17runRingI12hip_bfloat1610FuncMinMaxIS1_E11ProtoSimpleILi2ELi2ELi0ELi4ELi0ELi0EELi0ELi0ELi4ELi1EEEviiP15ncclDevWorkColl.has_recursion, or(1, .L__assert_fail.has_recursion)
	.set .L_ZN12_GLOBAL__N_17runRingI12hip_bfloat1610FuncMinMaxIS1_E11ProtoSimpleILi2ELi2ELi0ELi4ELi0ELi0EELi0ELi0ELi4ELi1EEEviiP15ncclDevWorkColl.has_indirect_call, or(0, .L__assert_fail.has_indirect_call)
	.section	.AMDGPU.csdata,"",@progbits
; Function info:
; codeLenInByte = 147496
; TotalNumSgprs: 104
; NumVgprs: 64
; ScratchSize: 752
; MemoryBound: 1
	.text
	.p2align	2                               ; -- Begin function _Z51ncclDevFunc_AllReduce_RING_SIMPLE_MinMax_bf16_0_1_4v
	.type	_Z51ncclDevFunc_AllReduce_RING_SIMPLE_MinMax_bf16_0_1_4v,@function
_Z51ncclDevFunc_AllReduce_RING_SIMPLE_MinMax_bf16_0_1_4v: ; @_Z51ncclDevFunc_AllReduce_RING_SIMPLE_MinMax_bf16_0_1_4v
; %bb.0:
	s_waitcnt vmcnt(0) expcnt(0) lgkmcnt(0)
	s_mov_b32 s4, s33
	s_mov_b32 s33, s32
	s_or_saveexec_b64 s[6:7], -1
	buffer_store_dword v43, off, s[0:3], s33 offset:20 ; 4-byte Folded Spill
	buffer_store_dword v44, off, s[0:3], s33 offset:24 ; 4-byte Folded Spill
	s_mov_b64 exec, s[6:7]
	v_writelane_b32 v44, s4, 38
	v_writelane_b32 v44, s100, 36
	;; [unrolled: 1-line block ×3, first 2 shown]
	s_addk_i32 s32, 0x800
	buffer_store_dword v40, off, s[0:3], s33 offset:12 ; 4-byte Folded Spill
	buffer_store_dword v41, off, s[0:3], s33 offset:8 ; 4-byte Folded Spill
	;; [unrolled: 1-line block ×3, first 2 shown]
	buffer_store_dword v62, off, s[0:3], s33 ; 4-byte Folded Spill
	v_writelane_b32 v44, s34, 0
	v_writelane_b32 v44, s35, 1
	;; [unrolled: 1-line block ×36, first 2 shown]
	s_trap 2
	ds_read_b32 v0, v0
	v_mov_b32_e32 v40, v31
                                        ; implicit-def: $vgpr43 : SGPR spill to VGPR lane
	v_and_b32_e32 v41, 0x3ff, v40
	v_writelane_b32 v43, s12, 0
	v_writelane_b32 v43, s8, 1
	s_waitcnt lgkmcnt(0)
	v_cmp_lt_i32_e32 vcc, v41, v0
	v_writelane_b32 v43, s9, 2
	s_and_saveexec_b64 s[4:5], vcc
	s_cbranch_execz .LBB13_5
; %bb.1:
	v_readlane_b32 s8, v43, 1
	v_readlane_b32 s9, v43, 2
	s_load_dword s6, s[8:9], 0x0
	v_readlane_b32 s7, v43, 0
	v_mov_b32_e32 v1, 0
	s_mov_b32 s10, 0
	v_mov_b32_e32 v4, v41
	s_waitcnt lgkmcnt(0)
	s_cmp_lt_u32 s7, s6
	s_cselect_b32 s6, 12, 18
	s_add_u32 s6, s8, s6
	s_addc_u32 s7, s9, 0
	global_load_ushort v1, v1, s[6:7]
	s_trap 2
	ds_read_b32 v2, v0
	s_mov_b64 s[6:7], 0
                                        ; implicit-def: $vgpr3
	s_waitcnt vmcnt(0) lgkmcnt(0)
	v_mul_lo_u32 v2, v2, v1
	s_branch .LBB13_3
.LBB13_2:                               ;   in Loop: Header=BB13_3 Depth=1
	s_or_b64 exec, exec, s[8:9]
	v_add_u32_e32 v4, v4, v1
	v_cmp_ge_i32_e32 vcc, v4, v0
	s_or_b64 s[6:7], vcc, s[6:7]
	v_add_u32_e32 v3, v3, v2
	s_andn2_b64 exec, exec, s[6:7]
	s_cbranch_execz .LBB13_5
.LBB13_3:                               ; =>This Inner Loop Header: Depth=1
	ds_read_b32 v5, v3
	s_waitcnt lgkmcnt(0)
	v_and_b32_e32 v5, 0x1000000, v5
	v_cmp_ne_u32_e32 vcc, 0, v5
	s_and_saveexec_b64 s[8:9], vcc
	s_cbranch_execz .LBB13_2
; %bb.4:                                ;   in Loop: Header=BB13_3 Depth=1
	ds_read_b64 v[5:6], v3 offset:104
	s_waitcnt lgkmcnt(0)
	flat_load_ushort v5, v[5:6]
	v_mov_b32_e32 v6, s10
	s_waitcnt vmcnt(0) lgkmcnt(0)
	v_and_b32_e32 v5, 0xffff, v5
	ds_write_b64 v3, v[5:6] offset:104
	s_branch .LBB13_2
.LBB13_5:
	s_or_b64 exec, exec, s[4:5]
	s_waitcnt vmcnt(0) lgkmcnt(0)
	s_barrier
	s_trap 2
	ds_read_b32 v0, v0
	s_waitcnt lgkmcnt(0)
	v_cmp_gt_i32_e32 vcc, 1, v0
	s_cbranch_vccnz .LBB13_13
; %bb.6:
	s_mov_b32 s6, 0
	v_mov_b32_e32 v42, 6
	s_branch .LBB13_8
.LBB13_7:                               ;   in Loop: Header=BB13_8 Depth=1
	s_or_b64 exec, exec, s[8:9]
	s_trap 2
	ds_read_b32 v0, v0
	s_add_i32 s6, s6, 1
	s_waitcnt lgkmcnt(0)
	v_cmp_lt_i32_e32 vcc, s6, v0
	s_cbranch_vccz .LBB13_13
.LBB13_8:                               ; =>This Inner Loop Header: Depth=1
	s_trap 2
	ds_read_b32 v0, v0
	s_cmp_eq_u32 s6, 0
	s_cbranch_scc1 .LBB13_11
; %bb.9:                                ;   in Loop: Header=BB13_8 Depth=1
	s_trap 2
	s_waitcnt lgkmcnt(0)
	ds_read_b32 v1, v0
	s_waitcnt lgkmcnt(0)
	v_xor_b32_e32 v1, v1, v0
	v_and_b32_e32 v1, 0xff0000, v1
	v_cmp_eq_u32_e32 vcc, 0, v1
	s_cbranch_vccnz .LBB13_11
; %bb.10:                               ;   in Loop: Header=BB13_8 Depth=1
	s_barrier
	ds_read_b32 v0, v0
.LBB13_11:                              ;   in Loop: Header=BB13_8 Depth=1
	s_waitcnt lgkmcnt(0)
	v_lshlrev_b32_sdwa v1, v42, v0 dst_sel:DWORD dst_unused:UNUSED_PAD src0_sel:DWORD src1_sel:BYTE_2
	v_cmp_lt_u32_e32 vcc, v41, v1
	s_and_saveexec_b64 s[8:9], vcc
	s_cbranch_execz .LBB13_7
; %bb.12:                               ;   in Loop: Header=BB13_8 Depth=1
	v_writelane_b32 v43, s6, 3
	v_writelane_b32 v43, s8, 4
	s_mov_b64 s[4:5], src_shared_base
	s_getpc_b64 s[6:7]
	s_add_u32 s6, s6, _ZN12_GLOBAL__N_17runRingI12hip_bfloat1610FuncMinMaxIS1_E11ProtoSimpleILi2ELi2ELi0ELi4ELi0ELi0EELi0ELi0ELi4ELi1EEEviiP15ncclDevWorkColl@rel32@lo+4
	s_addc_u32 s7, s7, _ZN12_GLOBAL__N_17runRingI12hip_bfloat1610FuncMinMaxIS1_E11ProtoSimpleILi2ELi2ELi0ELi4ELi0ELi0EELi0ELi0ELi4ELi1EEEviiP15ncclDevWorkColl@rel32@hi+12
	v_writelane_b32 v43, s9, 5
	s_or_saveexec_b64 s[100:101], -1
	buffer_store_dword v43, off, s[0:3], s33 offset:16 ; 4-byte Folded Spill
	s_mov_b64 exec, s[100:101]
	v_readlane_b32 s8, v43, 1
	v_readlane_b32 s9, v43, 2
	;; [unrolled: 1-line block ×3, first 2 shown]
	v_mov_b32_e32 v31, v40
	v_mov_b32_e32 v0, v41
	;; [unrolled: 1-line block ×3, first 2 shown]
	s_swappc_b64 s[30:31], s[6:7]
	s_or_saveexec_b64 s[100:101], -1
	buffer_load_dword v43, off, s[0:3], s33 offset:16 ; 4-byte Folded Reload
	s_mov_b64 exec, s[100:101]
	s_waitcnt vmcnt(0)
	v_readlane_b32 s8, v43, 4
	v_readlane_b32 s9, v43, 5
	;; [unrolled: 1-line block ×3, first 2 shown]
	s_branch .LBB13_7
.LBB13_13:
	buffer_load_dword v62, off, s[0:3], s33 ; 4-byte Folded Reload
	buffer_load_dword v42, off, s[0:3], s33 offset:4 ; 4-byte Folded Reload
	buffer_load_dword v41, off, s[0:3], s33 offset:8 ; 4-byte Folded Reload
	;; [unrolled: 1-line block ×3, first 2 shown]
	v_readlane_b32 s30, v44, 34
	v_readlane_b32 s31, v44, 35
	;; [unrolled: 1-line block ×36, first 2 shown]
	s_mov_b32 s32, s33
	v_readlane_b32 s4, v44, 38
	v_readlane_b32 s100, v44, 36
	;; [unrolled: 1-line block ×3, first 2 shown]
	s_or_saveexec_b64 s[6:7], -1
	buffer_load_dword v43, off, s[0:3], s33 offset:20 ; 4-byte Folded Reload
	buffer_load_dword v44, off, s[0:3], s33 offset:24 ; 4-byte Folded Reload
	s_mov_b64 exec, s[6:7]
	s_mov_b32 s33, s4
	s_waitcnt vmcnt(0)
	s_setpc_b64 s[30:31]
.Lfunc_end13:
	.size	_Z51ncclDevFunc_AllReduce_RING_SIMPLE_MinMax_bf16_0_1_4v, .Lfunc_end13-_Z51ncclDevFunc_AllReduce_RING_SIMPLE_MinMax_bf16_0_1_4v
                                        ; -- End function
	.set .L_Z51ncclDevFunc_AllReduce_RING_SIMPLE_MinMax_bf16_0_1_4v.num_vgpr, max(63, .L_ZN12_GLOBAL__N_17runRingI12hip_bfloat1610FuncMinMaxIS1_E11ProtoSimpleILi2ELi2ELi0ELi4ELi0ELi0EELi0ELi0ELi4ELi1EEEviiP15ncclDevWorkColl.num_vgpr)
	.set .L_Z51ncclDevFunc_AllReduce_RING_SIMPLE_MinMax_bf16_0_1_4v.num_agpr, max(0, .L_ZN12_GLOBAL__N_17runRingI12hip_bfloat1610FuncMinMaxIS1_E11ProtoSimpleILi2ELi2ELi0ELi4ELi0ELi0EELi0ELi0ELi4ELi1EEEviiP15ncclDevWorkColl.num_agpr)
	.set .L_Z51ncclDevFunc_AllReduce_RING_SIMPLE_MinMax_bf16_0_1_4v.numbered_sgpr, max(102, .L_ZN12_GLOBAL__N_17runRingI12hip_bfloat1610FuncMinMaxIS1_E11ProtoSimpleILi2ELi2ELi0ELi4ELi0ELi0EELi0ELi0ELi4ELi1EEEviiP15ncclDevWorkColl.numbered_sgpr)
	.set .L_Z51ncclDevFunc_AllReduce_RING_SIMPLE_MinMax_bf16_0_1_4v.num_named_barrier, max(0, .L_ZN12_GLOBAL__N_17runRingI12hip_bfloat1610FuncMinMaxIS1_E11ProtoSimpleILi2ELi2ELi0ELi4ELi0ELi0EELi0ELi0ELi4ELi1EEEviiP15ncclDevWorkColl.num_named_barrier)
	.set .L_Z51ncclDevFunc_AllReduce_RING_SIMPLE_MinMax_bf16_0_1_4v.private_seg_size, 32+max(.L_ZN12_GLOBAL__N_17runRingI12hip_bfloat1610FuncMinMaxIS1_E11ProtoSimpleILi2ELi2ELi0ELi4ELi0ELi0EELi0ELi0ELi4ELi1EEEviiP15ncclDevWorkColl.private_seg_size)
	.set .L_Z51ncclDevFunc_AllReduce_RING_SIMPLE_MinMax_bf16_0_1_4v.uses_vcc, or(1, .L_ZN12_GLOBAL__N_17runRingI12hip_bfloat1610FuncMinMaxIS1_E11ProtoSimpleILi2ELi2ELi0ELi4ELi0ELi0EELi0ELi0ELi4ELi1EEEviiP15ncclDevWorkColl.uses_vcc)
	.set .L_Z51ncclDevFunc_AllReduce_RING_SIMPLE_MinMax_bf16_0_1_4v.uses_flat_scratch, or(0, .L_ZN12_GLOBAL__N_17runRingI12hip_bfloat1610FuncMinMaxIS1_E11ProtoSimpleILi2ELi2ELi0ELi4ELi0ELi0EELi0ELi0ELi4ELi1EEEviiP15ncclDevWorkColl.uses_flat_scratch)
	.set .L_Z51ncclDevFunc_AllReduce_RING_SIMPLE_MinMax_bf16_0_1_4v.has_dyn_sized_stack, or(0, .L_ZN12_GLOBAL__N_17runRingI12hip_bfloat1610FuncMinMaxIS1_E11ProtoSimpleILi2ELi2ELi0ELi4ELi0ELi0EELi0ELi0ELi4ELi1EEEviiP15ncclDevWorkColl.has_dyn_sized_stack)
	.set .L_Z51ncclDevFunc_AllReduce_RING_SIMPLE_MinMax_bf16_0_1_4v.has_recursion, or(1, .L_ZN12_GLOBAL__N_17runRingI12hip_bfloat1610FuncMinMaxIS1_E11ProtoSimpleILi2ELi2ELi0ELi4ELi0ELi0EELi0ELi0ELi4ELi1EEEviiP15ncclDevWorkColl.has_recursion)
	.set .L_Z51ncclDevFunc_AllReduce_RING_SIMPLE_MinMax_bf16_0_1_4v.has_indirect_call, or(0, .L_ZN12_GLOBAL__N_17runRingI12hip_bfloat1610FuncMinMaxIS1_E11ProtoSimpleILi2ELi2ELi0ELi4ELi0ELi0EELi0ELi0ELi4ELi1EEEviiP15ncclDevWorkColl.has_indirect_call)
	.section	.AMDGPU.csdata,"",@progbits
; Function info:
; codeLenInByte = 1372
; TotalNumSgprs: 106
; NumVgprs: 64
; ScratchSize: 784
; MemoryBound: 0
	.section	.AMDGPU.gpr_maximums,"",@progbits
	.set amdgpu.max_num_vgpr, 64
	.set amdgpu.max_num_agpr, 0
	.set amdgpu.max_num_sgpr, 102
	.section	.AMDGPU.csdata,"",@progbits
	.type	__const.__assert_fail.fmt,@object ; @__const.__assert_fail.fmt
	.section	.rodata.str1.16,"aMS",@progbits,1
	.p2align	4, 0x0
__const.__assert_fail.fmt:
	.asciz	"%s:%u: %s: Device-side assertion `%s' failed.\n"
	.size	__const.__assert_fail.fmt, 47

	.type	.str.3,@object                  ; @.str.3
	.section	.rodata.str1.1,"aMS",@progbits,1
.str.3:
	.asciz	"2*(nrecv+nsend) <= nthreads"
	.size	.str.3, 28

	.type	.str.4,@object                  ; @.str.4
.str.4:
	.asciz	"/root/src/amdgpu-assembly/repos/ROCm__rccl/hipify/src/device/prims_simple.h"
	.size	.str.4, 76

	.type	__PRETTY_FUNCTION__._ZN10PrimitivesI12hip_bfloat1610FuncMinMaxIS0_E12FanSymmetricILi1EELi0E11ProtoSimpleILi2ELi2ELi0ELi1ELi0ELi0EELi0ELb0ELi0ELi0ELi0EEC2EiiPKiS9_PKvPvmhhhP15ncclDevWorkCollP14ncclDevWorkP2pii,@object ; @__PRETTY_FUNCTION__._ZN10PrimitivesI12hip_bfloat1610FuncMinMaxIS0_E12FanSymmetricILi1EELi0E11ProtoSimpleILi2ELi2ELi0ELi1ELi0ELi0EELi0ELb0ELi0ELi0ELi0EEC2EiiPKiS9_PKvPvmhhhP15ncclDevWorkCollP14ncclDevWorkP2pii
__PRETTY_FUNCTION__._ZN10PrimitivesI12hip_bfloat1610FuncMinMaxIS0_E12FanSymmetricILi1EELi0E11ProtoSimpleILi2ELi2ELi0ELi1ELi0ELi0EELi0ELb0ELi0ELi0ELi0EEC2EiiPKiS9_PKvPvmhhhP15ncclDevWorkCollP14ncclDevWorkP2pii:
	.asciz	"Primitives<hip_bfloat16, FuncMinMax<hip_bfloat16>, FanSymmetric<1>, 0, ProtoSimple<2, 2, 0, 1>, 0>::Primitives(int, int, const int *, const int *, const void *, void *, uint64_t, uint8_t, uint8_t, uint8_t, struct ncclDevWorkColl *, struct ncclDevWorkP2p *, int, int) [T = hip_bfloat16, RedOp = FuncMinMax<hip_bfloat16>, Fan = FanSymmetric<1>, Direct = 0, Proto = ProtoSimple<2, 2, 0, 1>, P2p = 0, isNetOffload = false, Metadata = 0, Pipeline = 0, useAcc = 0]"
	.size	__PRETTY_FUNCTION__._ZN10PrimitivesI12hip_bfloat1610FuncMinMaxIS0_E12FanSymmetricILi1EELi0E11ProtoSimpleILi2ELi2ELi0ELi1ELi0ELi0EELi0ELb0ELi0ELi0ELi0EEC2EiiPKiS9_PKvPvmhhhP15ncclDevWorkCollP14ncclDevWorkP2pii, 459

	.type	__PRETTY_FUNCTION__._ZN10PrimitivesI12hip_bfloat1610FuncMinMaxIS0_E12FanSymmetricILi1EELi0E11ProtoSimpleILi2ELi2ELi0ELi1ELi0ELi0EELi0ELb0ELi0ELi1ELi0EEC2EiiPKiS9_PKvPvmhhhP15ncclDevWorkCollP14ncclDevWorkP2pii,@object ; @__PRETTY_FUNCTION__._ZN10PrimitivesI12hip_bfloat1610FuncMinMaxIS0_E12FanSymmetricILi1EELi0E11ProtoSimpleILi2ELi2ELi0ELi1ELi0ELi0EELi0ELb0ELi0ELi1ELi0EEC2EiiPKiS9_PKvPvmhhhP15ncclDevWorkCollP14ncclDevWorkP2pii
__PRETTY_FUNCTION__._ZN10PrimitivesI12hip_bfloat1610FuncMinMaxIS0_E12FanSymmetricILi1EELi0E11ProtoSimpleILi2ELi2ELi0ELi1ELi0ELi0EELi0ELb0ELi0ELi1ELi0EEC2EiiPKiS9_PKvPvmhhhP15ncclDevWorkCollP14ncclDevWorkP2pii:
	.asciz	"Primitives<hip_bfloat16, FuncMinMax<hip_bfloat16>, FanSymmetric<1>, 0, ProtoSimple<2, 2, 0, 1>, 0, false, 0, 1>::Primitives(int, int, const int *, const int *, const void *, void *, uint64_t, uint8_t, uint8_t, uint8_t, struct ncclDevWorkColl *, struct ncclDevWorkP2p *, int, int) [T = hip_bfloat16, RedOp = FuncMinMax<hip_bfloat16>, Fan = FanSymmetric<1>, Direct = 0, Proto = ProtoSimple<2, 2, 0, 1>, P2p = 0, isNetOffload = false, Metadata = 0, Pipeline = 1, useAcc = 0]"
	.size	__PRETTY_FUNCTION__._ZN10PrimitivesI12hip_bfloat1610FuncMinMaxIS0_E12FanSymmetricILi1EELi0E11ProtoSimpleILi2ELi2ELi0ELi1ELi0ELi0EELi0ELb0ELi0ELi1ELi0EEC2EiiPKiS9_PKvPvmhhhP15ncclDevWorkCollP14ncclDevWorkP2pii, 472

	.type	__PRETTY_FUNCTION__._ZN10PrimitivesI12hip_bfloat1610FuncMinMaxIS0_E12FanSymmetricILi1EELi0E11ProtoSimpleILi2ELi2ELi0ELi2ELi0ELi0EELi0ELb0ELi0ELi0ELi0EEC2EiiPKiS9_PKvPvmhhhP15ncclDevWorkCollP14ncclDevWorkP2pii,@object ; @__PRETTY_FUNCTION__._ZN10PrimitivesI12hip_bfloat1610FuncMinMaxIS0_E12FanSymmetricILi1EELi0E11ProtoSimpleILi2ELi2ELi0ELi2ELi0ELi0EELi0ELb0ELi0ELi0ELi0EEC2EiiPKiS9_PKvPvmhhhP15ncclDevWorkCollP14ncclDevWorkP2pii
__PRETTY_FUNCTION__._ZN10PrimitivesI12hip_bfloat1610FuncMinMaxIS0_E12FanSymmetricILi1EELi0E11ProtoSimpleILi2ELi2ELi0ELi2ELi0ELi0EELi0ELb0ELi0ELi0ELi0EEC2EiiPKiS9_PKvPvmhhhP15ncclDevWorkCollP14ncclDevWorkP2pii:
	.asciz	"Primitives<hip_bfloat16, FuncMinMax<hip_bfloat16>, FanSymmetric<1>, 0, ProtoSimple<2, 2, 0, 2>, 0>::Primitives(int, int, const int *, const int *, const void *, void *, uint64_t, uint8_t, uint8_t, uint8_t, struct ncclDevWorkColl *, struct ncclDevWorkP2p *, int, int) [T = hip_bfloat16, RedOp = FuncMinMax<hip_bfloat16>, Fan = FanSymmetric<1>, Direct = 0, Proto = ProtoSimple<2, 2, 0, 2>, P2p = 0, isNetOffload = false, Metadata = 0, Pipeline = 0, useAcc = 0]"
	.size	__PRETTY_FUNCTION__._ZN10PrimitivesI12hip_bfloat1610FuncMinMaxIS0_E12FanSymmetricILi1EELi0E11ProtoSimpleILi2ELi2ELi0ELi2ELi0ELi0EELi0ELb0ELi0ELi0ELi0EEC2EiiPKiS9_PKvPvmhhhP15ncclDevWorkCollP14ncclDevWorkP2pii, 459

	.type	__PRETTY_FUNCTION__._ZN10PrimitivesI12hip_bfloat1610FuncMinMaxIS0_E12FanSymmetricILi1EELi0E11ProtoSimpleILi2ELi2ELi0ELi2ELi0ELi0EELi0ELb0ELi0ELi1ELi0EEC2EiiPKiS9_PKvPvmhhhP15ncclDevWorkCollP14ncclDevWorkP2pii,@object ; @__PRETTY_FUNCTION__._ZN10PrimitivesI12hip_bfloat1610FuncMinMaxIS0_E12FanSymmetricILi1EELi0E11ProtoSimpleILi2ELi2ELi0ELi2ELi0ELi0EELi0ELb0ELi0ELi1ELi0EEC2EiiPKiS9_PKvPvmhhhP15ncclDevWorkCollP14ncclDevWorkP2pii
__PRETTY_FUNCTION__._ZN10PrimitivesI12hip_bfloat1610FuncMinMaxIS0_E12FanSymmetricILi1EELi0E11ProtoSimpleILi2ELi2ELi0ELi2ELi0ELi0EELi0ELb0ELi0ELi1ELi0EEC2EiiPKiS9_PKvPvmhhhP15ncclDevWorkCollP14ncclDevWorkP2pii:
	.asciz	"Primitives<hip_bfloat16, FuncMinMax<hip_bfloat16>, FanSymmetric<1>, 0, ProtoSimple<2, 2, 0, 2>, 0, false, 0, 1>::Primitives(int, int, const int *, const int *, const void *, void *, uint64_t, uint8_t, uint8_t, uint8_t, struct ncclDevWorkColl *, struct ncclDevWorkP2p *, int, int) [T = hip_bfloat16, RedOp = FuncMinMax<hip_bfloat16>, Fan = FanSymmetric<1>, Direct = 0, Proto = ProtoSimple<2, 2, 0, 2>, P2p = 0, isNetOffload = false, Metadata = 0, Pipeline = 1, useAcc = 0]"
	.size	__PRETTY_FUNCTION__._ZN10PrimitivesI12hip_bfloat1610FuncMinMaxIS0_E12FanSymmetricILi1EELi0E11ProtoSimpleILi2ELi2ELi0ELi2ELi0ELi0EELi0ELb0ELi0ELi1ELi0EEC2EiiPKiS9_PKvPvmhhhP15ncclDevWorkCollP14ncclDevWorkP2pii, 472

	.type	__PRETTY_FUNCTION__._ZN10PrimitivesI12hip_bfloat1610FuncMinMaxIS0_E12FanSymmetricILi1EELi0E11ProtoSimpleILi2ELi2ELi0ELi4ELi0ELi0EELi0ELb0ELi0ELi0ELi0EEC2EiiPKiS9_PKvPvmhhhP15ncclDevWorkCollP14ncclDevWorkP2pii,@object ; @__PRETTY_FUNCTION__._ZN10PrimitivesI12hip_bfloat1610FuncMinMaxIS0_E12FanSymmetricILi1EELi0E11ProtoSimpleILi2ELi2ELi0ELi4ELi0ELi0EELi0ELb0ELi0ELi0ELi0EEC2EiiPKiS9_PKvPvmhhhP15ncclDevWorkCollP14ncclDevWorkP2pii
__PRETTY_FUNCTION__._ZN10PrimitivesI12hip_bfloat1610FuncMinMaxIS0_E12FanSymmetricILi1EELi0E11ProtoSimpleILi2ELi2ELi0ELi4ELi0ELi0EELi0ELb0ELi0ELi0ELi0EEC2EiiPKiS9_PKvPvmhhhP15ncclDevWorkCollP14ncclDevWorkP2pii:
	.asciz	"Primitives<hip_bfloat16, FuncMinMax<hip_bfloat16>, FanSymmetric<1>, 0, ProtoSimple<2, 2, 0, 4>, 0>::Primitives(int, int, const int *, const int *, const void *, void *, uint64_t, uint8_t, uint8_t, uint8_t, struct ncclDevWorkColl *, struct ncclDevWorkP2p *, int, int) [T = hip_bfloat16, RedOp = FuncMinMax<hip_bfloat16>, Fan = FanSymmetric<1>, Direct = 0, Proto = ProtoSimple<2, 2, 0, 4>, P2p = 0, isNetOffload = false, Metadata = 0, Pipeline = 0, useAcc = 0]"
	.size	__PRETTY_FUNCTION__._ZN10PrimitivesI12hip_bfloat1610FuncMinMaxIS0_E12FanSymmetricILi1EELi0E11ProtoSimpleILi2ELi2ELi0ELi4ELi0ELi0EELi0ELb0ELi0ELi0ELi0EEC2EiiPKiS9_PKvPvmhhhP15ncclDevWorkCollP14ncclDevWorkP2pii, 459

	.type	__PRETTY_FUNCTION__._ZN10PrimitivesI12hip_bfloat1610FuncMinMaxIS0_E12FanSymmetricILi1EELi0E11ProtoSimpleILi2ELi2ELi0ELi4ELi0ELi0EELi0ELb0ELi0ELi1ELi0EEC2EiiPKiS9_PKvPvmhhhP15ncclDevWorkCollP14ncclDevWorkP2pii,@object ; @__PRETTY_FUNCTION__._ZN10PrimitivesI12hip_bfloat1610FuncMinMaxIS0_E12FanSymmetricILi1EELi0E11ProtoSimpleILi2ELi2ELi0ELi4ELi0ELi0EELi0ELb0ELi0ELi1ELi0EEC2EiiPKiS9_PKvPvmhhhP15ncclDevWorkCollP14ncclDevWorkP2pii
__PRETTY_FUNCTION__._ZN10PrimitivesI12hip_bfloat1610FuncMinMaxIS0_E12FanSymmetricILi1EELi0E11ProtoSimpleILi2ELi2ELi0ELi4ELi0ELi0EELi0ELb0ELi0ELi1ELi0EEC2EiiPKiS9_PKvPvmhhhP15ncclDevWorkCollP14ncclDevWorkP2pii:
	.asciz	"Primitives<hip_bfloat16, FuncMinMax<hip_bfloat16>, FanSymmetric<1>, 0, ProtoSimple<2, 2, 0, 4>, 0, false, 0, 1>::Primitives(int, int, const int *, const int *, const void *, void *, uint64_t, uint8_t, uint8_t, uint8_t, struct ncclDevWorkColl *, struct ncclDevWorkP2p *, int, int) [T = hip_bfloat16, RedOp = FuncMinMax<hip_bfloat16>, Fan = FanSymmetric<1>, Direct = 0, Proto = ProtoSimple<2, 2, 0, 4>, P2p = 0, isNetOffload = false, Metadata = 0, Pipeline = 1, useAcc = 0]"
	.size	__PRETTY_FUNCTION__._ZN10PrimitivesI12hip_bfloat1610FuncMinMaxIS0_E12FanSymmetricILi1EELi0E11ProtoSimpleILi2ELi2ELi0ELi4ELi0ELi0EELi0ELb0ELi0ELi1ELi0EEC2EiiPKiS9_PKvPvmhhhP15ncclDevWorkCollP14ncclDevWorkP2pii, 472

	.type	__hip_cuid_60750f909d2bf6ca,@object ; @__hip_cuid_60750f909d2bf6ca
	.section	.bss,"aw",@nobits
	.globl	__hip_cuid_60750f909d2bf6ca
__hip_cuid_60750f909d2bf6ca:
	.byte	0                               ; 0x0
	.size	__hip_cuid_60750f909d2bf6ca, 1

	.ident	"AMD clang version 22.0.0git (https://github.com/RadeonOpenCompute/llvm-project roc-7.2.4 26084 f58b06dce1f9c15707c5f808fd002e18c2accf7e)"
	.section	".note.GNU-stack","",@progbits
	.addrsig
	.addrsig_sym _Z51ncclDevFunc_AllReduce_RING_SIMPLE_MinMax_bf16_0_0_1v
	.addrsig_sym _Z51ncclDevFunc_AllReduce_RING_SIMPLE_MinMax_bf16_0_1_1v
	.addrsig_sym _Z51ncclDevFunc_AllReduce_RING_SIMPLE_MinMax_bf16_0_0_2v
	.addrsig_sym _Z51ncclDevFunc_AllReduce_RING_SIMPLE_MinMax_bf16_0_1_2v
	.addrsig_sym _Z51ncclDevFunc_AllReduce_RING_SIMPLE_MinMax_bf16_0_0_4v
	.addrsig_sym _Z51ncclDevFunc_AllReduce_RING_SIMPLE_MinMax_bf16_0_1_4v
	.addrsig_sym ncclShmem
	.addrsig_sym __hip_cuid_60750f909d2bf6ca
	.amdgpu_metadata
---
amdhsa.kernels:  []
amdhsa.target:   amdgcn-amd-amdhsa--gfx906
amdhsa.version:
  - 1
  - 2
...

	.end_amdgpu_metadata
